;; amdgpu-corpus repo=ggml-org/llama.cpp kind=compiled arch=gfx942 opt=O3
	.text
	.amdgcn_target "amdgcn-amd-amdhsa--gfx942"
	.amdhsa_code_object_version 6
	.section	.text._ZL15flash_attn_tileILi112ELi112ELi8ELi8ELb0EEvPKcS1_S1_S1_S1_PKiPfP15HIP_vector_typeIfLj2EEffffjfiS5_IjLj3EEiiiiiiiiiiiliiliiiiil,"axG",@progbits,_ZL15flash_attn_tileILi112ELi112ELi8ELi8ELb0EEvPKcS1_S1_S1_S1_PKiPfP15HIP_vector_typeIfLj2EEffffjfiS5_IjLj3EEiiiiiiiiiiiliiliiiiil,comdat
	.globl	_ZL15flash_attn_tileILi112ELi112ELi8ELi8ELb0EEvPKcS1_S1_S1_S1_PKiPfP15HIP_vector_typeIfLj2EEffffjfiS5_IjLj3EEiiiiiiiiiiiliiliiiiil ; -- Begin function _ZL15flash_attn_tileILi112ELi112ELi8ELi8ELb0EEvPKcS1_S1_S1_S1_PKiPfP15HIP_vector_typeIfLj2EEffffjfiS5_IjLj3EEiiiiiiiiiiiliiliiiiil
	.p2align	8
	.type	_ZL15flash_attn_tileILi112ELi112ELi8ELi8ELb0EEvPKcS1_S1_S1_S1_PKiPfP15HIP_vector_typeIfLj2EEffffjfiS5_IjLj3EEiiiiiiiiiiiliiliiiiil,@function
_ZL15flash_attn_tileILi112ELi112ELi8ELi8ELb0EEvPKcS1_S1_S1_S1_PKiPfP15HIP_vector_typeIfLj2EEffffjfiS5_IjLj3EEiiiiiiiiiiiliiliiiiil: ; @_ZL15flash_attn_tileILi112ELi112ELi8ELi8ELb0EEvPKcS1_S1_S1_S1_PKiPfP15HIP_vector_typeIfLj2EEffffjfiS5_IjLj3EEiiiiiiiiiiiliiliiiiil
; %bb.0:
	s_load_dwordx4 s[68:71], s[0:1], 0x5c
	s_load_dwordx2 s[72:73], s[0:1], 0x80
	s_load_dwordx16 s[52:67], s[0:1], 0x0
	s_mov_b64 s[74:75], 0
	s_waitcnt lgkmcnt(0)
	s_ashr_i32 s5, s71, 31
	s_lshr_b32 s5, s5, 29
	s_add_i32 s5, s71, s5
	s_ashr_i32 s5, s5, 3
	v_cvt_f32_u32_e32 v1, s5
	s_sub_i32 s6, 0, s5
	v_rcp_iflag_f32_e32 v1, v1
	s_nop 0
	v_mul_f32_e32 v1, 0x4f7ffffe, v1
	v_cvt_u32_f32_e32 v1, v1
	s_nop 0
	v_readfirstlane_b32 s7, v1
	s_mul_i32 s6, s6, s7
	s_mul_hi_u32 s6, s7, s6
	s_add_i32 s7, s7, s6
	s_mul_hi_u32 s6, s4, s7
	s_mul_i32 s7, s6, s5
	s_sub_i32 s7, s4, s7
	s_add_i32 s8, s6, 1
	s_sub_i32 s9, s7, s5
	s_cmp_ge_u32 s7, s5
	s_cselect_b32 s6, s8, s6
	s_cselect_b32 s7, s9, s7
	s_add_i32 s8, s6, 1
	s_cmp_ge_u32 s7, s5
	s_cselect_b32 s33, s8, s6
	s_abs_i32 s5, s73
	v_cvt_f32_u32_e32 v1, s5
	s_sub_i32 s8, 0, s5
	s_abs_i32 s7, s71
	s_xor_b32 s6, s71, s73
	v_rcp_iflag_f32_e32 v1, v1
	s_lshl_b32 s4, s4, 3
	s_ashr_i32 s6, s6, 31
	v_mul_f32_e32 v1, 0x4f7ffffe, v1
	v_cvt_u32_f32_e32 v1, v1
	s_nop 0
	v_readfirstlane_b32 s9, v1
	s_mul_i32 s8, s8, s9
	s_mul_hi_u32 s8, s9, s8
	s_add_i32 s9, s9, s8
	s_mul_hi_u32 s8, s7, s9
	s_mul_i32 s9, s8, s5
	s_sub_i32 s7, s7, s9
	s_add_i32 s10, s8, 1
	s_sub_i32 s9, s7, s5
	s_cmp_ge_u32 s7, s5
	s_cselect_b32 s8, s10, s8
	s_cselect_b32 s7, s9, s7
	s_add_i32 s9, s8, 1
	s_cmp_ge_u32 s7, s5
	s_cselect_b32 s5, s9, s8
	s_xor_b32 s5, s5, s6
	s_sub_i32 s13, s5, s6
	s_abs_i32 s12, s13
	v_cvt_f32_u32_e32 v1, s12
	s_load_dwordx2 s[8:9], s[0:1], 0xb8
	s_mul_i32 s5, s33, s71
	s_cmp_eq_u64 s[58:59], 0
	v_rcp_iflag_f32_e32 v1, v1
	s_nop 0
	v_mul_f32_e32 v1, 0x4f7ffffe, v1
	v_cvt_u32_f32_e32 v1, v1
	s_nop 0
	v_readfirstlane_b32 s14, v1
	s_cbranch_scc1 .LBB0_2
; %bb.1:
	s_waitcnt lgkmcnt(0)
	s_abs_i32 s8, s8
	v_cvt_f32_u32_e32 v1, s8
	s_sub_i32 s15, 0, s8
	s_abs_i32 s11, s33
	s_ashr_i32 s10, s33, 31
	v_rcp_iflag_f32_e32 v1, v1
	s_load_dwordx2 s[6:7], s[0:1], 0xc8
	v_mul_f32_e32 v1, 0x4f7ffffe, v1
	v_cvt_u32_f32_e32 v1, v1
	s_nop 0
	v_readfirstlane_b32 s16, v1
	s_mul_i32 s15, s15, s16
	s_mul_hi_u32 s15, s16, s15
	s_add_i32 s16, s16, s15
	s_mul_hi_u32 s15, s11, s16
	s_mul_i32 s15, s15, s8
	s_sub_i32 s11, s11, s15
	s_sub_i32 s15, s11, s8
	s_cmp_ge_u32 s11, s8
	s_cselect_b32 s11, s15, s11
	s_sub_i32 s15, s11, s8
	s_cmp_ge_u32 s11, s8
	s_cselect_b32 s8, s15, s11
	s_xor_b32 s8, s8, s10
	s_sub_i32 s8, s8, s10
	s_ashr_i32 s10, s8, 31
	s_waitcnt lgkmcnt(0)
	s_mul_i32 s7, s8, s7
	s_mul_hi_u32 s11, s8, s6
	s_add_i32 s7, s11, s7
	s_mul_i32 s10, s10, s6
	s_add_i32 s7, s7, s10
	s_mul_i32 s8, s8, s6
	s_add_u32 s74, s58, s8
	s_addc_u32 s75, s59, s7
.LBB0_2:
	v_bfe_u32 v8, v0, 10, 10
	v_lshl_add_u32 v105, s2, 3, v8
	v_and_b32_e32 v106, 0x3ff, v0
	v_mul_hi_u32 v0, s68, v105
	v_add_u32_e32 v0, v105, v0
	v_lshrrev_b32_e32 v0, s69, v0
	v_mul_lo_u32 v0, v0, s70
	s_sub_i32 s50, s4, s5
	v_cmp_gt_u32_e64 s[48:49], 28, v106
	v_sub_u32_e32 v9, v105, v0
	v_lshlrev_b32_e32 v104, 2, v106
	s_and_saveexec_b64 s[10:11], s[48:49]
	s_cbranch_execz .LBB0_4
; %bb.3:
	s_load_dwordx4 s[4:7], s[0:1], 0x70
	v_mul_u32_u24_e32 v34, 0x1c0, v8
	v_lshlrev_b32_e32 v34, 2, v34
	v_lshl_or_b32 v34, v106, 3, v34
	s_waitcnt lgkmcnt(0)
	s_mul_i32 s6, s33, s6
	s_ashr_i32 s8, s6, 31
	s_mul_i32 s7, s50, s5
	s_add_u32 s6, s52, s6
	s_addc_u32 s8, s53, s8
	s_ashr_i32 s15, s7, 31
	s_add_u32 s6, s6, s7
	v_mov_b32_e32 v0, s4
	s_addc_u32 s7, s8, s15
	s_ashr_i32 s4, s4, 31
	v_alignbit_b32 v0, s4, v0, 2
	v_mad_u64_u32 v[0:1], s[16:17], v0, v9, 0
	v_mov_b32_e32 v2, v1
	s_lshr_b32 s4, s4, 2
	v_mad_u64_u32 v[2:3], s[16:17], s4, v9, v[2:3]
	v_mov_b32_e32 v1, v2
	v_lshl_add_u64 v[0:1], v[0:1], 2, s[6:7]
	v_lshlrev_b32_e32 v2, 2, v104
	v_mov_b32_e32 v3, 0
	s_ashr_i32 s7, s5, 31
	v_mov_b32_e32 v14, s5
	v_lshl_add_u64 v[30:31], v[0:1], 0, v[2:3]
	s_mov_b32 s6, s5
	v_alignbit_b32 v32, s7, v14, 2
	s_lshr_b64 s[16:17], s[6:7], 2
	s_and_b32 s6, s5, -4
	v_mad_u64_u32 v[18:19], s[4:5], v32, 12, v[30:31]
	global_load_dwordx4 v[0:3], v[30:31], off
	v_lshl_add_u64 v[4:5], v[30:31], 0, s[6:7]
	s_lshr_b32 s8, s7, 2
	s_andn2_b32 s7, s7, -2.0
	v_mov_b32_e32 v20, v19
	global_load_dwordx4 v[4:7], v[4:5], off
	v_lshl_add_u64 v[10:11], s[16:17], 3, v[30:31]
	global_load_dwordx4 v[10:13], v[10:11], off
	v_lshl_add_u64 v[14:15], s[6:7], 2, v[30:31]
	v_mad_u64_u32 v[20:21], s[4:5], s8, 12, v[20:21]
	global_load_dwordx4 v[14:17], v[14:15], off
	v_mov_b32_e32 v19, v20
	global_load_dwordx4 v[18:21], v[18:19], off
	v_mad_u64_u32 v[22:23], s[4:5], v32, 20, v[30:31]
	v_mov_b32_e32 v24, v23
	v_mad_u64_u32 v[24:25], s[4:5], s8, 20, v[24:25]
	v_mov_b32_e32 v23, v24
	global_load_dwordx4 v[22:25], v[22:23], off
	v_mad_u64_u32 v[26:27], s[4:5], v32, 24, v[30:31]
	v_mov_b32_e32 v28, v27
	v_mad_u64_u32 v[28:29], s[4:5], s8, 24, v[28:29]
	v_mad_u64_u32 v[30:31], s[4:5], v32, 28, v[30:31]
	v_mov_b32_e32 v27, v28
	global_load_dwordx4 v[26:29], v[26:27], off
	v_mov_b32_e32 v32, v31
	v_mad_u64_u32 v[32:33], s[4:5], s8, 28, v[32:33]
	v_mov_b32_e32 v31, v32
	global_load_dwordx4 v[30:33], v[30:31], off
	s_load_dword s4, s[0:1], 0x40
	s_waitcnt vmcnt(7) lgkmcnt(0)
	v_pk_mul_f32 v[0:1], v[0:1], s[4:5] op_sel_hi:[1,0]
	v_pk_mul_f32 v[2:3], v[2:3], s[4:5] op_sel_hi:[1,0]
	v_cvt_f16_f32_e32 v35, v1
	v_cvt_f16_f32_e32 v36, v0
	;; [unrolled: 1-line block ×3, first 2 shown]
	s_waitcnt vmcnt(6)
	v_pk_mul_f32 v[0:1], v[4:5], s[4:5] op_sel_hi:[1,0]
	v_cvt_f16_f32_e32 v38, v2
	v_pk_mul_f32 v[2:3], v[6:7], s[4:5] op_sel_hi:[1,0]
	s_waitcnt vmcnt(5)
	v_pk_mul_f32 v[4:5], v[10:11], s[4:5] op_sel_hi:[1,0]
	v_cvt_f16_f32_e32 v10, v1
	v_cvt_f16_f32_e32 v11, v0
	s_waitcnt vmcnt(4)
	v_pk_mul_f32 v[0:1], v[14:15], s[4:5] op_sel_hi:[1,0]
	v_pk_mul_f32 v[6:7], v[12:13], s[4:5] op_sel_hi:[1,0]
	v_cvt_f16_f32_e32 v12, v3
	v_cvt_f16_f32_e32 v13, v2
	;; [unrolled: 1-line block ×4, first 2 shown]
	v_pk_mul_f32 v[2:3], v[16:17], s[4:5] op_sel_hi:[1,0]
	v_cvt_f16_f32_e32 v14, v1
	v_cvt_f16_f32_e32 v15, v0
	s_waitcnt vmcnt(3)
	v_pk_mul_f32 v[0:1], v[18:19], s[4:5] op_sel_hi:[1,0]
	v_pk_mul_f32 v[4:5], v[20:21], s[4:5] op_sel_hi:[1,0]
	v_cvt_f16_f32_e32 v41, v7
	v_cvt_f16_f32_e32 v42, v6
	v_cvt_f16_f32_e32 v16, v3
	v_cvt_f16_f32_e32 v3, v1
	v_cvt_f16_f32_e32 v17, v0
	v_cvt_f16_f32_e32 v18, v5
	v_cvt_f16_f32_e32 v19, v4
	v_pack_b32_f16 v7, v38, v37
	v_pack_b32_f16 v6, v36, v35
	;; [unrolled: 1-line block ×6, first 2 shown]
	ds_write2_b64 v34, v[6:7], v[0:1] offset1:28
	v_pack_b32_f16 v1, v19, v18
	v_pack_b32_f16 v0, v17, v3
	ds_write2_b64 v34, v[4:5], v[0:1] offset0:56 offset1:84
	v_cvt_f16_f32_e32 v4, v2
	s_waitcnt vmcnt(2)
	v_pk_mul_f32 v[0:1], v[22:23], s[4:5] op_sel_hi:[1,0]
	v_pk_mul_f32 v[2:3], v[24:25], s[4:5] op_sel_hi:[1,0]
	v_cvt_f16_f32_e32 v5, v1
	v_cvt_f16_f32_e32 v3, v3
	;; [unrolled: 1-line block ×4, first 2 shown]
	v_pack_b32_f16 v1, v4, v16
	v_pack_b32_f16 v0, v15, v14
	;; [unrolled: 1-line block ×4, first 2 shown]
	ds_write2_b64 v34, v[0:1], v[2:3] offset0:112 offset1:140
	s_waitcnt vmcnt(1)
	v_pk_mul_f32 v[0:1], v[26:27], s[4:5] op_sel_hi:[1,0]
	s_waitcnt vmcnt(0)
	v_pk_mul_f32 v[2:3], v[32:33], s[4:5] op_sel_hi:[1,0]
	v_cvt_f16_f32_e32 v4, v1
	v_cvt_f16_f32_e32 v5, v0
	v_pk_mul_f32 v[0:1], v[28:29], s[4:5] op_sel_hi:[1,0]
	v_cvt_f16_f32_e32 v3, v3
	v_cvt_f16_f32_e32 v6, v1
	;; [unrolled: 1-line block ×3, first 2 shown]
	v_pk_mul_f32 v[0:1], v[30:31], s[4:5] op_sel_hi:[1,0]
	v_cvt_f16_f32_e32 v2, v2
	v_cvt_f16_f32_e32 v10, v1
	v_cvt_f16_f32_e32 v11, v0
	v_pack_b32_f16 v1, v7, v6
	v_pack_b32_f16 v0, v5, v4
	;; [unrolled: 1-line block ×4, first 2 shown]
	ds_write2_b64 v34, v[0:1], v[2:3] offset0:168 offset1:196
.LBB0_4:
	s_or_b64 exec, exec, s[10:11]
	s_cmp_eq_u64 s[62:63], 0
	s_waitcnt lgkmcnt(0)
	s_barrier
	s_cbranch_scc1 .LBB0_6
; %bb.5:
	s_load_dword s4, s[0:1], 0xd0
	s_mov_b32 s5, 0
	s_waitcnt lgkmcnt(0)
	s_mul_i32 s4, s4, s33
	s_add_i32 s4, s4, s2
	s_lshl_b64 s[4:5], s[4:5], 2
	s_add_u32 s4, s62, s4
	s_addc_u32 s5, s63, s5
	s_load_dword s72, s[4:5], 0x0
.LBB0_6:
	s_lshl_b32 s51, s3, 5
	s_waitcnt lgkmcnt(0)
	s_cmp_lt_i32 s51, s72
	v_mbcnt_lo_u32_b32 v10, -1, 0
	s_cbranch_scc1 .LBB0_8
; %bb.7:
	v_mbcnt_hi_u32_b32 v145, -1, v10
	v_and_b32_e32 v0, 0x60, v145
	s_mov_b32 s2, 0
	v_add_u32_e32 v180, 32, v0
	v_xor_b32_e32 v184, 16, v145
	v_xor_b32_e32 v185, 8, v145
	;; [unrolled: 1-line block ×5, first 2 shown]
	s_mov_b64 s[4:5], 0
	s_mov_b32 s6, 0xfeffffff
	s_branch .LBB0_9
.LBB0_8:
	s_mov_b64 s[4:5], -1
                                        ; implicit-def: $sgpr6
                                        ; implicit-def: $sgpr2
                                        ; implicit-def: $vgpr145
                                        ; implicit-def: $vgpr180
                                        ; implicit-def: $vgpr184
                                        ; implicit-def: $vgpr185
                                        ; implicit-def: $vgpr183
                                        ; implicit-def: $vgpr182
                                        ; implicit-def: $vgpr181
.LBB0_9:
	s_andn2_b64 vcc, exec, s[4:5]
	v_mov_b32_e32 v7, s6
	v_mov_b32_e32 v123, s2
	v_mov_b32_e32 v121, s2
	v_mov_b32_e32 v139, s2
	v_mov_b32_e32 v6, s6
	v_mov_b32_e32 v5, s6
	v_mov_b32_e32 v4, s6
	v_mov_b32_e32 v3, s6
	v_mov_b32_e32 v2, s6
	v_mov_b32_e32 v1, s6
	v_mov_b32_e32 v0, s6
	v_mov_b32_e32 v122, s2
	v_mov_b32_e32 v125, s2
	v_mov_b32_e32 v124, s2
	v_mov_b32_e32 v127, s2
	v_mov_b32_e32 v126, s2
	v_mov_b32_e32 v129, s2
	v_mov_b32_e32 v128, s2
	v_mov_b32_e32 v120, s2
	v_mov_b32_e32 v119, s2
	v_mov_b32_e32 v118, s2
	v_mov_b32_e32 v117, s2
	v_mov_b32_e32 v116, s2
	v_mov_b32_e32 v115, s2
	v_mov_b32_e32 v114, s2
	v_mov_b32_e32 v113, s2
	v_mov_b32_e32 v112, s2
	v_mov_b32_e32 v111, s2
	v_mov_b32_e32 v110, s2
	v_mov_b32_e32 v107, s2
	v_mov_b32_e32 v108, s2
	v_mov_b32_e32 v109, s2
	s_cbranch_vccnz .LBB0_37
; %bb.10:
	s_load_dwordx2 s[10:11], s[0:1], 0x8c
	s_load_dwordx4 s[4:7], s[0:1], 0x98
	s_sub_i32 s2, 0, s12
	s_mul_i32 s2, s2, s14
	s_mul_hi_u32 s2, s14, s2
	s_waitcnt lgkmcnt(0)
	s_ashr_i32 s59, s10, 2
	s_ashr_i32 s58, s6, 2
	;; [unrolled: 1-line block ×3, first 2 shown]
	s_mul_i32 s5, s33, s5
	s_mul_hi_u32 s10, s33, s4
	s_add_i32 s5, s10, s5
	s_mul_i32 s10, s6, s4
	s_abs_i32 s8, s50
	s_add_i32 s14, s14, s2
	s_ashr_i32 s16, s50, 31
	s_ashr_i32 s13, s13, 31
	;; [unrolled: 1-line block ×3, first 2 shown]
	s_add_i32 s5, s5, s10
	s_mul_i32 s4, s33, s4
	s_mul_hi_u32 s2, s8, s14
	s_add_u32 s4, s54, s4
	s_addc_u32 s5, s55, s5
	s_xor_b32 s10, s16, s13
	s_mul_i32 s13, s2, s12
	s_sub_i32 s8, s8, s13
	s_add_i32 s13, s2, 1
	s_sub_i32 s16, s8, s12
	s_cmp_ge_u32 s8, s12
	s_cselect_b32 s2, s13, s2
	s_cselect_b32 s8, s16, s8
	s_add_i32 s13, s2, 1
	s_cmp_ge_u32 s8, s12
	s_cselect_b32 s2, s13, s2
	s_load_dwordx2 s[14:15], s[0:1], 0xa8
	s_xor_b32 s2, s2, s10
	s_sub_i32 s2, s2, s10
	s_mul_i32 s8, s2, s11
	s_ashr_i32 s10, s8, 31
	v_lshl_add_u32 v0, v8, 5, v106
	s_add_u32 s62, s4, s8
	v_cmp_gt_u32_e32 vcc, 32, v0
	v_lshrrev_b32_e32 v1, 1, v106
	v_lshrrev_b32_e32 v2, 2, v106
	v_mul_lo_u32 v130, s59, v0
	v_and_b32_e32 v0, 4, v104
	s_addc_u32 s63, s5, s10
	s_waitcnt lgkmcnt(0)
	s_mul_i32 s4, s33, s15
	s_mul_hi_u32 s5, s33, s14
	v_lshl_add_u32 v1, v8, 4, v1
	v_lshl_add_u32 v3, v8, 3, v2
	v_lshlrev_b32_e32 v2, 7, v106
	v_lshlrev_b32_e32 v4, 2, v0
	s_add_i32 s4, s5, s4
	s_mul_i32 s6, s6, s14
	v_add_u32_e32 v168, 0x3800, v2
	v_add_u32_e32 v170, 0x3860, v2
	v_lshl_or_b32 v2, v1, 7, v4
	s_add_i32 s4, s4, s6
	s_mul_i32 s5, s33, s14
	v_add_u32_e32 v171, 0x3840, v2
	v_and_b32_e32 v2, 12, v104
	s_add_u32 s5, s56, s5
	s_mul_i32 s2, s2, s7
	v_lshlrev_b32_e32 v5, 2, v2
	s_addc_u32 s4, s57, s4
	s_ashr_i32 s6, s2, 31
	v_lshl_or_b32 v6, v3, 7, v5
	s_add_u32 s68, s5, s2
	v_add_u32_e32 v172, 0x3800, v6
	v_mad_u64_u32 v[138:139], s[8:9], v9, s9, v[106:107]
	v_mov_b32_e32 v6, 0x4840
	v_lshrrev_b32_e32 v7, 3, v106
	s_addc_u32 s69, s4, s6
	v_cmp_gt_u32_e64 s[4:5], 32, v1
	v_mul_u32_u24_e32 v169, 0x700, v8
	v_mul_lo_u32 v132, s59, v1
	v_lshl_add_u32 v173, v8, 9, v6
	v_cmp_gt_u32_e64 s[8:9], 16, v1
	v_lshl_add_u32 v7, v8, 2, v7
	v_mul_u32_u24_e32 v8, 0xe0, v1
	v_mul_lo_u32 v140, s58, v1
	v_mul_u32_u24_e32 v1, 0xe0, v3
	s_movk_i32 s14, 0x3880
	v_and_b32_e32 v144, 28, v104
	v_cmp_gt_u32_e64 s[6:7], 32, v3
	s_movk_i32 s2, 0x3800
	v_mov_b32_e32 v135, 0
	v_mul_lo_u32 v136, s59, v3
	v_lshlrev_b32_e32 v6, 4, v106
	v_cmp_gt_u32_e64 s[10:11], 16, v3
	v_or_b32_e32 v4, v8, v4
	v_add3_u32 v176, v1, v5, s14
	v_mul_lo_u32 v142, s58, v3
	v_mul_u32_u24_e32 v1, 0xe0, v7
	v_lshlrev_b32_e32 v3, 2, v144
	v_mul_lo_u32 v146, s58, v7
	s_add_u32 s52, s0, 0xd0
	v_mov_b32_e32 v8, 0xfeffffff
	v_ashrrev_i32_e32 v131, 31, v130
	v_ashrrev_i32_e32 v133, 31, v132
	;; [unrolled: 1-line block ×3, first 2 shown]
	v_cmp_gt_u32_e64 s[12:13], 16, v7
	v_lshlrev_b32_e32 v174, 3, v106
	v_add_u32_e32 v175, 0x38c0, v4
	v_ashrrev_i32_e32 v141, 31, v140
	v_ashrrev_i32_e32 v143, 31, v142
	v_add3_u32 v177, v1, v3, s2
	v_ashrrev_i32_e32 v147, 31, v146
	s_addc_u32 s53, s1, 0
	v_mbcnt_hi_u32_b32 v145, -1, v10
	s_mov_b32 s2, 0x40051340
	s_mov_b32 s73, 0x3fb8aa3b
	;; [unrolled: 1-line block ×4, first 2 shown]
	v_add_u32_e32 v178, v173, v6
	v_lshlrev_b32_e32 v134, 2, v0
	v_lshlrev_b32_e32 v148, 2, v2
	v_mov_b32_e32 v179, 0x7f800000
	v_mov_b32_e32 v109, v135
	;; [unrolled: 1-line block ×32, first 2 shown]
.LBB0_11:                               ; =>This Inner Loop Header: Depth=1
	s_mul_hi_i32 s15, s51, s59
	s_mul_i32 s14, s51, s59
	s_lshl_b64 s[14:15], s[14:15], 2
	s_add_u32 s14, s62, s14
	s_addc_u32 s15, s63, s15
	v_lshl_add_u64 v[20:21], v[130:131], 2, s[14:15]
	s_and_saveexec_b64 s[16:17], vcc
	s_cbranch_execnz .LBB0_29
; %bb.12:                               ;   in Loop: Header=BB0_11 Depth=1
	s_or_b64 exec, exec, s[16:17]
	v_lshl_add_u64 v[16:17], v[132:133], 2, s[14:15]
	s_and_saveexec_b64 s[16:17], s[4:5]
	s_cbranch_execnz .LBB0_30
.LBB0_13:                               ;   in Loop: Header=BB0_11 Depth=1
	s_or_b64 exec, exec, s[16:17]
	v_lshl_add_u64 v[18:19], v[136:137], 2, s[14:15]
	s_and_saveexec_b64 s[14:15], s[6:7]
	s_cbranch_execz .LBB0_15
.LBB0_14:                               ;   in Loop: Header=BB0_11 Depth=1
	v_mov_b32_e32 v149, v135
	v_lshl_add_u64 v[0:1], v[18:19], 0, v[148:149]
	global_load_dwordx4 v[0:3], v[0:1], off
	s_waitcnt vmcnt(0)
	ds_write_b128 v172, v[0:3]
.LBB0_15:                               ;   in Loop: Header=BB0_11 Depth=1
	s_or_b64 exec, exec, s[14:15]
	v_mov_b32_e32 v0, 0
	s_waitcnt lgkmcnt(0)
	s_barrier
	ds_read_b128 v[22:25], v168
	ds_read_b128 v[2:5], v169
	ds_read_b128 v[26:29], v169 offset:224
	ds_read_b128 v[30:33], v169 offset:448
	;; [unrolled: 1-line block ×7, first 2 shown]
	s_waitcnt lgkmcnt(7)
	;;#ASMSTART
	v_dot2_f32_f16 v0, v22, v2, v0
	;;#ASMEND
	v_mov_b32_e32 v1, 0
	;;#ASMSTART
	v_dot2_f32_f16 v0, v23, v3, v0
	;;#ASMEND
	v_mov_b32_e32 v2, 0
	;;#ASMSTART
	v_dot2_f32_f16 v0, v24, v4, v0
	;;#ASMEND
	v_mov_b32_e32 v3, 0
	;;#ASMSTART
	v_dot2_f32_f16 v0, v25, v5, v0
	;;#ASMEND
	s_waitcnt lgkmcnt(6)
	;;#ASMSTART
	v_dot2_f32_f16 v1, v22, v26, v1
	;;#ASMEND
	v_mov_b32_e32 v4, 0
	;;#ASMSTART
	v_dot2_f32_f16 v1, v23, v27, v1
	;;#ASMEND
	v_mov_b32_e32 v5, 0
	;; [unrolled: 4-line block ×3, first 2 shown]
	;;#ASMSTART
	v_dot2_f32_f16 v1, v25, v29, v1
	;;#ASMEND
	s_waitcnt lgkmcnt(5)
	;;#ASMSTART
	v_dot2_f32_f16 v2, v22, v30, v2
	;;#ASMEND
	v_mov_b32_e32 v7, 0
	;;#ASMSTART
	v_dot2_f32_f16 v2, v23, v31, v2
	;;#ASMEND
	s_nop 0
	;;#ASMSTART
	v_dot2_f32_f16 v2, v24, v32, v2
	;;#ASMEND
	s_nop 0
	;;#ASMSTART
	v_dot2_f32_f16 v2, v25, v33, v2
	;;#ASMEND
	s_waitcnt lgkmcnt(4)
	;;#ASMSTART
	v_dot2_f32_f16 v3, v22, v34, v3
	;;#ASMEND
	s_nop 0
	;;#ASMSTART
	v_dot2_f32_f16 v3, v23, v35, v3
	;;#ASMEND
	s_nop 0
	;;#ASMSTART
	v_dot2_f32_f16 v3, v24, v36, v3
	;;#ASMEND
	s_nop 0
	;;#ASMSTART
	v_dot2_f32_f16 v3, v25, v37, v3
	;;#ASMEND
	s_waitcnt lgkmcnt(3)
	;;#ASMSTART
	v_dot2_f32_f16 v4, v22, v38, v4
	;;#ASMEND
	s_nop 0
	;; [unrolled: 16-line block ×5, first 2 shown]
	;;#ASMSTART
	v_dot2_f32_f16 v7, v23, v51, v7
	;;#ASMEND
	s_nop 0
	;;#ASMSTART
	v_dot2_f32_f16 v7, v24, v52, v7
	;;#ASMEND
	s_nop 0
	;;#ASMSTART
	v_dot2_f32_f16 v7, v25, v53, v7
	;;#ASMEND
	ds_read_b128 v[22:25], v168 offset:16
	ds_read_b128 v[26:29], v169 offset:16
	;; [unrolled: 1-line block ×9, first 2 shown]
	s_waitcnt lgkmcnt(7)
	;;#ASMSTART
	v_dot2_f32_f16 v0, v22, v26, v0
	;;#ASMEND
	s_nop 0
	;;#ASMSTART
	v_dot2_f32_f16 v0, v23, v27, v0
	;;#ASMEND
	s_nop 0
	;;#ASMSTART
	v_dot2_f32_f16 v0, v24, v28, v0
	;;#ASMEND
	s_nop 0
	;;#ASMSTART
	v_dot2_f32_f16 v0, v25, v29, v0
	;;#ASMEND
	s_waitcnt lgkmcnt(6)
	;;#ASMSTART
	v_dot2_f32_f16 v1, v22, v30, v1
	;;#ASMEND
	s_nop 0
	;;#ASMSTART
	v_dot2_f32_f16 v1, v23, v31, v1
	;;#ASMEND
	s_nop 0
	;;#ASMSTART
	v_dot2_f32_f16 v1, v24, v32, v1
	;;#ASMEND
	s_nop 0
	;;#ASMSTART
	v_dot2_f32_f16 v1, v25, v33, v1
	;;#ASMEND
	;; [unrolled: 16-line block ×8, first 2 shown]
	ds_read_b128 v[22:25], v168 offset:32
	ds_read_b128 v[26:29], v169 offset:32
	;; [unrolled: 1-line block ×9, first 2 shown]
	s_waitcnt lgkmcnt(7)
	;;#ASMSTART
	v_dot2_f32_f16 v0, v22, v26, v0
	;;#ASMEND
	s_nop 0
	;;#ASMSTART
	v_dot2_f32_f16 v0, v23, v27, v0
	;;#ASMEND
	s_nop 0
	;;#ASMSTART
	v_dot2_f32_f16 v0, v24, v28, v0
	;;#ASMEND
	s_nop 0
	;;#ASMSTART
	v_dot2_f32_f16 v0, v25, v29, v0
	;;#ASMEND
	s_waitcnt lgkmcnt(6)
	;;#ASMSTART
	v_dot2_f32_f16 v1, v22, v30, v1
	;;#ASMEND
	s_nop 0
	;;#ASMSTART
	v_dot2_f32_f16 v1, v23, v31, v1
	;;#ASMEND
	s_nop 0
	;;#ASMSTART
	v_dot2_f32_f16 v1, v24, v32, v1
	;;#ASMEND
	s_nop 0
	;;#ASMSTART
	v_dot2_f32_f16 v1, v25, v33, v1
	;;#ASMEND
	;; [unrolled: 16-line block ×8, first 2 shown]
	ds_read_b128 v[22:25], v168 offset:48
	ds_read_b128 v[26:29], v169 offset:48
	;; [unrolled: 1-line block ×9, first 2 shown]
	s_waitcnt lgkmcnt(7)
	;;#ASMSTART
	v_dot2_f32_f16 v0, v22, v26, v0
	;;#ASMEND
	s_nop 0
	;;#ASMSTART
	v_dot2_f32_f16 v0, v23, v27, v0
	;;#ASMEND
	s_nop 0
	;;#ASMSTART
	v_dot2_f32_f16 v0, v24, v28, v0
	;;#ASMEND
	s_nop 0
	;;#ASMSTART
	v_dot2_f32_f16 v0, v25, v29, v0
	;;#ASMEND
	s_waitcnt lgkmcnt(6)
	;;#ASMSTART
	v_dot2_f32_f16 v1, v22, v30, v1
	;;#ASMEND
	s_nop 0
	;;#ASMSTART
	v_dot2_f32_f16 v1, v23, v31, v1
	;;#ASMEND
	s_nop 0
	;;#ASMSTART
	v_dot2_f32_f16 v1, v24, v32, v1
	;;#ASMEND
	s_nop 0
	;;#ASMSTART
	v_dot2_f32_f16 v1, v25, v33, v1
	;;#ASMEND
	;; [unrolled: 16-line block ×8, first 2 shown]
	ds_read_b128 v[22:25], v168 offset:64
	ds_read_b128 v[26:29], v169 offset:64
	;; [unrolled: 1-line block ×9, first 2 shown]
	s_waitcnt lgkmcnt(7)
	;;#ASMSTART
	v_dot2_f32_f16 v0, v22, v26, v0
	;;#ASMEND
	s_nop 0
	;;#ASMSTART
	v_dot2_f32_f16 v0, v23, v27, v0
	;;#ASMEND
	s_nop 0
	;;#ASMSTART
	v_dot2_f32_f16 v0, v24, v28, v0
	;;#ASMEND
	s_nop 0
	;;#ASMSTART
	v_dot2_f32_f16 v0, v25, v29, v0
	;;#ASMEND
	s_waitcnt lgkmcnt(6)
	;;#ASMSTART
	v_dot2_f32_f16 v1, v22, v30, v1
	;;#ASMEND
	s_nop 0
	;;#ASMSTART
	v_dot2_f32_f16 v1, v23, v31, v1
	;;#ASMEND
	s_nop 0
	;;#ASMSTART
	v_dot2_f32_f16 v1, v24, v32, v1
	;;#ASMEND
	s_nop 0
	;;#ASMSTART
	v_dot2_f32_f16 v1, v25, v33, v1
	;;#ASMEND
	;; [unrolled: 16-line block ×8, first 2 shown]
	ds_read_b128 v[22:25], v168 offset:80
	ds_read_b128 v[26:29], v169 offset:80
	;; [unrolled: 1-line block ×9, first 2 shown]
	s_waitcnt lgkmcnt(7)
	;;#ASMSTART
	v_dot2_f32_f16 v0, v22, v26, v0
	;;#ASMEND
	s_nop 0
	;;#ASMSTART
	v_dot2_f32_f16 v0, v23, v27, v0
	;;#ASMEND
	s_nop 0
	;;#ASMSTART
	v_dot2_f32_f16 v0, v24, v28, v0
	;;#ASMEND
	s_nop 0
	;;#ASMSTART
	v_dot2_f32_f16 v0, v25, v29, v0
	;;#ASMEND
	s_waitcnt lgkmcnt(6)
	;;#ASMSTART
	v_dot2_f32_f16 v1, v22, v30, v1
	;;#ASMEND
	s_nop 0
	;;#ASMSTART
	v_dot2_f32_f16 v1, v23, v31, v1
	;;#ASMEND
	s_nop 0
	;;#ASMSTART
	v_dot2_f32_f16 v1, v24, v32, v1
	;;#ASMEND
	s_nop 0
	;;#ASMSTART
	v_dot2_f32_f16 v1, v25, v33, v1
	;;#ASMEND
	;; [unrolled: 16-line block ×8, first 2 shown]
	ds_read_b128 v[22:25], v168 offset:96
	ds_read_b128 v[26:29], v169 offset:96
	;; [unrolled: 1-line block ×9, first 2 shown]
	s_waitcnt lgkmcnt(7)
	;;#ASMSTART
	v_dot2_f32_f16 v0, v22, v26, v0
	;;#ASMEND
	s_nop 0
	;;#ASMSTART
	v_dot2_f32_f16 v0, v23, v27, v0
	;;#ASMEND
	s_nop 0
	;;#ASMSTART
	v_dot2_f32_f16 v0, v24, v28, v0
	;;#ASMEND
	s_nop 0
	;;#ASMSTART
	v_dot2_f32_f16 v0, v25, v29, v0
	;;#ASMEND
	s_waitcnt lgkmcnt(6)
	;;#ASMSTART
	v_dot2_f32_f16 v1, v22, v30, v1
	;;#ASMEND
	s_nop 0
	;;#ASMSTART
	v_dot2_f32_f16 v1, v23, v31, v1
	;;#ASMEND
	s_nop 0
	;;#ASMSTART
	v_dot2_f32_f16 v1, v24, v32, v1
	;;#ASMEND
	s_nop 0
	;;#ASMSTART
	v_dot2_f32_f16 v1, v25, v33, v1
	;;#ASMEND
	;; [unrolled: 16-line block ×8, first 2 shown]
	s_barrier
	s_and_saveexec_b64 s[14:15], vcc
	s_cbranch_execnz .LBB0_31
; %bb.16:                               ;   in Loop: Header=BB0_11 Depth=1
	s_or_b64 exec, exec, s[14:15]
	s_and_saveexec_b64 s[14:15], s[4:5]
	s_cbranch_execnz .LBB0_32
.LBB0_17:                               ;   in Loop: Header=BB0_11 Depth=1
	s_or_b64 exec, exec, s[14:15]
	s_and_saveexec_b64 s[14:15], s[6:7]
	s_cbranch_execz .LBB0_19
.LBB0_18:                               ;   in Loop: Header=BB0_11 Depth=1
	v_mov_b32_e32 v149, v135
	v_lshl_add_u64 v[16:17], v[18:19], 0, v[148:149]
	global_load_dwordx4 v[16:19], v[16:17], off offset:112
	s_waitcnt vmcnt(0)
	ds_write_b128 v172, v[16:19]
.LBB0_19:                               ;   in Loop: Header=BB0_11 Depth=1
	s_or_b64 exec, exec, s[14:15]
	s_waitcnt lgkmcnt(0)
	s_barrier
	ds_read_b128 v[16:19], v168
	ds_read_b128 v[20:23], v169 offset:112
	ds_read_b128 v[24:27], v169 offset:336
	;; [unrolled: 1-line block ×8, first 2 shown]
	s_waitcnt lgkmcnt(7)
	;;#ASMSTART
	v_dot2_f32_f16 v0, v16, v20, v0
	;;#ASMEND
	v_xor_b32_e32 v184, 16, v145
	;;#ASMSTART
	v_dot2_f32_f16 v0, v17, v21, v0
	;;#ASMEND
	v_xor_b32_e32 v185, 8, v145
	;; [unrolled: 4-line block ×3, first 2 shown]
	;;#ASMSTART
	v_dot2_f32_f16 v0, v19, v23, v0
	;;#ASMEND
	s_waitcnt lgkmcnt(6)
	;;#ASMSTART
	v_dot2_f32_f16 v1, v16, v24, v1
	;;#ASMEND
	v_xor_b32_e32 v182, 2, v145
	;;#ASMSTART
	v_dot2_f32_f16 v1, v17, v25, v1
	;;#ASMEND
	v_xor_b32_e32 v181, 1, v145
	;;#ASMSTART
	v_dot2_f32_f16 v1, v18, v26, v1
	;;#ASMEND
	s_nop 0
	;;#ASMSTART
	v_dot2_f32_f16 v1, v19, v27, v1
	;;#ASMEND
	s_waitcnt lgkmcnt(5)
	;;#ASMSTART
	v_dot2_f32_f16 v2, v16, v28, v2
	;;#ASMEND
	s_nop 0
	;;#ASMSTART
	v_dot2_f32_f16 v2, v17, v29, v2
	;;#ASMEND
	s_nop 0
	;;#ASMSTART
	v_dot2_f32_f16 v2, v18, v30, v2
	;;#ASMEND
	s_nop 0
	;;#ASMSTART
	v_dot2_f32_f16 v2, v19, v31, v2
	;;#ASMEND
	s_waitcnt lgkmcnt(4)
	;;#ASMSTART
	v_dot2_f32_f16 v3, v16, v32, v3
	;;#ASMEND
	s_nop 0
	;;#ASMSTART
	v_dot2_f32_f16 v3, v17, v33, v3
	;;#ASMEND
	s_nop 0
	;; [unrolled: 16-line block ×6, first 2 shown]
	;;#ASMSTART
	v_dot2_f32_f16 v7, v18, v50, v7
	;;#ASMEND
	s_nop 0
	;;#ASMSTART
	v_dot2_f32_f16 v7, v19, v51, v7
	;;#ASMEND
	ds_read_b128 v[16:19], v168 offset:16
	ds_read_b128 v[20:23], v169 offset:128
	ds_read_b128 v[24:27], v169 offset:352
	ds_read_b128 v[28:31], v169 offset:576
	ds_read_b128 v[32:35], v169 offset:800
	ds_read_b128 v[36:39], v169 offset:1024
	ds_read_b128 v[40:43], v169 offset:1248
	ds_read_b128 v[44:47], v169 offset:1472
	ds_read_b128 v[48:51], v169 offset:1696
	s_waitcnt lgkmcnt(7)
	;;#ASMSTART
	v_dot2_f32_f16 v0, v16, v20, v0
	;;#ASMEND
	s_nop 0
	;;#ASMSTART
	v_dot2_f32_f16 v0, v17, v21, v0
	;;#ASMEND
	s_nop 0
	;;#ASMSTART
	v_dot2_f32_f16 v0, v18, v22, v0
	;;#ASMEND
	s_nop 0
	;;#ASMSTART
	v_dot2_f32_f16 v0, v19, v23, v0
	;;#ASMEND
	s_waitcnt lgkmcnt(6)
	;;#ASMSTART
	v_dot2_f32_f16 v1, v16, v24, v1
	;;#ASMEND
	s_nop 0
	;;#ASMSTART
	v_dot2_f32_f16 v1, v17, v25, v1
	;;#ASMEND
	s_nop 0
	;;#ASMSTART
	v_dot2_f32_f16 v1, v18, v26, v1
	;;#ASMEND
	s_nop 0
	;;#ASMSTART
	v_dot2_f32_f16 v1, v19, v27, v1
	;;#ASMEND
	;; [unrolled: 16-line block ×8, first 2 shown]
	ds_read_b128 v[16:19], v168 offset:32
	ds_read_b128 v[20:23], v169 offset:144
	;; [unrolled: 1-line block ×9, first 2 shown]
	s_waitcnt lgkmcnt(7)
	;;#ASMSTART
	v_dot2_f32_f16 v0, v16, v20, v0
	;;#ASMEND
	s_nop 0
	;;#ASMSTART
	v_dot2_f32_f16 v0, v17, v21, v0
	;;#ASMEND
	s_nop 0
	;;#ASMSTART
	v_dot2_f32_f16 v0, v18, v22, v0
	;;#ASMEND
	s_nop 0
	;;#ASMSTART
	v_dot2_f32_f16 v0, v19, v23, v0
	;;#ASMEND
	s_waitcnt lgkmcnt(6)
	;;#ASMSTART
	v_dot2_f32_f16 v1, v16, v24, v1
	;;#ASMEND
	s_nop 0
	;;#ASMSTART
	v_dot2_f32_f16 v1, v17, v25, v1
	;;#ASMEND
	s_nop 0
	;;#ASMSTART
	v_dot2_f32_f16 v1, v18, v26, v1
	;;#ASMEND
	s_nop 0
	;;#ASMSTART
	v_dot2_f32_f16 v1, v19, v27, v1
	;;#ASMEND
	;; [unrolled: 16-line block ×8, first 2 shown]
	ds_read_b128 v[16:19], v168 offset:48
	ds_read_b128 v[20:23], v169 offset:160
	;; [unrolled: 1-line block ×9, first 2 shown]
	s_waitcnt lgkmcnt(7)
	;;#ASMSTART
	v_dot2_f32_f16 v0, v16, v20, v0
	;;#ASMEND
	s_nop 0
	;;#ASMSTART
	v_dot2_f32_f16 v0, v17, v21, v0
	;;#ASMEND
	s_nop 0
	;;#ASMSTART
	v_dot2_f32_f16 v0, v18, v22, v0
	;;#ASMEND
	s_nop 0
	;;#ASMSTART
	v_dot2_f32_f16 v0, v19, v23, v0
	;;#ASMEND
	s_waitcnt lgkmcnt(6)
	;;#ASMSTART
	v_dot2_f32_f16 v1, v16, v24, v1
	;;#ASMEND
	s_nop 0
	;;#ASMSTART
	v_dot2_f32_f16 v1, v17, v25, v1
	;;#ASMEND
	s_nop 0
	;;#ASMSTART
	v_dot2_f32_f16 v1, v18, v26, v1
	;;#ASMEND
	s_nop 0
	;;#ASMSTART
	v_dot2_f32_f16 v1, v19, v27, v1
	;;#ASMEND
	;; [unrolled: 16-line block ×8, first 2 shown]
	ds_read_b128 v[16:19], v168 offset:64
	ds_read_b128 v[20:23], v169 offset:176
	;; [unrolled: 1-line block ×9, first 2 shown]
	s_waitcnt lgkmcnt(7)
	;;#ASMSTART
	v_dot2_f32_f16 v0, v16, v20, v0
	;;#ASMEND
	s_nop 0
	;;#ASMSTART
	v_dot2_f32_f16 v0, v17, v21, v0
	;;#ASMEND
	s_nop 0
	;;#ASMSTART
	v_dot2_f32_f16 v0, v18, v22, v0
	;;#ASMEND
	s_nop 0
	;;#ASMSTART
	v_dot2_f32_f16 v0, v19, v23, v0
	;;#ASMEND
	s_waitcnt lgkmcnt(6)
	;;#ASMSTART
	v_dot2_f32_f16 v1, v16, v24, v1
	;;#ASMEND
	s_nop 0
	;;#ASMSTART
	v_dot2_f32_f16 v1, v17, v25, v1
	;;#ASMEND
	s_nop 0
	;;#ASMSTART
	v_dot2_f32_f16 v1, v18, v26, v1
	;;#ASMEND
	s_nop 0
	;;#ASMSTART
	v_dot2_f32_f16 v1, v19, v27, v1
	;;#ASMEND
	;; [unrolled: 16-line block ×8, first 2 shown]
	ds_read_b128 v[16:19], v168 offset:80
	ds_read_b128 v[20:23], v169 offset:192
	;; [unrolled: 1-line block ×9, first 2 shown]
	s_waitcnt lgkmcnt(7)
	;;#ASMSTART
	v_dot2_f32_f16 v0, v16, v20, v0
	;;#ASMEND
	s_nop 0
	;;#ASMSTART
	v_dot2_f32_f16 v0, v17, v21, v0
	;;#ASMEND
	s_nop 0
	;;#ASMSTART
	v_dot2_f32_f16 v0, v18, v22, v0
	;;#ASMEND
	s_nop 0
	;;#ASMSTART
	v_dot2_f32_f16 v0, v19, v23, v0
	;;#ASMEND
	s_waitcnt lgkmcnt(6)
	;;#ASMSTART
	v_dot2_f32_f16 v1, v16, v24, v1
	;;#ASMEND
	s_nop 0
	;;#ASMSTART
	v_dot2_f32_f16 v1, v17, v25, v1
	;;#ASMEND
	s_nop 0
	;;#ASMSTART
	v_dot2_f32_f16 v1, v18, v26, v1
	;;#ASMEND
	s_nop 0
	;;#ASMSTART
	v_dot2_f32_f16 v1, v19, v27, v1
	;;#ASMEND
	;; [unrolled: 16-line block ×8, first 2 shown]
	ds_read_b128 v[16:19], v168 offset:96
	ds_read_b128 v[20:23], v169 offset:208
	;; [unrolled: 1-line block ×9, first 2 shown]
	s_waitcnt lgkmcnt(7)
	;;#ASMSTART
	v_dot2_f32_f16 v0, v16, v20, v0
	;;#ASMEND
	s_nop 0
	;;#ASMSTART
	v_dot2_f32_f16 v0, v17, v21, v0
	;;#ASMEND
	s_nop 0
	;;#ASMSTART
	v_dot2_f32_f16 v0, v18, v22, v0
	;;#ASMEND
	s_nop 0
	;;#ASMSTART
	v_dot2_f32_f16 v0, v19, v23, v0
	;;#ASMEND
	s_waitcnt lgkmcnt(6)
	;;#ASMSTART
	v_dot2_f32_f16 v1, v16, v24, v1
	;;#ASMEND
	s_nop 0
	;;#ASMSTART
	v_dot2_f32_f16 v1, v17, v25, v1
	;;#ASMEND
	s_nop 0
	;;#ASMSTART
	v_dot2_f32_f16 v1, v18, v26, v1
	;;#ASMEND
	s_nop 0
	;;#ASMSTART
	v_dot2_f32_f16 v1, v19, v27, v1
	;;#ASMEND
	s_waitcnt lgkmcnt(5)
	;;#ASMSTART
	v_dot2_f32_f16 v2, v16, v28, v2
	;;#ASMEND
	s_nop 0
	;;#ASMSTART
	v_dot2_f32_f16 v2, v17, v29, v2
	;;#ASMEND
	s_nop 0
	;;#ASMSTART
	v_dot2_f32_f16 v2, v18, v30, v2
	;;#ASMEND
	s_nop 0
	;;#ASMSTART
	v_dot2_f32_f16 v2, v19, v31, v2
	;;#ASMEND
	s_waitcnt lgkmcnt(4)
	;;#ASMSTART
	v_dot2_f32_f16 v3, v16, v32, v3
	;;#ASMEND
	s_nop 0
	;;#ASMSTART
	v_dot2_f32_f16 v3, v17, v33, v3
	;;#ASMEND
	s_nop 0
	;;#ASMSTART
	v_dot2_f32_f16 v3, v18, v34, v3
	;;#ASMEND
	s_nop 0
	;;#ASMSTART
	v_dot2_f32_f16 v3, v19, v35, v3
	;;#ASMEND
	s_waitcnt lgkmcnt(3)
	;;#ASMSTART
	v_dot2_f32_f16 v4, v16, v36, v4
	;;#ASMEND
	s_nop 0
	;;#ASMSTART
	v_dot2_f32_f16 v4, v17, v37, v4
	;;#ASMEND
	s_nop 0
	;;#ASMSTART
	v_dot2_f32_f16 v4, v18, v38, v4
	;;#ASMEND
	s_nop 0
	;;#ASMSTART
	v_dot2_f32_f16 v4, v19, v39, v4
	;;#ASMEND
	s_waitcnt lgkmcnt(2)
	;;#ASMSTART
	v_dot2_f32_f16 v5, v16, v40, v5
	;;#ASMEND
	s_nop 0
	;;#ASMSTART
	v_dot2_f32_f16 v5, v17, v41, v5
	;;#ASMEND
	s_nop 0
	;;#ASMSTART
	v_dot2_f32_f16 v5, v18, v42, v5
	;;#ASMEND
	s_nop 0
	;;#ASMSTART
	v_dot2_f32_f16 v5, v19, v43, v5
	;;#ASMEND
	s_waitcnt lgkmcnt(1)
	;;#ASMSTART
	v_dot2_f32_f16 v6, v16, v44, v6
	;;#ASMEND
	s_nop 0
	;;#ASMSTART
	v_dot2_f32_f16 v6, v17, v45, v6
	;;#ASMEND
	s_nop 0
	;;#ASMSTART
	v_dot2_f32_f16 v6, v18, v46, v6
	;;#ASMEND
	s_nop 0
	;;#ASMSTART
	v_dot2_f32_f16 v6, v19, v47, v6
	;;#ASMEND
	s_waitcnt lgkmcnt(0)
	;;#ASMSTART
	v_dot2_f32_f16 v7, v16, v48, v7
	;;#ASMEND
	v_add_u32_e32 v16, s51, v138
	;;#ASMSTART
	v_dot2_f32_f16 v7, v17, v49, v7
	;;#ASMEND
	v_ashrrev_i32_e32 v17, 31, v16
	;;#ASMSTART
	v_dot2_f32_f16 v7, v18, v50, v7
	;;#ASMEND
	v_lshl_add_u64 v[16:17], v[16:17], 1, s[74:75]
	;;#ASMSTART
	v_dot2_f32_f16 v7, v19, v51, v7
	;;#ASMEND
	flat_load_ushort v16, v[16:17]
	v_and_b32_e32 v17, 0x60, v145
	v_add_u32_e32 v180, 32, v17
	v_cmp_lt_i32_e64 s[14:15], v184, v180
	s_waitcnt lgkmcnt(0)
	s_barrier
	v_cndmask_b32_e64 v17, v145, v184, s[14:15]
	v_cmp_lt_i32_e64 s[14:15], v185, v180
	v_lshlrev_b32_e32 v22, 2, v17
	s_nop 0
	v_cndmask_b32_e64 v17, v145, v185, s[14:15]
	v_cmp_lt_i32_e64 s[14:15], v183, v180
	v_lshlrev_b32_e32 v23, 2, v17
	s_waitcnt vmcnt(0)
	v_cvt_f32_f16_e32 v16, v16
	v_cndmask_b32_e64 v17, v145, v183, s[14:15]
	v_cmp_lt_i32_e64 s[14:15], v182, v180
	v_lshlrev_b32_e32 v24, 2, v17
	s_nop 0
	v_cndmask_b32_e64 v17, v145, v182, s[14:15]
	v_cmp_lt_i32_e64 s[14:15], v181, v180
	v_lshlrev_b32_e32 v25, 2, v17
	s_nop 0
	v_cndmask_b32_e64 v17, v145, v181, s[14:15]
	v_pk_add_f32 v[18:19], v[2:3], v[16:17] op_sel_hi:[1,0]
	v_lshlrev_b32_e32 v26, 2, v17
	v_pk_add_f32 v[20:21], v[0:1], v[16:17] op_sel_hi:[1,0]
	v_pk_add_f32 v[2:3], v[18:19], s[2:3] op_sel_hi:[1,0]
	v_max_f32_e32 v17, v15, v15
	v_max_f32_e32 v3, v17, v3
	;; [unrolled: 1-line block ×3, first 2 shown]
	v_pk_add_f32 v[0:1], v[20:21], s[2:3] op_sel_hi:[1,0]
	v_max_f32_e32 v2, v17, v2
	v_max_f32_e32 v17, v9, v9
	;; [unrolled: 1-line block ×5, first 2 shown]
	ds_bpermute_b32 v17, v22, v2
	ds_bpermute_b32 v29, v22, v1
	;; [unrolled: 1-line block ×4, first 2 shown]
	s_waitcnt lgkmcnt(3)
	v_max_f32_e32 v17, v17, v17
	v_max_f32_e32 v2, v2, v17
	s_waitcnt lgkmcnt(2)
	v_max_f32_e32 v17, v29, v29
	v_max_f32_e32 v1, v1, v17
	;; [unrolled: 3-line block ×3, first 2 shown]
	ds_bpermute_b32 v17, v23, v2
	ds_bpermute_b32 v29, v23, v1
	s_waitcnt lgkmcnt(2)
	v_max_f32_e32 v27, v27, v27
	ds_bpermute_b32 v28, v23, v0
	v_max_f32_e32 v3, v3, v27
	ds_bpermute_b32 v27, v23, v3
	s_waitcnt lgkmcnt(3)
	v_max_f32_e32 v17, v17, v17
	v_max_f32_e32 v2, v2, v17
	s_waitcnt lgkmcnt(2)
	v_max_f32_e32 v17, v29, v29
	v_max_f32_e32 v1, v1, v17
	;; [unrolled: 3-line block ×3, first 2 shown]
	ds_bpermute_b32 v17, v24, v2
	s_waitcnt lgkmcnt(1)
	v_max_f32_e32 v27, v27, v27
	ds_bpermute_b32 v29, v24, v1
	v_max_f32_e32 v3, v3, v27
	ds_bpermute_b32 v28, v24, v0
	ds_bpermute_b32 v27, v24, v3
	s_waitcnt lgkmcnt(3)
	v_max_f32_e32 v17, v17, v17
	v_max_f32_e32 v2, v2, v17
	s_waitcnt lgkmcnt(2)
	v_max_f32_e32 v17, v29, v29
	v_max_f32_e32 v1, v1, v17
	s_waitcnt lgkmcnt(1)
	v_max_f32_e32 v17, v28, v28
	s_waitcnt lgkmcnt(0)
	v_max_f32_e32 v27, v27, v27
	v_max_f32_e32 v0, v0, v17
	ds_bpermute_b32 v17, v25, v2
	v_max_f32_e32 v3, v3, v27
	ds_bpermute_b32 v29, v25, v1
	ds_bpermute_b32 v27, v25, v3
	;; [unrolled: 1-line block ×3, first 2 shown]
	s_waitcnt lgkmcnt(3)
	v_max_f32_e32 v17, v17, v17
	v_max_f32_e32 v2, v2, v17
	s_waitcnt lgkmcnt(2)
	v_max_f32_e32 v17, v29, v29
	s_waitcnt lgkmcnt(1)
	v_max_f32_e32 v27, v27, v27
	v_max_f32_e32 v1, v1, v17
	s_waitcnt lgkmcnt(0)
	v_max_f32_e32 v17, v28, v28
	v_max_f32_e32 v3, v3, v27
	;; [unrolled: 1-line block ×3, first 2 shown]
	ds_bpermute_b32 v17, v26, v2
	ds_bpermute_b32 v27, v26, v3
	;; [unrolled: 1-line block ×4, first 2 shown]
	s_waitcnt lgkmcnt(3)
	v_max_f32_e32 v17, v17, v17
	s_waitcnt lgkmcnt(2)
	v_max_f32_e32 v27, v27, v27
	v_max_f32_e32 v2, v2, v17
	s_waitcnt lgkmcnt(1)
	v_max_f32_e32 v17, v29, v29
	v_max_f32_e32 v3, v3, v27
	;; [unrolled: 1-line block ×3, first 2 shown]
	s_waitcnt lgkmcnt(0)
	v_max_f32_e32 v17, v28, v28
	v_max_f32_e32 v0, v0, v17
	v_sub_f32_e32 v17, v19, v3
	v_mul_f32_e32 v19, 0x3fb8aa3b, v17
	v_fma_f32 v27, v17, s73, -v19
	v_rndne_f32_e32 v28, v19
	v_fmac_f32_e32 v27, 0x32a5705f, v17
	v_sub_f32_e32 v19, v19, v28
	v_add_f32_e32 v19, v19, v27
	v_exp_f32_e32 v19, v19
	v_cvt_i32_f32_e32 v27, v28
	v_sub_f32_e32 v18, v18, v2
	v_cmp_ngt_f32_e64 s[14:15], s76, v17
	v_sub_f32_e32 v21, v21, v1
	v_ldexp_f32 v19, v19, v27
	v_mul_f32_e32 v27, 0x3fb8aa3b, v18
	v_fma_f32 v28, v18, s73, -v27
	v_rndne_f32_e32 v29, v27
	v_fmac_f32_e32 v28, 0x32a5705f, v18
	v_sub_f32_e32 v27, v27, v29
	v_add_f32_e32 v27, v27, v28
	v_exp_f32_e32 v27, v27
	v_cvt_i32_f32_e32 v28, v29
	v_cndmask_b32_e64 v19, 0, v19, s[14:15]
	v_cmp_nlt_f32_e64 s[14:15], s77, v17
	v_sub_f32_e32 v20, v20, v0
	v_ldexp_f32 v17, v27, v28
	v_cndmask_b32_e64 v151, v179, v19, s[14:15]
	v_mul_f32_e32 v19, 0x3fb8aa3b, v21
	v_fma_f32 v27, v21, s73, -v19
	v_rndne_f32_e32 v28, v19
	v_fmac_f32_e32 v27, 0x32a5705f, v21
	v_sub_f32_e32 v19, v19, v28
	v_add_f32_e32 v19, v19, v27
	v_exp_f32_e32 v19, v19
	v_cvt_i32_f32_e32 v27, v28
	v_cmp_ngt_f32_e64 s[14:15], s76, v18
	s_nop 1
	v_cndmask_b32_e64 v17, 0, v17, s[14:15]
	v_cmp_nlt_f32_e64 s[14:15], s77, v18
	v_mul_f32_e32 v18, 0x3fb8aa3b, v20
	s_nop 0
	v_cndmask_b32_e64 v150, v179, v17, s[14:15]
	v_ldexp_f32 v17, v19, v27
	v_fma_f32 v19, v20, s73, -v18
	v_rndne_f32_e32 v27, v18
	v_fmac_f32_e32 v19, 0x32a5705f, v20
	v_sub_f32_e32 v18, v18, v27
	v_add_f32_e32 v18, v18, v19
	v_exp_f32_e32 v18, v18
	v_cvt_i32_f32_e32 v19, v27
	v_cmp_ngt_f32_e64 s[14:15], s76, v21
	v_max_f32_e32 v27, v11, v11
	s_nop 0
	v_cndmask_b32_e64 v17, 0, v17, s[14:15]
	v_cmp_nlt_f32_e64 s[14:15], s77, v21
	v_cvt_f16_f32_e32 v21, v151
	s_nop 0
	v_cndmask_b32_e64 v153, v179, v17, s[14:15]
	v_ldexp_f32 v17, v18, v19
	v_cmp_ngt_f32_e64 s[14:15], s76, v20
	s_nop 1
	v_cndmask_b32_e64 v17, 0, v17, s[14:15]
	v_pk_add_f32 v[18:19], v[6:7], v[16:17] op_sel_hi:[1,0]
	v_cmp_nlt_f32_e64 s[14:15], s77, v20
	v_pk_add_f32 v[6:7], v[18:19], s[2:3] op_sel_hi:[1,0]
	v_cvt_f16_f32_e32 v20, v153
	v_cndmask_b32_e64 v152, v179, v17, s[14:15]
	v_pk_add_f32 v[16:17], v[4:5], v[16:17] op_sel_hi:[1,0]
	v_max_f32_e32 v7, v27, v7
	v_max_f32_e32 v27, v10, v10
	v_pk_add_f32 v[4:5], v[16:17], s[2:3] op_sel_hi:[1,0]
	v_max_f32_e32 v6, v27, v6
	v_max_f32_e32 v27, v13, v13
	;; [unrolled: 1-line block ×5, first 2 shown]
	ds_bpermute_b32 v28, v22, v7
	ds_bpermute_b32 v27, v22, v6
	ds_bpermute_b32 v29, v22, v4
	ds_bpermute_b32 v22, v22, v5
	s_waitcnt lgkmcnt(3)
	v_max_f32_e32 v28, v28, v28
	s_waitcnt lgkmcnt(2)
	v_max_f32_e32 v27, v27, v27
	v_max_f32_e32 v6, v6, v27
	s_waitcnt lgkmcnt(0)
	v_max_f32_e32 v22, v22, v22
	v_max_f32_e32 v5, v5, v22
	;; [unrolled: 1-line block ×5, first 2 shown]
	ds_bpermute_b32 v22, v23, v6
	ds_bpermute_b32 v27, v23, v7
	;; [unrolled: 1-line block ×4, first 2 shown]
	s_waitcnt lgkmcnt(3)
	v_max_f32_e32 v22, v22, v22
	v_max_f32_e32 v6, v6, v22
	s_waitcnt lgkmcnt(2)
	v_max_f32_e32 v27, v27, v27
	s_waitcnt lgkmcnt(0)
	v_max_f32_e32 v22, v23, v23
	v_max_f32_e32 v5, v5, v22
	;; [unrolled: 1-line block ×5, first 2 shown]
	ds_bpermute_b32 v22, v24, v6
	ds_bpermute_b32 v23, v24, v7
	ds_bpermute_b32 v27, v24, v4
	ds_bpermute_b32 v24, v24, v5
	s_waitcnt lgkmcnt(3)
	v_max_f32_e32 v22, v22, v22
	v_max_f32_e32 v6, v6, v22
	s_waitcnt lgkmcnt(2)
	v_max_f32_e32 v23, v23, v23
	s_waitcnt lgkmcnt(0)
	v_max_f32_e32 v22, v24, v24
	v_max_f32_e32 v5, v5, v22
	;; [unrolled: 1-line block ×5, first 2 shown]
	ds_bpermute_b32 v22, v25, v6
	ds_bpermute_b32 v23, v25, v7
	;; [unrolled: 1-line block ×4, first 2 shown]
	s_waitcnt lgkmcnt(3)
	v_max_f32_e32 v22, v22, v22
	s_waitcnt lgkmcnt(2)
	v_max_f32_e32 v23, v23, v23
	v_max_f32_e32 v6, v6, v22
	s_waitcnt lgkmcnt(0)
	v_max_f32_e32 v22, v25, v25
	v_max_f32_e32 v7, v7, v23
	;; [unrolled: 1-line block ×4, first 2 shown]
	ds_bpermute_b32 v23, v26, v7
	v_max_f32_e32 v4, v4, v22
	ds_bpermute_b32 v22, v26, v6
	ds_bpermute_b32 v25, v26, v5
	;; [unrolled: 1-line block ×3, first 2 shown]
	s_waitcnt lgkmcnt(3)
	v_max_f32_e32 v23, v23, v23
	v_max_f32_e32 v7, v7, v23
	s_waitcnt lgkmcnt(2)
	v_max_f32_e32 v22, v22, v22
	v_max_f32_e32 v6, v6, v22
	;; [unrolled: 3-line block ×3, first 2 shown]
	s_waitcnt lgkmcnt(0)
	v_max_f32_e32 v22, v24, v24
	v_sub_f32_e32 v19, v19, v7
	v_max_f32_e32 v4, v4, v22
	v_mul_f32_e32 v22, 0x3fb8aa3b, v19
	v_fma_f32 v23, v19, s73, -v22
	v_rndne_f32_e32 v24, v22
	v_fmac_f32_e32 v23, 0x32a5705f, v19
	v_sub_f32_e32 v22, v22, v24
	v_add_f32_e32 v22, v22, v23
	v_exp_f32_e32 v22, v22
	v_cvt_i32_f32_e32 v23, v24
	v_sub_f32_e32 v18, v18, v6
	v_cmp_ngt_f32_e64 s[14:15], s76, v19
	v_sub_f32_e32 v17, v17, v5
	v_ldexp_f32 v22, v22, v23
	v_mul_f32_e32 v23, 0x3fb8aa3b, v18
	v_fma_f32 v24, v18, s73, -v23
	v_rndne_f32_e32 v25, v23
	v_fmac_f32_e32 v24, 0x32a5705f, v18
	v_sub_f32_e32 v23, v23, v25
	v_add_f32_e32 v23, v23, v24
	v_exp_f32_e32 v23, v23
	v_cvt_i32_f32_e32 v24, v25
	v_cndmask_b32_e64 v22, 0, v22, s[14:15]
	v_cmp_nlt_f32_e64 s[14:15], s77, v19
	v_sub_f32_e32 v16, v16, v4
	v_ldexp_f32 v19, v23, v24
	v_cndmask_b32_e64 v155, v179, v22, s[14:15]
	v_mul_f32_e32 v22, 0x3fb8aa3b, v17
	v_fma_f32 v23, v17, s73, -v22
	v_rndne_f32_e32 v24, v22
	v_fmac_f32_e32 v23, 0x32a5705f, v17
	v_sub_f32_e32 v22, v22, v24
	v_add_f32_e32 v22, v22, v23
	v_exp_f32_e32 v22, v22
	v_cvt_i32_f32_e32 v23, v24
	v_cmp_ngt_f32_e64 s[14:15], s76, v18
	v_cvt_f16_f32_e32 v24, v152
	s_nop 0
	v_cndmask_b32_e64 v19, 0, v19, s[14:15]
	v_cmp_nlt_f32_e64 s[14:15], s77, v18
	v_ldexp_f32 v18, v22, v23
	s_nop 0
	v_cndmask_b32_e64 v154, v179, v19, s[14:15]
	v_mul_f32_e32 v19, 0x3fb8aa3b, v16
	v_fma_f32 v22, v16, s73, -v19
	v_rndne_f32_e32 v23, v19
	v_fmac_f32_e32 v22, 0x32a5705f, v16
	v_sub_f32_e32 v19, v19, v23
	v_add_f32_e32 v19, v19, v22
	v_exp_f32_e32 v19, v19
	v_cvt_i32_f32_e32 v22, v23
	v_cmp_ngt_f32_e64 s[14:15], s76, v17
	v_cvt_f16_f32_e32 v23, v150
	s_nop 0
	v_cndmask_b32_e64 v18, 0, v18, s[14:15]
	v_cmp_nlt_f32_e64 s[14:15], s77, v17
	v_ldexp_f32 v17, v19, v22
	s_nop 0
	v_cndmask_b32_e64 v157, v179, v18, s[14:15]
	v_cmp_ngt_f32_e64 s[14:15], s76, v16
	v_cvt_f16_f32_e32 v18, v154
	s_nop 0
	v_cndmask_b32_e64 v17, 0, v17, s[14:15]
	v_cmp_nlt_f32_e64 s[14:15], s77, v16
	v_cvt_f16_f32_e32 v16, v157
	s_nop 0
	v_cndmask_b32_e64 v156, v179, v17, s[14:15]
	v_cvt_f16_f32_e32 v17, v155
	v_cvt_f16_f32_e32 v22, v156
	s_mul_hi_i32 s15, s51, s58
	s_mul_i32 s14, s51, s58
	s_lshl_b64 s[14:15], s[14:15], 2
	s_add_u32 s14, s68, s14
	v_pack_b32_f16 v19, v18, v17
	v_pack_b32_f16 v18, v22, v16
	;; [unrolled: 1-line block ×4, first 2 shown]
	s_addc_u32 s15, s69, s15
	ds_write_b128 v178, v[16:19]
	s_and_saveexec_b64 s[16:17], s[8:9]
	s_cbranch_execnz .LBB0_33
; %bb.20:                               ;   in Loop: Header=BB0_11 Depth=1
	s_or_b64 exec, exec, s[16:17]
	s_and_saveexec_b64 s[16:17], s[10:11]
	s_cbranch_execnz .LBB0_34
.LBB0_21:                               ;   in Loop: Header=BB0_11 Depth=1
	s_or_b64 exec, exec, s[16:17]
	v_lshlrev_b32_e32 v166, 2, v144
	s_and_saveexec_b64 s[16:17], s[12:13]
	s_cbranch_execz .LBB0_23
.LBB0_22:                               ;   in Loop: Header=BB0_11 Depth=1
	v_lshl_add_u64 v[16:17], v[146:147], 2, s[14:15]
	v_mov_b32_e32 v167, v135
	v_lshl_add_u64 v[16:17], v[16:17], 0, v[166:167]
	global_load_dwordx4 v[16:19], v[16:17], off
	s_waitcnt vmcnt(0)
	ds_write_b128 v177, v[16:19]
.LBB0_23:                               ;   in Loop: Header=BB0_11 Depth=1
	s_or_b64 exec, exec, s[16:17]
	v_add_u32_e32 v187, 0x3800, v174
	s_waitcnt lgkmcnt(0)
	s_barrier
	ds_read2_b64 v[92:95], v187 offset1:28
	ds_read_b128 v[100:103], v173
	ds_read_b128 v[96:99], v173 offset:16
	ds_read_b128 v[88:91], v173 offset:32
	;; [unrolled: 1-line block ×3, first 2 shown]
	ds_read2_b64 v[84:87], v187 offset0:56 offset1:84
	ds_read2_b64 v[68:71], v187 offset0:112 offset1:140
	ds_read_b128 v[76:79], v173 offset:64
	ds_read_b128 v[72:75], v173 offset:80
	ds_read2_b64 v[56:59], v187 offset0:168 offset1:196
	ds_read_b128 v[64:67], v173 offset:96
	ds_read_b128 v[60:63], v173 offset:112
	;; [unrolled: 3-line block ×3, first 2 shown]
	v_add_u32_e32 v186, 0x4000, v174
	v_pk_add_f32 v[158:159], v[8:9], v[0:1] neg_lo:[0,1] neg_hi:[0,1]
	v_pk_add_f32 v[160:161], v[14:15], v[2:3] neg_lo:[0,1] neg_hi:[0,1]
	;; [unrolled: 1-line block ×4, first 2 shown]
	ds_read2_b64 v[32:35], v186 offset0:24 offset1:52
	ds_read_b128 v[40:43], v173 offset:160
	ds_read_b128 v[36:39], v173 offset:176
	ds_read2_b64 v[20:23], v186 offset0:80 offset1:108
	ds_read_b128 v[28:31], v173 offset:192
	ds_read_b128 v[24:27], v173 offset:208
	;; [unrolled: 3-line block ×3, first 2 shown]
	s_or_b32 s54, s51, 16
	s_mul_hi_i32 s55, s54, s58
	s_mul_i32 s54, s54, s58
	s_lshl_b64 s[54:55], s[54:55], 2
	s_add_u32 s54, s68, s54
	v_cmp_ngt_f32_e64 s[44:45], s76, v159
	v_cmp_nlt_f32_e64 s[46:47], s77, v159
	v_cmp_ngt_f32_e64 s[40:41], s76, v158
	v_cmp_nlt_f32_e64 s[42:43], s77, v158
	;; [unrolled: 2-line block ×8, first 2 shown]
	s_addc_u32 s55, s69, s55
	s_waitcnt lgkmcnt(0)
	s_barrier
	s_and_saveexec_b64 s[56:57], s[8:9]
	s_cbranch_execnz .LBB0_35
; %bb.24:                               ;   in Loop: Header=BB0_11 Depth=1
	s_or_b64 exec, exec, s[56:57]
	s_and_saveexec_b64 s[56:57], s[10:11]
	s_cbranch_execnz .LBB0_36
.LBB0_25:                               ;   in Loop: Header=BB0_11 Depth=1
	s_or_b64 exec, exec, s[56:57]
	s_and_saveexec_b64 s[56:57], s[12:13]
	s_cbranch_execz .LBB0_27
.LBB0_26:                               ;   in Loop: Header=BB0_11 Depth=1
	v_lshl_add_u64 v[188:189], v[146:147], 2, s[54:55]
	v_mov_b32_e32 v167, v135
	v_lshl_add_u64 v[166:167], v[188:189], 0, v[166:167]
	global_load_dwordx4 v[188:191], v[166:167], off
	s_waitcnt vmcnt(0)
	ds_write_b128 v177, v[188:191]
.LBB0_27:                               ;   in Loop: Header=BB0_11 Depth=1
	s_or_b64 exec, exec, s[56:57]
	v_mul_f32_e32 v149, 0x3fb8aa3b, v159
	v_fma_f32 v166, v159, s73, -v149
	v_fmac_f32_e32 v166, 0x32a5705f, v159
	v_rndne_f32_e32 v159, v149
	v_sub_f32_e32 v149, v149, v159
	v_add_f32_e32 v149, v149, v166
	v_mul_f32_e32 v166, 0x3fb8aa3b, v158
	v_fma_f32 v167, v158, s73, -v166
	v_fmac_f32_e32 v167, 0x32a5705f, v158
	v_rndne_f32_e32 v158, v166
	v_exp_f32_e32 v149, v149
	v_cvt_i32_f32_e32 v159, v159
	v_sub_f32_e32 v166, v166, v158
	v_add_f32_e32 v166, v166, v167
	v_exp_f32_e32 v166, v166
	v_cvt_i32_f32_e32 v158, v158
	v_ldexp_f32 v149, v149, v159
	v_cndmask_b32_e64 v149, 0, v149, s[44:45]
	v_cndmask_b32_e64 v159, v179, v149, s[46:47]
	v_ldexp_f32 v149, v166, v158
	v_cndmask_b32_e64 v149, 0, v149, s[40:41]
	v_cndmask_b32_e64 v158, v179, v149, s[42:43]
	v_mul_f32_e32 v149, 0x3fb8aa3b, v161
	v_fma_f32 v166, v161, s73, -v149
	v_fmac_f32_e32 v166, 0x32a5705f, v161
	v_rndne_f32_e32 v161, v149
	v_sub_f32_e32 v149, v149, v161
	v_add_f32_e32 v149, v149, v166
	v_mul_f32_e32 v166, 0x3fb8aa3b, v160
	v_fma_f32 v167, v160, s73, -v166
	v_fmac_f32_e32 v167, 0x32a5705f, v160
	v_rndne_f32_e32 v160, v166
	v_exp_f32_e32 v149, v149
	v_cvt_i32_f32_e32 v161, v161
	v_sub_f32_e32 v166, v166, v160
	v_add_f32_e32 v166, v166, v167
	v_exp_f32_e32 v166, v166
	v_cvt_i32_f32_e32 v160, v160
	v_ldexp_f32 v149, v149, v161
	v_cndmask_b32_e64 v149, 0, v149, s[36:37]
	v_cndmask_b32_e64 v161, v179, v149, s[38:39]
	v_ldexp_f32 v149, v166, v160
	v_cndmask_b32_e64 v149, 0, v149, s[30:31]
	v_cndmask_b32_e64 v160, v179, v149, s[34:35]
	;; [unrolled: 22-line block ×3, first 2 shown]
	v_mul_f32_e32 v149, 0x3fb8aa3b, v165
	v_fma_f32 v166, v165, s73, -v149
	v_fmac_f32_e32 v166, 0x32a5705f, v165
	v_rndne_f32_e32 v165, v149
	v_sub_f32_e32 v149, v149, v165
	v_add_f32_e32 v149, v149, v166
	v_mul_f32_e32 v166, 0x3fb8aa3b, v164
	v_fma_f32 v167, v164, s73, -v166
	v_fmac_f32_e32 v167, 0x32a5705f, v164
	v_rndne_f32_e32 v164, v166
	v_exp_f32_e32 v149, v149
	v_cvt_i32_f32_e32 v165, v165
	v_sub_f32_e32 v166, v166, v164
	v_add_f32_e32 v166, v166, v167
	v_exp_f32_e32 v166, v166
	v_cvt_i32_f32_e32 v164, v164
	v_ldexp_f32 v149, v149, v165
	v_cndmask_b32_e64 v149, 0, v149, s[18:19]
	v_cndmask_b32_e64 v165, v179, v149, s[20:21]
	v_ldexp_f32 v149, v166, v164
	v_cvt_f16_f32_e32 v166, v158
	v_cndmask_b32_e64 v149, 0, v149, s[14:15]
	v_cndmask_b32_e64 v164, v179, v149, s[16:17]
	v_cvt_f16_f32_e32 v149, v159
	v_pk_mul_f16 v139, v166, v139 op_sel_hi:[0,1]
	v_pk_mul_f16 v120, v166, v120 op_sel_hi:[0,1]
	v_cvt_f16_f32_e32 v166, v160
	v_pk_mul_f16 v121, v149, v121 op_sel_hi:[0,1]
	v_pk_mul_f16 v118, v149, v118 op_sel_hi:[0,1]
	;; [unrolled: 3-line block ×5, first 2 shown]
	v_cvt_f16_f32_e32 v166, v164
	v_cvt_f16_f32_e32 v167, v165
	v_pk_mul_f16 v113, v149, v113 op_sel_hi:[0,1]
	v_pk_mul_f16 v110, v149, v110 op_sel_hi:[0,1]
	;; [unrolled: 1-line block ×6, first 2 shown]
	v_pk_fma_f16 v139, v92, v100, v139 op_sel_hi:[1,0,1]
	v_pk_fma_f16 v121, v92, v100, v121 op_sel:[0,1,0]
	v_pk_fma_f16 v119, v92, v101, v119 op_sel_hi:[1,0,1]
	v_pk_fma_f16 v117, v92, v101, v117 op_sel:[0,1,0]
	;; [unrolled: 2-line block ×128, first 2 shown]
	s_waitcnt lgkmcnt(0)
	s_barrier
	ds_read2_b64 v[8:11], v187 offset1:28
	ds_read_b128 v[12:15], v173 offset:256
	ds_read_b128 v[16:19], v173 offset:272
	;; [unrolled: 1-line block ×4, first 2 shown]
	v_pk_fma_f32 v[128:129], v[128:129], v[158:159], v[152:153]
	v_pk_fma_f32 v[126:127], v[126:127], v[160:161], v[150:151]
	;; [unrolled: 1-line block ×3, first 2 shown]
	s_waitcnt lgkmcnt(3)
	v_pk_fma_f16 v28, v8, v12, v28 op_sel_hi:[1,0,1]
	v_pk_fma_f16 v29, v8, v12, v29 op_sel:[0,1,0]
	v_pk_fma_f16 v30, v8, v13, v30 op_sel_hi:[1,0,1]
	v_pk_fma_f16 v31, v8, v13, v31 op_sel:[0,1,0]
	;; [unrolled: 2-line block ×8, first 2 shown]
	s_waitcnt lgkmcnt(2)
	v_pk_fma_f16 v28, v10, v16, v28 op_sel_hi:[1,0,1]
	v_pk_fma_f16 v29, v10, v16, v29 op_sel:[0,1,0]
	v_pk_fma_f16 v30, v10, v17, v30 op_sel_hi:[1,0,1]
	v_pk_fma_f16 v31, v10, v17, v31 op_sel:[0,1,0]
	;; [unrolled: 2-line block ×6, first 2 shown]
	ds_read2_b64 v[12:15], v187 offset0:56 offset1:84
	v_pk_fma_f16 v36, v11, v18, v37 op_sel_hi:[1,0,1]
	v_pk_fma_f16 v18, v11, v18, v38 op_sel:[0,1,0]
	v_pk_fma_f16 v37, v11, v19, v39 op_sel_hi:[1,0,1]
	v_pk_fma_f16 v9, v11, v19, v9 op_sel:[0,1,0]
	s_waitcnt lgkmcnt(0)
	v_pk_fma_f16 v11, v12, v20, v28 op_sel_hi:[1,0,1]
	v_pk_fma_f16 v19, v12, v20, v29 op_sel:[0,1,0]
	v_pk_fma_f16 v28, v12, v21, v30 op_sel_hi:[1,0,1]
	v_pk_fma_f16 v29, v12, v21, v31 op_sel:[0,1,0]
	;; [unrolled: 2-line block ×10, first 2 shown]
	v_pk_fma_f16 v34, v14, v27, v8 op_sel:[0,1,0]
	v_pk_fma_f16 v35, v15, v24, v10 op_sel_hi:[1,0,1]
	v_pk_fma_f16 v36, v15, v25, v16 op_sel_hi:[1,0,1]
	v_pk_fma_f16 v25, v15, v25, v17 op_sel:[0,1,0]
	ds_read2_b64 v[8:11], v187 offset0:112 offset1:140
	ds_read_b128 v[16:19], v173 offset:320
	v_pk_fma_f16 v30, v14, v26, v30 op_sel_hi:[1,0,1]
	v_pk_fma_f16 v31, v14, v26, v31 op_sel:[0,1,0]
	v_pk_fma_f16 v32, v14, v27, v32 op_sel_hi:[1,0,1]
	v_pk_fma_f16 v24, v15, v24, v12 op_sel:[0,1,0]
	;; [unrolled: 2-line block ×4, first 2 shown]
	ds_read_b128 v[12:15], v173 offset:336
	s_waitcnt lgkmcnt(1)
	v_pk_fma_f16 v23, v8, v16, v23 op_sel_hi:[1,0,1]
	v_pk_fma_f16 v27, v8, v16, v33 op_sel:[0,1,0]
	v_pk_fma_f16 v28, v8, v17, v28 op_sel_hi:[1,0,1]
	v_pk_fma_f16 v29, v8, v17, v29 op_sel:[0,1,0]
	;; [unrolled: 2-line block ×4, first 2 shown]
	v_pk_fma_f16 v20, v9, v18, v20 op_sel_hi:[1,0,1]
	v_pk_fma_f16 v30, v8, v18, v30 op_sel_hi:[1,0,1]
	v_pk_fma_f16 v31, v8, v18, v31 op_sel:[0,1,0]
	v_pk_fma_f16 v32, v8, v19, v32 op_sel_hi:[1,0,1]
	v_pk_fma_f16 v8, v8, v19, v34 op_sel:[0,1,0]
	v_pk_fma_f16 v25, v9, v18, v21 op_sel:[0,1,0]
	v_pk_fma_f16 v34, v9, v19, v22 op_sel_hi:[1,0,1]
	v_pk_fma_f16 v9, v9, v19, v26 op_sel:[0,1,0]
	s_waitcnt lgkmcnt(0)
	v_pk_fma_f16 v26, v10, v12, v23 op_sel_hi:[1,0,1]
	v_pk_fma_f16 v27, v10, v12, v27 op_sel:[0,1,0]
	v_pk_fma_f16 v28, v10, v13, v28 op_sel_hi:[1,0,1]
	v_pk_fma_f16 v29, v10, v13, v29 op_sel:[0,1,0]
	;; [unrolled: 2-line block ×4, first 2 shown]
	v_pk_fma_f16 v36, v11, v14, v20 op_sel_hi:[1,0,1]
	ds_read2_b64 v[16:19], v187 offset0:168 offset1:196
	ds_read_b128 v[20:23], v173 offset:352
	v_pk_fma_f16 v30, v10, v14, v30 op_sel_hi:[1,0,1]
	v_pk_fma_f16 v31, v10, v14, v31 op_sel:[0,1,0]
	v_pk_fma_f16 v32, v10, v15, v32 op_sel_hi:[1,0,1]
	v_pk_fma_f16 v35, v10, v15, v8 op_sel:[0,1,0]
	v_pk_fma_f16 v14, v11, v14, v25 op_sel:[0,1,0]
	v_pk_fma_f16 v25, v11, v15, v34 op_sel_hi:[1,0,1]
	v_pk_fma_f16 v15, v11, v15, v9 op_sel:[0,1,0]
	ds_read_b128 v[8:11], v173 offset:368
	s_waitcnt lgkmcnt(1)
	v_pk_fma_f16 v26, v16, v20, v26 op_sel_hi:[1,0,1]
	v_pk_fma_f16 v27, v16, v20, v27 op_sel:[0,1,0]
	v_pk_fma_f16 v28, v16, v21, v28 op_sel_hi:[1,0,1]
	v_pk_fma_f16 v29, v16, v21, v29 op_sel:[0,1,0]
	;; [unrolled: 2-line block ×8, first 2 shown]
	s_waitcnt lgkmcnt(0)
	v_pk_fma_f16 v26, v18, v8, v26 op_sel_hi:[1,0,1]
	v_pk_fma_f16 v27, v18, v8, v27 op_sel:[0,1,0]
	v_pk_fma_f16 v28, v18, v9, v28 op_sel_hi:[1,0,1]
	v_pk_fma_f16 v29, v18, v9, v29 op_sel:[0,1,0]
	;; [unrolled: 2-line block ×6, first 2 shown]
	v_pk_fma_f16 v36, v19, v10, v21 op_sel_hi:[1,0,1]
	ds_read2_b64 v[12:15], v187 offset0:224 offset1:252
	ds_read_b128 v[20:23], v173 offset:384
	v_pk_fma_f16 v24, v19, v10, v24 op_sel:[0,1,0]
	v_pk_fma_f16 v25, v19, v11, v25 op_sel_hi:[1,0,1]
	v_pk_fma_f16 v17, v19, v11, v17 op_sel:[0,1,0]
	ds_read_b128 v[8:11], v173 offset:400
	s_waitcnt lgkmcnt(1)
	v_pk_fma_f16 v19, v12, v20, v26 op_sel_hi:[1,0,1]
	v_pk_fma_f16 v26, v12, v20, v27 op_sel:[0,1,0]
	v_pk_fma_f16 v27, v12, v21, v28 op_sel_hi:[1,0,1]
	v_pk_fma_f16 v28, v12, v21, v29 op_sel:[0,1,0]
	;; [unrolled: 2-line block ×8, first 2 shown]
	s_waitcnt lgkmcnt(0)
	v_pk_fma_f16 v33, v14, v8, v19 op_sel_hi:[1,0,1]
	v_pk_fma_f16 v26, v14, v8, v26 op_sel:[0,1,0]
	v_pk_fma_f16 v27, v14, v9, v27 op_sel_hi:[1,0,1]
	v_pk_fma_f16 v28, v14, v9, v28 op_sel:[0,1,0]
	;; [unrolled: 2-line block ×6, first 2 shown]
	ds_read2_b64 v[16:19], v186 offset0:24 offset1:52
	ds_read_b128 v[20:23], v173 offset:416
	v_pk_fma_f16 v32, v15, v10, v32 op_sel_hi:[1,0,1]
	v_pk_fma_f16 v24, v15, v10, v24 op_sel:[0,1,0]
	v_pk_fma_f16 v25, v15, v11, v25 op_sel_hi:[1,0,1]
	v_pk_fma_f16 v13, v15, v11, v13 op_sel:[0,1,0]
	ds_read_b128 v[8:11], v173 offset:432
	s_waitcnt lgkmcnt(1)
	v_pk_fma_f16 v15, v16, v20, v33 op_sel_hi:[1,0,1]
	v_pk_fma_f16 v26, v16, v20, v26 op_sel:[0,1,0]
	v_pk_fma_f16 v27, v16, v21, v27 op_sel_hi:[1,0,1]
	v_pk_fma_f16 v28, v16, v21, v28 op_sel:[0,1,0]
	;; [unrolled: 2-line block ×8, first 2 shown]
	s_waitcnt lgkmcnt(0)
	v_pk_fma_f16 v33, v18, v8, v15 op_sel_hi:[1,0,1]
	v_pk_fma_f16 v26, v18, v8, v26 op_sel:[0,1,0]
	v_pk_fma_f16 v27, v18, v9, v27 op_sel_hi:[1,0,1]
	v_pk_fma_f16 v28, v18, v9, v28 op_sel:[0,1,0]
	;; [unrolled: 2-line block ×4, first 2 shown]
	v_pk_fma_f16 v34, v19, v8, v14 op_sel_hi:[1,0,1]
	v_pk_fma_f16 v35, v19, v9, v20 op_sel_hi:[1,0,1]
	v_pk_fma_f16 v36, v19, v9, v21 op_sel:[0,1,0]
	ds_read2_b64 v[12:15], v186 offset0:80 offset1:108
	ds_read_b128 v[20:23], v173 offset:448
	v_pk_fma_f16 v16, v19, v8, v16 op_sel:[0,1,0]
	v_pk_fma_f16 v32, v19, v10, v32 op_sel_hi:[1,0,1]
	v_pk_fma_f16 v24, v19, v10, v24 op_sel:[0,1,0]
	v_pk_fma_f16 v25, v19, v11, v25 op_sel_hi:[1,0,1]
	v_pk_fma_f16 v17, v19, v11, v17 op_sel:[0,1,0]
	ds_read_b128 v[8:11], v173 offset:464
	s_waitcnt lgkmcnt(1)
	v_pk_fma_f16 v19, v12, v20, v33 op_sel_hi:[1,0,1]
	v_pk_fma_f16 v26, v12, v20, v26 op_sel:[0,1,0]
	v_pk_fma_f16 v27, v12, v21, v27 op_sel_hi:[1,0,1]
	v_pk_fma_f16 v28, v12, v21, v28 op_sel:[0,1,0]
	;; [unrolled: 2-line block ×8, first 2 shown]
	s_waitcnt lgkmcnt(0)
	v_pk_fma_f16 v33, v14, v8, v19 op_sel_hi:[1,0,1]
	v_pk_fma_f16 v26, v14, v8, v26 op_sel:[0,1,0]
	v_pk_fma_f16 v27, v14, v9, v27 op_sel_hi:[1,0,1]
	v_pk_fma_f16 v28, v14, v9, v28 op_sel:[0,1,0]
	;; [unrolled: 2-line block ×6, first 2 shown]
	v_pk_fma_f16 v32, v15, v10, v32 op_sel_hi:[1,0,1]
	ds_read2_b64 v[16:19], v186 offset0:136 offset1:164
	ds_read_b128 v[20:23], v173 offset:480
	v_pk_fma_f16 v24, v15, v10, v24 op_sel:[0,1,0]
	v_pk_fma_f16 v25, v15, v11, v25 op_sel_hi:[1,0,1]
	v_pk_fma_f16 v13, v15, v11, v13 op_sel:[0,1,0]
	ds_read_b128 v[8:11], v173 offset:496
	s_waitcnt lgkmcnt(0)
	s_barrier
	s_load_dword s14, s[52:53], 0x4
	v_pk_fma_f16 v15, v16, v20, v33 op_sel_hi:[1,0,1]
	v_pk_fma_f16 v26, v16, v20, v26 op_sel:[0,1,0]
	v_pk_fma_f16 v27, v16, v21, v27 op_sel_hi:[1,0,1]
	v_pk_fma_f16 v28, v16, v21, v28 op_sel:[0,1,0]
	s_waitcnt lgkmcnt(0)
	s_lshl_b32 s14, s14, 5
	v_pk_fma_f16 v29, v16, v22, v29 op_sel_hi:[1,0,1]
	v_pk_fma_f16 v30, v16, v22, v30 op_sel:[0,1,0]
	v_pk_fma_f16 v31, v16, v23, v31 op_sel_hi:[1,0,1]
	v_pk_fma_f16 v12, v16, v23, v12 op_sel:[0,1,0]
	v_pk_fma_f16 v14, v17, v20, v14 op_sel_hi:[1,0,1]
	v_pk_fma_f16 v16, v17, v20, v34 op_sel:[0,1,0]
	v_pk_fma_f16 v20, v17, v21, v35 op_sel_hi:[1,0,1]
	v_pk_fma_f16 v21, v17, v21, v36 op_sel:[0,1,0]
	v_pk_fma_f16 v32, v17, v22, v32 op_sel_hi:[1,0,1]
	v_pk_fma_f16 v22, v17, v22, v24 op_sel:[0,1,0]
	v_pk_fma_f16 v24, v17, v23, v25 op_sel_hi:[1,0,1]
	v_pk_fma_f16 v13, v17, v23, v13 op_sel:[0,1,0]
	s_add_i32 s51, s14, s51
	v_pk_fma_f32 v[122:123], v[122:123], v[164:165], v[154:155]
	v_pk_fma_f16 v139, v18, v8, v15 op_sel_hi:[1,0,1]
	v_pk_fma_f16 v121, v18, v8, v26 op_sel:[0,1,0]
	v_pk_fma_f16 v119, v18, v9, v27 op_sel_hi:[1,0,1]
	v_pk_fma_f16 v117, v18, v9, v28 op_sel:[0,1,0]
	;; [unrolled: 2-line block ×7, first 2 shown]
	v_pk_fma_f16 v108, v19, v11, v24 op_sel_hi:[1,0,1]
	s_cmp_ge_i32 s51, s72
	v_pk_fma_f16 v109, v19, v11, v13 op_sel:[0,1,0]
	s_cbranch_scc1 .LBB0_37
; %bb.28:                               ;   in Loop: Header=BB0_11 Depth=1
	v_mov_b32_e32 v8, v0
	v_mov_b32_e32 v9, v1
	;; [unrolled: 1-line block ×8, first 2 shown]
	s_branch .LBB0_11
.LBB0_29:                               ;   in Loop: Header=BB0_11 Depth=1
	global_load_dwordx4 v[0:3], v[20:21], off offset:96
	s_waitcnt vmcnt(0)
	ds_write_b128 v170, v[0:3]
	s_or_b64 exec, exec, s[16:17]
	v_lshl_add_u64 v[16:17], v[132:133], 2, s[14:15]
	s_and_saveexec_b64 s[16:17], s[4:5]
	s_cbranch_execz .LBB0_13
.LBB0_30:                               ;   in Loop: Header=BB0_11 Depth=1
	v_lshl_add_u64 v[0:1], v[16:17], 0, v[134:135]
	global_load_dwordx4 v[0:3], v[0:1], off offset:64
	s_waitcnt vmcnt(0)
	ds_write_b128 v171, v[0:3]
	s_or_b64 exec, exec, s[16:17]
	v_lshl_add_u64 v[18:19], v[136:137], 2, s[14:15]
	s_and_saveexec_b64 s[14:15], s[6:7]
	s_cbranch_execnz .LBB0_14
	s_branch .LBB0_15
.LBB0_31:                               ;   in Loop: Header=BB0_11 Depth=1
	global_load_dwordx4 v[20:23], v[20:21], off offset:208
	s_waitcnt vmcnt(0)
	ds_write_b128 v170, v[20:23]
	s_or_b64 exec, exec, s[14:15]
	s_and_saveexec_b64 s[14:15], s[4:5]
	s_cbranch_execz .LBB0_17
.LBB0_32:                               ;   in Loop: Header=BB0_11 Depth=1
	v_lshl_add_u64 v[16:17], v[16:17], 0, v[134:135]
	global_load_dwordx4 v[20:23], v[16:17], off offset:176
	s_waitcnt vmcnt(0)
	ds_write_b128 v171, v[20:23]
	s_or_b64 exec, exec, s[14:15]
	s_and_saveexec_b64 s[14:15], s[6:7]
	s_cbranch_execnz .LBB0_18
	s_branch .LBB0_19
.LBB0_33:                               ;   in Loop: Header=BB0_11 Depth=1
	v_lshl_add_u64 v[16:17], v[140:141], 2, s[14:15]
	v_lshl_add_u64 v[16:17], v[16:17], 0, v[134:135]
	global_load_dwordx4 v[16:19], v[16:17], off offset:192
	s_waitcnt vmcnt(0)
	ds_write_b128 v175, v[16:19]
	s_or_b64 exec, exec, s[16:17]
	s_and_saveexec_b64 s[16:17], s[10:11]
	s_cbranch_execz .LBB0_21
.LBB0_34:                               ;   in Loop: Header=BB0_11 Depth=1
	v_lshl_add_u64 v[16:17], v[142:143], 2, s[14:15]
	v_mov_b32_e32 v149, v135
	v_lshl_add_u64 v[16:17], v[16:17], 0, v[148:149]
	global_load_dwordx4 v[16:19], v[16:17], off offset:128
	s_waitcnt vmcnt(0)
	ds_write_b128 v176, v[16:19]
	s_or_b64 exec, exec, s[16:17]
	v_lshlrev_b32_e32 v166, 2, v144
	s_and_saveexec_b64 s[16:17], s[12:13]
	s_cbranch_execnz .LBB0_22
	s_branch .LBB0_23
.LBB0_35:                               ;   in Loop: Header=BB0_11 Depth=1
	v_lshl_add_u64 v[188:189], v[140:141], 2, s[54:55]
	v_lshl_add_u64 v[188:189], v[188:189], 0, v[134:135]
	global_load_dwordx4 v[188:191], v[188:189], off offset:192
	s_waitcnt vmcnt(0)
	ds_write_b128 v175, v[188:191]
	s_or_b64 exec, exec, s[56:57]
	s_and_saveexec_b64 s[56:57], s[10:11]
	s_cbranch_execz .LBB0_25
.LBB0_36:                               ;   in Loop: Header=BB0_11 Depth=1
	v_lshl_add_u64 v[188:189], v[142:143], 2, s[54:55]
	v_mov_b32_e32 v149, v135
	v_lshl_add_u64 v[188:189], v[188:189], 0, v[148:149]
	global_load_dwordx4 v[188:191], v[188:189], off offset:128
	s_waitcnt vmcnt(0)
	ds_write_b128 v176, v[188:191]
	s_or_b64 exec, exec, s[56:57]
	s_and_saveexec_b64 s[56:57], s[12:13]
	s_cbranch_execnz .LBB0_26
	s_branch .LBB0_27
.LBB0_37:
	v_cmp_lt_i32_e32 vcc, v184, v180
	s_cmp_lg_u64 s[60:61], 0
	s_cselect_b64 s[4:5], -1, 0
	v_cndmask_b32_e32 v8, v145, v184, vcc
	v_lshlrev_b32_e32 v17, 2, v8
	ds_bpermute_b32 v12, v17, v126
	ds_bpermute_b32 v13, v17, v127
	v_cmp_lt_i32_e32 vcc, v185, v180
	ds_bpermute_b32 v8, v17, v128
	ds_bpermute_b32 v9, v17, v129
	v_cndmask_b32_e32 v10, v145, v185, vcc
	v_cmp_lt_i32_e32 vcc, v183, v180
	v_lshlrev_b32_e32 v23, 2, v10
	s_waitcnt lgkmcnt(2)
	v_pk_add_f32 v[12:13], v[126:127], v[12:13]
	v_cndmask_b32_e32 v10, v145, v183, vcc
	v_cmp_lt_i32_e32 vcc, v182, v180
	ds_bpermute_b32 v15, v23, v13
	v_lshlrev_b32_e32 v24, 2, v10
	v_cndmask_b32_e32 v14, v145, v182, vcc
	v_lshlrev_b32_e32 v25, 2, v14
	ds_bpermute_b32 v14, v23, v12
	ds_bpermute_b32 v18, v17, v122
	;; [unrolled: 1-line block ×3, first 2 shown]
	s_waitcnt lgkmcnt(4)
	v_pk_add_f32 v[8:9], v[128:129], v[8:9]
	v_cmp_lt_i32_e32 vcc, v181, v180
	s_waitcnt lgkmcnt(2)
	v_pk_add_f32 v[12:13], v[12:13], v[14:15]
	ds_bpermute_b32 v14, v24, v12
	ds_bpermute_b32 v15, v24, v13
	s_waitcnt lgkmcnt(2)
	v_pk_add_f32 v[18:19], v[122:123], v[18:19]
	ds_bpermute_b32 v10, v23, v8
	ds_bpermute_b32 v11, v23, v9
	v_cndmask_b32_e32 v16, v145, v181, vcc
	s_waitcnt lgkmcnt(2)
	v_pk_add_f32 v[12:13], v[12:13], v[14:15]
	ds_bpermute_b32 v14, v17, v124
	ds_bpermute_b32 v15, v17, v125
	;; [unrolled: 1-line block ×3, first 2 shown]
	v_lshlrev_b32_e32 v27, 2, v16
	ds_bpermute_b32 v16, v25, v12
	ds_bpermute_b32 v17, v25, v13
	s_waitcnt lgkmcnt(3)
	v_pk_add_f32 v[14:15], v[124:125], v[14:15]
	ds_bpermute_b32 v20, v23, v14
	ds_bpermute_b32 v21, v23, v15
	;; [unrolled: 1-line block ×3, first 2 shown]
	v_pk_add_f32 v[8:9], v[8:9], v[10:11]
	ds_bpermute_b32 v10, v24, v8
	ds_bpermute_b32 v11, v24, v9
	s_waitcnt lgkmcnt(3)
	v_pk_add_f32 v[14:15], v[14:15], v[20:21]
	s_waitcnt lgkmcnt(2)
	v_pk_add_f32 v[18:19], v[18:19], v[22:23]
	v_pk_add_f32 v[12:13], v[12:13], v[16:17]
	ds_bpermute_b32 v16, v24, v14
	ds_bpermute_b32 v17, v24, v15
	;; [unrolled: 1-line block ×4, first 2 shown]
	s_waitcnt lgkmcnt(4)
	v_pk_add_f32 v[8:9], v[8:9], v[10:11]
	ds_bpermute_b32 v10, v25, v8
	s_waitcnt lgkmcnt(3)
	v_pk_add_f32 v[14:15], v[14:15], v[16:17]
	ds_bpermute_b32 v11, v25, v9
	;; [unrolled: 3-line block ×3, first 2 shown]
	ds_bpermute_b32 v17, v25, v15
	ds_bpermute_b32 v20, v25, v18
	;; [unrolled: 1-line block ×3, first 2 shown]
	s_waitcnt lgkmcnt(4)
	v_pk_add_f32 v[8:9], v[8:9], v[10:11]
	ds_bpermute_b32 v10, v27, v8
	s_waitcnt lgkmcnt(3)
	v_pk_add_f32 v[14:15], v[14:15], v[16:17]
	ds_bpermute_b32 v11, v27, v9
	;; [unrolled: 3-line block ×3, first 2 shown]
	ds_bpermute_b32 v23, v27, v13
	ds_bpermute_b32 v16, v27, v14
	;; [unrolled: 1-line block ×5, first 2 shown]
	s_cmp_eq_u32 s3, 0
	s_cselect_b64 s[6:7], -1, 0
	s_and_b64 s[4:5], s[6:7], s[4:5]
	s_waitcnt lgkmcnt(6)
	v_pk_add_f32 v[24:25], v[8:9], v[10:11]
	s_waitcnt lgkmcnt(4)
	v_pk_add_f32 v[22:23], v[12:13], v[22:23]
	;; [unrolled: 2-line block ×4, first 2 shown]
	s_and_b64 vcc, exec, s[4:5]
	s_cbranch_vccz .LBB0_39
; %bb.38:
	s_ashr_i32 s51, s50, 31
	s_lshl_b64 s[4:5], s[50:51], 2
	s_add_u32 s4, s60, s4
	s_addc_u32 s5, s61, s5
	v_mov_b32_e32 v8, 0
	global_load_dwordx4 v[26:29], v8, s[4:5]
	global_load_dwordx4 v[14:17], v8, s[4:5] offset:16
	v_max_f32_e32 v8, v1, v1
	v_max_f32_e32 v10, v0, v0
	;; [unrolled: 1-line block ×3, first 2 shown]
	s_mov_b32 s5, 0x3fb8aa3b
	v_max_f32_e32 v11, v3, v3
	s_mov_b32 s4, 0xc2ce8ed0
	s_mov_b32 s2, 0x42b17218
	v_mov_b32_e32 v30, 0x7f800000
	s_waitcnt vmcnt(1)
	v_max_f32_e32 v9, v27, v27
	v_max_f32_e32 v13, v26, v26
	;; [unrolled: 1-line block ×5, first 2 shown]
	v_pk_add_f32 v[0:1], v[0:1], v[8:9] neg_lo:[0,1] neg_hi:[0,1]
	v_max_f32_e32 v10, v12, v32
	v_pk_add_f32 v[12:13], v[26:27], v[8:9] neg_lo:[0,1] neg_hi:[0,1]
	v_mul_f32_e32 v26, 0x3fb8aa3b, v1
	v_max_f32_e32 v31, v29, v29
	v_mul_f32_e32 v27, 0x3fb8aa3b, v0
	v_fma_f32 v35, v1, s5, -v26
	v_rndne_f32_e32 v36, v26
	v_max_f32_e32 v11, v11, v31
	v_mul_f32_e32 v31, 0x3fb8aa3b, v13
	v_fma_f32 v37, v0, s5, -v27
	v_rndne_f32_e32 v38, v27
	v_fmac_f32_e32 v35, 0x32a5705f, v1
	v_sub_f32_e32 v26, v26, v36
	v_mul_f32_e32 v32, 0x3fb8aa3b, v12
	v_fma_f32 v39, v13, s5, -v31
	v_rndne_f32_e32 v40, v31
	v_fmac_f32_e32 v37, 0x32a5705f, v0
	v_sub_f32_e32 v27, v27, v38
	v_add_f32_e32 v26, v26, v35
	v_fma_f32 v41, v12, s5, -v32
	v_rndne_f32_e32 v42, v32
	v_cvt_i32_f32_e32 v36, v36
	v_fmac_f32_e32 v39, 0x32a5705f, v13
	v_sub_f32_e32 v31, v31, v40
	v_add_f32_e32 v27, v27, v37
	v_exp_f32_e32 v26, v26
	v_cvt_i32_f32_e32 v38, v38
	v_fmac_f32_e32 v41, 0x32a5705f, v12
	v_sub_f32_e32 v32, v32, v42
	v_add_f32_e32 v31, v31, v39
	v_exp_f32_e32 v27, v27
	v_cvt_i32_f32_e32 v40, v40
	v_add_f32_e32 v32, v32, v41
	v_exp_f32_e32 v31, v31
	v_cvt_i32_f32_e32 v42, v42
	v_exp_f32_e32 v32, v32
	v_ldexp_f32 v26, v26, v36
	v_cmp_ngt_f32_e32 vcc, s4, v1
	v_ldexp_f32 v27, v27, v38
	v_pk_add_f32 v[2:3], v[2:3], v[10:11] neg_lo:[0,1] neg_hi:[0,1]
	v_cndmask_b32_e32 v26, 0, v26, vcc
	v_cmp_ngt_f32_e32 vcc, s4, v0
	v_ldexp_f32 v31, v31, v40
	v_mul_f32_e32 v33, 0x3fb8aa3b, v3
	v_cndmask_b32_e32 v27, 0, v27, vcc
	v_cmp_ngt_f32_e32 vcc, s4, v13
	v_ldexp_f32 v32, v32, v42
	v_mul_f32_e32 v34, 0x3fb8aa3b, v2
	v_cndmask_b32_e32 v31, 0, v31, vcc
	v_cmp_ngt_f32_e32 vcc, s4, v12
	v_fma_f32 v43, v3, s5, -v33
	v_rndne_f32_e32 v44, v33
	v_cndmask_b32_e32 v32, 0, v32, vcc
	v_cmp_nlt_f32_e32 vcc, s2, v1
	v_fma_f32 v45, v2, s5, -v34
	v_rndne_f32_e32 v46, v34
	v_fmac_f32_e32 v43, 0x32a5705f, v3
	v_sub_f32_e32 v33, v33, v44
	v_cndmask_b32_e32 v1, v30, v26, vcc
	v_cmp_nlt_f32_e32 vcc, s2, v0
	v_fmac_f32_e32 v45, 0x32a5705f, v2
	v_sub_f32_e32 v34, v34, v46
	v_add_f32_e32 v33, v33, v43
	v_cndmask_b32_e32 v0, v30, v27, vcc
	v_cvt_i32_f32_e32 v44, v44
	v_add_f32_e32 v34, v34, v45
	v_exp_f32_e32 v33, v33
	v_cmp_nlt_f32_e32 vcc, s2, v13
	v_cvt_f16_f32_e32 v26, v0
	v_cvt_i32_f32_e32 v46, v46
	v_exp_f32_e32 v34, v34
	v_cndmask_b32_e32 v13, v30, v31, vcc
	v_cmp_nlt_f32_e32 vcc, s2, v12
	v_cvt_f16_f32_e32 v27, v1
	v_ldexp_f32 v33, v33, v44
	v_cndmask_b32_e32 v12, v30, v32, vcc
	v_pk_fma_f32 v[24:25], v[24:25], v[0:1], v[12:13]
	v_pk_add_f32 v[12:13], v[28:29], v[10:11] neg_lo:[0,1] neg_hi:[0,1]
	v_pk_mul_f16 v139, v26, v139 op_sel_hi:[0,1]
	v_pk_mul_f16 v120, v26, v120 op_sel_hi:[0,1]
	v_cmp_ngt_f32_e32 vcc, s4, v3
	v_mul_f32_e32 v26, 0x3fb8aa3b, v13
	v_pk_mul_f16 v121, v27, v121 op_sel_hi:[0,1]
	v_pk_mul_f16 v118, v27, v118 op_sel_hi:[0,1]
	v_cndmask_b32_e32 v1, 0, v33, vcc
	v_ldexp_f32 v0, v34, v46
	v_cmp_ngt_f32_e32 vcc, s4, v2
	v_fma_f32 v27, v13, s5, -v26
	v_rndne_f32_e32 v28, v26
	v_cndmask_b32_e32 v0, 0, v0, vcc
	v_cmp_nlt_f32_e32 vcc, s2, v2
	v_fmac_f32_e32 v27, 0x32a5705f, v13
	v_sub_f32_e32 v26, v26, v28
	v_cndmask_b32_e32 v0, v30, v0, vcc
	v_add_f32_e32 v26, v26, v27
	v_cvt_f16_f32_e32 v2, v0
	v_exp_f32_e32 v26, v26
	v_cvt_i32_f32_e32 v27, v28
	v_cmp_nlt_f32_e32 vcc, s2, v3
	v_mul_f32_e32 v3, 0x3fb8aa3b, v12
	v_pk_mul_f16 v119, v2, v119 op_sel_hi:[0,1]
	v_pk_mul_f16 v116, v2, v116 op_sel_hi:[0,1]
	v_ldexp_f32 v2, v26, v27
	v_fma_f32 v26, v12, s5, -v3
	v_rndne_f32_e32 v27, v3
	v_fmac_f32_e32 v26, 0x32a5705f, v12
	v_sub_f32_e32 v3, v3, v27
	v_add_f32_e32 v3, v3, v26
	v_exp_f32_e32 v26, v3
	v_cvt_i32_f32_e32 v27, v27
	v_cndmask_b32_e32 v1, v30, v1, vcc
	v_cmp_ngt_f32_e32 vcc, s4, v13
	s_nop 1
	v_cndmask_b32_e32 v2, 0, v2, vcc
	v_cmp_nlt_f32_e32 vcc, s2, v13
	v_cvt_f16_f32_e32 v13, v1
	v_pk_mul_f16 v117, v13, v117 op_sel_hi:[0,1]
	v_cndmask_b32_e32 v3, v30, v2, vcc
	v_ldexp_f32 v2, v26, v27
	v_cmp_ngt_f32_e32 vcc, s4, v12
	v_pk_mul_f16 v114, v13, v114 op_sel_hi:[0,1]
	s_nop 0
	v_cndmask_b32_e32 v2, 0, v2, vcc
	v_cmp_nlt_f32_e32 vcc, s2, v12
	s_nop 1
	v_cndmask_b32_e32 v2, v30, v2, vcc
	v_pk_fma_f32 v[22:23], v[22:23], v[0:1], v[2:3]
	s_waitcnt vmcnt(0)
	v_max_f32_e32 v0, v15, v15
	v_max_f32_e32 v1, v5, v5
	;; [unrolled: 1-line block ×6, first 2 shown]
	v_pk_add_f32 v[0:1], v[4:5], v[12:13] neg_lo:[0,1] neg_hi:[0,1]
	s_nop 0
	v_mul_f32_e32 v2, 0x3fb8aa3b, v1
	v_fma_f32 v3, v1, s5, -v2
	v_rndne_f32_e32 v4, v2
	v_fmac_f32_e32 v3, 0x32a5705f, v1
	v_sub_f32_e32 v2, v2, v4
	v_add_f32_e32 v2, v2, v3
	v_cvt_i32_f32_e32 v3, v4
	v_mul_f32_e32 v4, 0x3fb8aa3b, v0
	v_fma_f32 v5, v0, s5, -v4
	v_rndne_f32_e32 v26, v4
	v_fmac_f32_e32 v5, 0x32a5705f, v0
	v_sub_f32_e32 v4, v4, v26
	v_exp_f32_e32 v2, v2
	v_add_f32_e32 v4, v4, v5
	v_exp_f32_e32 v4, v4
	v_cvt_i32_f32_e32 v5, v26
	v_ldexp_f32 v2, v2, v3
	v_cmp_ngt_f32_e32 vcc, s4, v1
	s_nop 1
	v_cndmask_b32_e32 v26, 0, v2, vcc
	v_ldexp_f32 v2, v4, v5
	v_cmp_ngt_f32_e32 vcc, s4, v0
	s_nop 1
	v_cndmask_b32_e32 v2, 0, v2, vcc
	v_cmp_nlt_f32_e32 vcc, s2, v0
	s_nop 1
	v_cndmask_b32_e32 v0, v30, v2, vcc
	v_pk_add_f32 v[2:3], v[14:15], v[12:13] neg_lo:[0,1] neg_hi:[0,1]
	v_cvt_f16_f32_e32 v4, v0
	v_mul_f32_e32 v5, 0x3fb8aa3b, v3
	v_fma_f32 v14, v3, s5, -v5
	v_rndne_f32_e32 v15, v5
	v_fmac_f32_e32 v14, 0x32a5705f, v3
	v_sub_f32_e32 v5, v5, v15
	v_add_f32_e32 v5, v5, v14
	v_exp_f32_e32 v5, v5
	v_cvt_i32_f32_e32 v14, v15
	v_pk_mul_f16 v115, v4, v115 op_sel_hi:[0,1]
	v_pk_mul_f16 v112, v4, v112 op_sel_hi:[0,1]
	v_cmp_nlt_f32_e32 vcc, s2, v1
	v_ldexp_f32 v4, v5, v14
	v_mul_f32_e32 v5, 0x3fb8aa3b, v2
	v_fma_f32 v14, v2, s5, -v5
	v_rndne_f32_e32 v15, v5
	v_fmac_f32_e32 v14, 0x32a5705f, v2
	v_sub_f32_e32 v5, v5, v15
	v_add_f32_e32 v5, v5, v14
	v_exp_f32_e32 v5, v5
	v_cvt_i32_f32_e32 v14, v15
	v_cndmask_b32_e32 v1, v30, v26, vcc
	v_cmp_ngt_f32_e32 vcc, s4, v3
	s_nop 1
	v_cndmask_b32_e32 v4, 0, v4, vcc
	v_cmp_nlt_f32_e32 vcc, s2, v3
	s_nop 1
	v_cndmask_b32_e32 v3, v30, v4, vcc
	v_ldexp_f32 v4, v5, v14
	v_cmp_ngt_f32_e32 vcc, s4, v2
	v_cvt_f16_f32_e32 v5, v1
	v_pk_mul_f16 v113, v5, v113 op_sel_hi:[0,1]
	v_cndmask_b32_e32 v4, 0, v4, vcc
	v_cmp_nlt_f32_e32 vcc, s2, v2
	v_pk_mul_f16 v110, v5, v110 op_sel_hi:[0,1]
	s_nop 0
	v_cndmask_b32_e32 v2, v30, v4, vcc
	v_pk_fma_f32 v[20:21], v[20:21], v[0:1], v[2:3]
	v_max_f32_e32 v0, v17, v17
	v_max_f32_e32 v1, v7, v7
	;; [unrolled: 1-line block ×6, first 2 shown]
	v_pk_add_f32 v[0:1], v[6:7], v[14:15] neg_lo:[0,1] neg_hi:[0,1]
	s_nop 0
	v_mul_f32_e32 v2, 0x3fb8aa3b, v1
	v_fma_f32 v3, v1, s5, -v2
	v_rndne_f32_e32 v4, v2
	v_fmac_f32_e32 v3, 0x32a5705f, v1
	v_sub_f32_e32 v2, v2, v4
	v_add_f32_e32 v2, v2, v3
	v_cvt_i32_f32_e32 v3, v4
	v_mul_f32_e32 v4, 0x3fb8aa3b, v0
	v_fma_f32 v5, v0, s5, -v4
	v_rndne_f32_e32 v6, v4
	v_fmac_f32_e32 v5, 0x32a5705f, v0
	v_sub_f32_e32 v4, v4, v6
	v_exp_f32_e32 v2, v2
	v_add_f32_e32 v4, v4, v5
	v_exp_f32_e32 v4, v4
	v_cvt_i32_f32_e32 v5, v6
	v_ldexp_f32 v2, v2, v3
	v_cmp_ngt_f32_e32 vcc, s4, v1
	s_nop 1
	v_cndmask_b32_e32 v6, 0, v2, vcc
	v_ldexp_f32 v2, v4, v5
	v_cmp_ngt_f32_e32 vcc, s4, v0
	s_nop 1
	v_cndmask_b32_e32 v2, 0, v2, vcc
	v_cmp_nlt_f32_e32 vcc, s2, v0
	s_nop 1
	v_cndmask_b32_e32 v0, v30, v2, vcc
	v_pk_add_f32 v[2:3], v[16:17], v[14:15] neg_lo:[0,1] neg_hi:[0,1]
	v_cvt_f16_f32_e32 v4, v0
	v_mul_f32_e32 v5, 0x3fb8aa3b, v3
	v_fma_f32 v7, v3, s5, -v5
	v_rndne_f32_e32 v16, v5
	v_fmac_f32_e32 v7, 0x32a5705f, v3
	v_sub_f32_e32 v5, v5, v16
	v_add_f32_e32 v5, v5, v7
	v_exp_f32_e32 v5, v5
	v_cvt_i32_f32_e32 v7, v16
	v_cmp_nlt_f32_e32 vcc, s2, v1
	v_pk_mul_f16 v111, v4, v111 op_sel_hi:[0,1]
	v_pk_mul_f16 v108, v4, v108 op_sel_hi:[0,1]
	v_ldexp_f32 v4, v5, v7
	v_mul_f32_e32 v5, 0x3fb8aa3b, v2
	v_cndmask_b32_e32 v1, v30, v6, vcc
	v_fma_f32 v6, v2, s5, -v5
	v_rndne_f32_e32 v7, v5
	v_fmac_f32_e32 v6, 0x32a5705f, v2
	v_sub_f32_e32 v5, v5, v7
	v_add_f32_e32 v5, v5, v6
	v_exp_f32_e32 v5, v5
	v_cvt_i32_f32_e32 v6, v7
	v_cmp_ngt_f32_e32 vcc, s4, v3
	s_nop 1
	v_cndmask_b32_e32 v4, 0, v4, vcc
	v_cmp_nlt_f32_e32 vcc, s2, v3
	s_nop 1
	v_cndmask_b32_e32 v3, v30, v4, vcc
	v_ldexp_f32 v4, v5, v6
	v_cvt_f16_f32_e32 v5, v1
	v_cmp_ngt_f32_e32 vcc, s4, v2
	v_pk_mul_f16 v107, v5, v107 op_sel_hi:[0,1]
	s_nop 0
	v_cndmask_b32_e32 v4, 0, v4, vcc
	v_cmp_nlt_f32_e32 vcc, s2, v2
	v_pk_mul_f16 v109, v5, v109 op_sel_hi:[0,1]
	s_nop 0
	v_cndmask_b32_e32 v2, v30, v4, vcc
	v_pk_fma_f32 v[18:19], v[18:19], v[0:1], v[2:3]
	v_mov_b64_e32 v[0:1], v[8:9]
	v_mov_b64_e32 v[2:3], v[10:11]
	;; [unrolled: 1-line block ×4, first 2 shown]
.LBB0_39:
	v_cmp_gt_i32_e32 vcc, s70, v105
	s_and_saveexec_b64 s[4:5], vcc
	s_cbranch_execz .LBB0_68
; %bb.40:
	s_load_dword s2, s[0:1], 0xd4
	v_mov_b32_e32 v10, 1.0
	s_waitcnt lgkmcnt(0)
	s_cmp_lg_u32 s2, 1
	s_cselect_b64 s[0:1], -1, 0
	s_cmp_eq_u32 s2, 1
	s_cselect_b64 s[6:7], -1, 0
	s_and_b64 vcc, exec, s[0:1]
	s_cbranch_vccnz .LBB0_42
; %bb.41:
	v_div_scale_f32 v8, s[4:5], v24, v24, 1.0
	v_rcp_f32_e32 v9, v8
	v_div_scale_f32 v10, vcc, 1.0, v24, 1.0
	v_fma_f32 v11, -v8, v9, 1.0
	v_fmac_f32_e32 v9, v11, v9
	v_mul_f32_e32 v11, v10, v9
	v_fma_f32 v12, -v8, v11, v10
	v_fmac_f32_e32 v11, v12, v9
	v_fma_f32 v8, -v8, v11, v10
	v_div_fmas_f32 v8, v8, v9, v11
	v_div_fixup_f32 v10, v8, v24, 1.0
.LBB0_42:
	s_mul_i32 s33, s33, s70
	v_add_u32_e32 v8, s33, v105
	v_mul_lo_u32 v8, v8, s71
	v_add_u32_e32 v8, s50, v8
	v_mul_lo_u32 v11, s2, v8
	v_add_u32_e32 v8, s3, v11
	s_and_saveexec_b64 s[4:5], s[48:49]
	s_cbranch_execz .LBB0_44
; %bb.43:
	v_cvt_f32_f16_sdwa v15, v139 dst_sel:DWORD dst_unused:UNUSED_PAD src0_sel:WORD_1
	v_cvt_f32_f16_e32 v14, v139
	v_cvt_f32_f16_sdwa v17, v120 dst_sel:DWORD dst_unused:UNUSED_PAD src0_sel:WORD_1
	v_cvt_f32_f16_e32 v16, v120
	s_movk_i32 s8, 0x70
	v_mad_u64_u32 v[12:13], s[8:9], v8, s8, v[104:105]
	v_mov_b32_e32 v13, 0
	v_lshl_add_u64 v[26:27], v[12:13], 2, s[64:65]
	v_pk_mul_f32 v[12:13], v[10:11], v[14:15] op_sel_hi:[0,1]
	v_pk_mul_f32 v[14:15], v[10:11], v[16:17] op_sel_hi:[0,1]
	global_store_dwordx4 v[26:27], v[12:15], off
.LBB0_44:
	s_or_b64 exec, exec, s[4:5]
	v_cmp_eq_u32_e32 vcc, 0, v106
	s_and_b64 s[4:5], vcc, s[0:1]
	s_and_saveexec_b64 s[0:1], s[4:5]
	s_cbranch_execz .LBB0_46
; %bb.45:
	v_ashrrev_i32_e32 v9, 31, v8
	v_lshl_add_u64 v[8:9], v[8:9], 3, s[66:67]
	v_mov_b32_e32 v12, v0
	v_mov_b32_e32 v13, v24
	global_store_dwordx2 v[8:9], v[12:13], off
.LBB0_46:
	s_or_b64 exec, exec, s[0:1]
	v_cndmask_b32_e64 v0, 0, 1, s[6:7]
	v_cmp_ne_u32_e64 s[0:1], 1, v0
	s_andn2_b64 vcc, exec, s[6:7]
	v_mov_b32_e32 v0, 1.0
	s_cbranch_vccz .LBB0_69
; %bb.47:
	v_add_u32_e32 v10, s2, v11
	v_add_u32_e32 v8, s3, v10
	s_and_saveexec_b64 s[6:7], s[48:49]
	s_cbranch_execnz .LBB0_70
.LBB0_48:
	s_or_b64 exec, exec, s[6:7]
	s_and_saveexec_b64 s[6:7], s[4:5]
	s_cbranch_execnz .LBB0_71
.LBB0_49:
	s_or_b64 exec, exec, s[6:7]
	s_and_b64 vcc, exec, s[0:1]
	v_mov_b32_e32 v8, 1.0
	s_cbranch_vccz .LBB0_72
.LBB0_50:
	v_add_u32_e32 v9, s2, v10
	v_add_u32_e32 v0, s3, v9
	s_and_saveexec_b64 s[6:7], s[48:49]
	s_cbranch_execnz .LBB0_73
.LBB0_51:
	s_or_b64 exec, exec, s[6:7]
	s_and_saveexec_b64 s[6:7], s[4:5]
	s_cbranch_execnz .LBB0_74
.LBB0_52:
	s_or_b64 exec, exec, s[6:7]
	s_and_b64 vcc, exec, s[0:1]
	v_mov_b32_e32 v2, 1.0
	s_cbranch_vccz .LBB0_75
.LBB0_53:
	v_add_u32_e32 v8, s2, v9
	v_add_u32_e32 v0, s3, v8
	s_and_saveexec_b64 s[6:7], s[48:49]
	s_cbranch_execnz .LBB0_76
.LBB0_54:
	s_or_b64 exec, exec, s[6:7]
	s_and_saveexec_b64 s[6:7], s[4:5]
	s_cbranch_execnz .LBB0_77
.LBB0_55:
	s_or_b64 exec, exec, s[6:7]
	s_and_b64 vcc, exec, s[0:1]
	v_mov_b32_e32 v2, 1.0
	s_cbranch_vccz .LBB0_78
.LBB0_56:
	v_add_u32_e32 v3, s2, v8
	v_add_u32_e32 v0, s3, v3
	s_and_saveexec_b64 s[6:7], s[48:49]
	s_cbranch_execnz .LBB0_79
.LBB0_57:
	s_or_b64 exec, exec, s[6:7]
	s_and_saveexec_b64 s[6:7], s[4:5]
	s_cbranch_execnz .LBB0_80
.LBB0_58:
	s_or_b64 exec, exec, s[6:7]
	s_and_b64 vcc, exec, s[0:1]
	v_mov_b32_e32 v2, 1.0
	s_cbranch_vccz .LBB0_81
.LBB0_59:
	v_add_u32_e32 v3, s2, v3
	v_add_u32_e32 v0, s3, v3
	s_and_saveexec_b64 s[6:7], s[48:49]
	s_cbranch_execnz .LBB0_82
.LBB0_60:
	s_or_b64 exec, exec, s[6:7]
	s_and_saveexec_b64 s[6:7], s[4:5]
	s_cbranch_execnz .LBB0_83
.LBB0_61:
	s_or_b64 exec, exec, s[6:7]
	s_and_b64 vcc, exec, s[0:1]
	v_mov_b32_e32 v2, 1.0
	s_cbranch_vccz .LBB0_84
.LBB0_62:
	v_add_u32_e32 v3, s2, v3
	v_add_u32_e32 v0, s3, v3
	s_and_saveexec_b64 s[6:7], s[48:49]
	s_cbranch_execnz .LBB0_85
.LBB0_63:
	s_or_b64 exec, exec, s[6:7]
	s_and_saveexec_b64 s[6:7], s[4:5]
	s_cbranch_execnz .LBB0_86
.LBB0_64:
	s_or_b64 exec, exec, s[6:7]
	s_and_b64 vcc, exec, s[0:1]
	v_mov_b32_e32 v2, 1.0
	s_cbranch_vccz .LBB0_87
.LBB0_65:
	s_add_i32 s3, s3, s2
	v_add_u32_e32 v0, s3, v3
	s_and_saveexec_b64 s[0:1], s[48:49]
	s_cbranch_execnz .LBB0_88
.LBB0_66:
	s_or_b64 exec, exec, s[0:1]
	s_and_b64 exec, exec, s[4:5]
	s_cbranch_execz .LBB0_68
.LBB0_67:
	v_ashrrev_i32_e32 v1, 31, v0
	v_lshl_add_u64 v[0:1], v[0:1], 3, s[66:67]
	v_mov_b32_e32 v18, v7
	global_store_dwordx2 v[0:1], v[18:19], off
.LBB0_68:
	s_endpgm
.LBB0_69:
	v_div_scale_f32 v0, s[6:7], v25, v25, 1.0
	v_rcp_f32_e32 v8, v0
	v_div_scale_f32 v9, vcc, 1.0, v25, 1.0
	v_fma_f32 v10, -v0, v8, 1.0
	v_fmac_f32_e32 v8, v10, v8
	v_mul_f32_e32 v10, v9, v8
	v_fma_f32 v12, -v0, v10, v9
	v_fmac_f32_e32 v10, v12, v8
	v_fma_f32 v0, -v0, v10, v9
	v_div_fmas_f32 v0, v0, v8, v10
	v_div_fixup_f32 v0, v0, v25, 1.0
	v_add_u32_e32 v10, s2, v11
	v_add_u32_e32 v8, s3, v10
	s_and_saveexec_b64 s[6:7], s[48:49]
	s_cbranch_execz .LBB0_48
.LBB0_70:
	v_cvt_f32_f16_sdwa v15, v121 dst_sel:DWORD dst_unused:UNUSED_PAD src0_sel:WORD_1
	v_cvt_f32_f16_e32 v14, v121
	v_cvt_f32_f16_sdwa v17, v118 dst_sel:DWORD dst_unused:UNUSED_PAD src0_sel:WORD_1
	v_cvt_f32_f16_e32 v16, v118
	s_movk_i32 s8, 0x70
	v_mad_u64_u32 v[12:13], s[8:9], v8, s8, v[104:105]
	v_mov_b32_e32 v13, 0
	v_lshl_add_u64 v[26:27], v[12:13], 2, s[64:65]
	v_pk_mul_f32 v[12:13], v[0:1], v[14:15] op_sel_hi:[0,1]
	v_pk_mul_f32 v[14:15], v[0:1], v[16:17] op_sel_hi:[0,1]
	global_store_dwordx4 v[26:27], v[12:15], off
	s_or_b64 exec, exec, s[6:7]
	s_and_saveexec_b64 s[6:7], s[4:5]
	s_cbranch_execz .LBB0_49
.LBB0_71:
	v_ashrrev_i32_e32 v9, 31, v8
	v_lshl_add_u64 v[8:9], v[8:9], 3, s[66:67]
	v_mov_b32_e32 v24, v1
	global_store_dwordx2 v[8:9], v[24:25], off
	s_or_b64 exec, exec, s[6:7]
	s_and_b64 vcc, exec, s[0:1]
	v_mov_b32_e32 v8, 1.0
	s_cbranch_vccnz .LBB0_50
.LBB0_72:
	v_div_scale_f32 v0, s[6:7], v22, v22, 1.0
	v_rcp_f32_e32 v1, v0
	v_div_scale_f32 v8, vcc, 1.0, v22, 1.0
	v_fma_f32 v9, -v0, v1, 1.0
	v_fmac_f32_e32 v1, v9, v1
	v_mul_f32_e32 v9, v8, v1
	v_fma_f32 v11, -v0, v9, v8
	v_fmac_f32_e32 v9, v11, v1
	v_fma_f32 v0, -v0, v9, v8
	v_div_fmas_f32 v0, v0, v1, v9
	v_div_fixup_f32 v8, v0, v22, 1.0
	v_add_u32_e32 v9, s2, v10
	v_add_u32_e32 v0, s3, v9
	s_and_saveexec_b64 s[6:7], s[48:49]
	s_cbranch_execz .LBB0_51
.LBB0_73:
	v_cvt_f32_f16_sdwa v13, v119 dst_sel:DWORD dst_unused:UNUSED_PAD src0_sel:WORD_1
	v_cvt_f32_f16_e32 v12, v119
	v_cvt_f32_f16_sdwa v15, v116 dst_sel:DWORD dst_unused:UNUSED_PAD src0_sel:WORD_1
	v_cvt_f32_f16_e32 v14, v116
	s_movk_i32 s8, 0x70
	v_mad_u64_u32 v[10:11], s[8:9], v0, s8, v[104:105]
	v_mov_b32_e32 v11, 0
	v_lshl_add_u64 v[16:17], v[10:11], 2, s[64:65]
	v_pk_mul_f32 v[10:11], v[8:9], v[12:13] op_sel_hi:[0,1]
	v_pk_mul_f32 v[12:13], v[8:9], v[14:15] op_sel_hi:[0,1]
	global_store_dwordx4 v[16:17], v[10:13], off
	s_or_b64 exec, exec, s[6:7]
	s_and_saveexec_b64 s[6:7], s[4:5]
	s_cbranch_execz .LBB0_52
.LBB0_74:
	v_ashrrev_i32_e32 v1, 31, v0
	v_lshl_add_u64 v[0:1], v[0:1], 3, s[66:67]
	v_mov_b32_e32 v10, v2
	v_mov_b32_e32 v11, v22
	global_store_dwordx2 v[0:1], v[10:11], off
	s_or_b64 exec, exec, s[6:7]
	s_and_b64 vcc, exec, s[0:1]
	v_mov_b32_e32 v2, 1.0
	s_cbranch_vccnz .LBB0_53
.LBB0_75:
	v_div_scale_f32 v0, s[6:7], v23, v23, 1.0
	v_rcp_f32_e32 v1, v0
	v_div_scale_f32 v2, vcc, 1.0, v23, 1.0
	v_fma_f32 v8, -v0, v1, 1.0
	v_fmac_f32_e32 v1, v8, v1
	v_mul_f32_e32 v8, v2, v1
	v_fma_f32 v10, -v0, v8, v2
	v_fmac_f32_e32 v8, v10, v1
	v_fma_f32 v0, -v0, v8, v2
	v_div_fmas_f32 v0, v0, v1, v8
	v_div_fixup_f32 v2, v0, v23, 1.0
	v_add_u32_e32 v8, s2, v9
	v_add_u32_e32 v0, s3, v8
	s_and_saveexec_b64 s[6:7], s[48:49]
	s_cbranch_execz .LBB0_54
.LBB0_76:
	v_cvt_f32_f16_sdwa v13, v117 dst_sel:DWORD dst_unused:UNUSED_PAD src0_sel:WORD_1
	v_cvt_f32_f16_e32 v12, v117
	v_cvt_f32_f16_sdwa v15, v114 dst_sel:DWORD dst_unused:UNUSED_PAD src0_sel:WORD_1
	v_cvt_f32_f16_e32 v14, v114
	s_movk_i32 s8, 0x70
	v_mad_u64_u32 v[10:11], s[8:9], v0, s8, v[104:105]
	v_mov_b32_e32 v11, 0
	v_lshl_add_u64 v[16:17], v[10:11], 2, s[64:65]
	v_pk_mul_f32 v[10:11], v[2:3], v[12:13] op_sel_hi:[0,1]
	v_pk_mul_f32 v[12:13], v[2:3], v[14:15] op_sel_hi:[0,1]
	global_store_dwordx4 v[16:17], v[10:13], off
	s_or_b64 exec, exec, s[6:7]
	s_and_saveexec_b64 s[6:7], s[4:5]
	s_cbranch_execz .LBB0_55
.LBB0_77:
	v_ashrrev_i32_e32 v1, 31, v0
	v_lshl_add_u64 v[0:1], v[0:1], 3, s[66:67]
	v_mov_b32_e32 v22, v3
	global_store_dwordx2 v[0:1], v[22:23], off
	s_or_b64 exec, exec, s[6:7]
	s_and_b64 vcc, exec, s[0:1]
	v_mov_b32_e32 v2, 1.0
	s_cbranch_vccnz .LBB0_56
.LBB0_78:
	v_div_scale_f32 v0, s[6:7], v20, v20, 1.0
	v_rcp_f32_e32 v1, v0
	v_div_scale_f32 v2, vcc, 1.0, v20, 1.0
	v_fma_f32 v3, -v0, v1, 1.0
	v_fmac_f32_e32 v1, v3, v1
	v_mul_f32_e32 v3, v2, v1
	v_fma_f32 v9, -v0, v3, v2
	v_fmac_f32_e32 v3, v9, v1
	v_fma_f32 v0, -v0, v3, v2
	v_div_fmas_f32 v0, v0, v1, v3
	v_div_fixup_f32 v2, v0, v20, 1.0
	v_add_u32_e32 v3, s2, v8
	v_add_u32_e32 v0, s3, v3
	s_and_saveexec_b64 s[6:7], s[48:49]
	s_cbranch_execz .LBB0_57
.LBB0_79:
	v_cvt_f32_f16_sdwa v11, v115 dst_sel:DWORD dst_unused:UNUSED_PAD src0_sel:WORD_1
	v_cvt_f32_f16_e32 v10, v115
	v_cvt_f32_f16_sdwa v13, v112 dst_sel:DWORD dst_unused:UNUSED_PAD src0_sel:WORD_1
	v_cvt_f32_f16_e32 v12, v112
	s_movk_i32 s8, 0x70
	v_mad_u64_u32 v[8:9], s[8:9], v0, s8, v[104:105]
	v_mov_b32_e32 v9, 0
	v_lshl_add_u64 v[14:15], v[8:9], 2, s[64:65]
	v_pk_mul_f32 v[8:9], v[2:3], v[10:11] op_sel_hi:[0,1]
	v_pk_mul_f32 v[10:11], v[2:3], v[12:13] op_sel_hi:[0,1]
	global_store_dwordx4 v[14:15], v[8:11], off
	s_or_b64 exec, exec, s[6:7]
	s_and_saveexec_b64 s[6:7], s[4:5]
	s_cbranch_execz .LBB0_58
.LBB0_80:
	v_ashrrev_i32_e32 v1, 31, v0
	v_lshl_add_u64 v[0:1], v[0:1], 3, s[66:67]
	v_mov_b32_e32 v8, v4
	v_mov_b32_e32 v9, v20
	global_store_dwordx2 v[0:1], v[8:9], off
	s_or_b64 exec, exec, s[6:7]
	s_and_b64 vcc, exec, s[0:1]
	v_mov_b32_e32 v2, 1.0
	s_cbranch_vccnz .LBB0_59
.LBB0_81:
	v_div_scale_f32 v0, s[6:7], v21, v21, 1.0
	v_rcp_f32_e32 v1, v0
	v_div_scale_f32 v2, vcc, 1.0, v21, 1.0
	v_fma_f32 v4, -v0, v1, 1.0
	v_fmac_f32_e32 v1, v4, v1
	v_mul_f32_e32 v4, v2, v1
	v_fma_f32 v8, -v0, v4, v2
	v_fmac_f32_e32 v4, v8, v1
	v_fma_f32 v0, -v0, v4, v2
	v_div_fmas_f32 v0, v0, v1, v4
	v_div_fixup_f32 v2, v0, v21, 1.0
	v_add_u32_e32 v3, s2, v3
	v_add_u32_e32 v0, s3, v3
	s_and_saveexec_b64 s[6:7], s[48:49]
	s_cbranch_execz .LBB0_60
.LBB0_82:
	v_cvt_f32_f16_sdwa v11, v113 dst_sel:DWORD dst_unused:UNUSED_PAD src0_sel:WORD_1
	v_cvt_f32_f16_e32 v10, v113
	v_cvt_f32_f16_sdwa v13, v110 dst_sel:DWORD dst_unused:UNUSED_PAD src0_sel:WORD_1
	v_cvt_f32_f16_e32 v12, v110
	s_movk_i32 s8, 0x70
	v_mad_u64_u32 v[8:9], s[8:9], v0, s8, v[104:105]
	v_mov_b32_e32 v9, 0
	v_lshl_add_u64 v[14:15], v[8:9], 2, s[64:65]
	v_pk_mul_f32 v[8:9], v[2:3], v[10:11] op_sel_hi:[0,1]
	v_pk_mul_f32 v[10:11], v[2:3], v[12:13] op_sel_hi:[0,1]
	global_store_dwordx4 v[14:15], v[8:11], off
	s_or_b64 exec, exec, s[6:7]
	s_and_saveexec_b64 s[6:7], s[4:5]
	s_cbranch_execz .LBB0_61
.LBB0_83:
	v_ashrrev_i32_e32 v1, 31, v0
	v_lshl_add_u64 v[0:1], v[0:1], 3, s[66:67]
	v_mov_b32_e32 v20, v5
	global_store_dwordx2 v[0:1], v[20:21], off
	s_or_b64 exec, exec, s[6:7]
	s_and_b64 vcc, exec, s[0:1]
	v_mov_b32_e32 v2, 1.0
	s_cbranch_vccnz .LBB0_62
.LBB0_84:
	v_div_scale_f32 v0, s[6:7], v18, v18, 1.0
	v_rcp_f32_e32 v1, v0
	v_div_scale_f32 v2, vcc, 1.0, v18, 1.0
	v_fma_f32 v4, -v0, v1, 1.0
	v_fmac_f32_e32 v1, v4, v1
	v_mul_f32_e32 v4, v2, v1
	v_fma_f32 v5, -v0, v4, v2
	v_fmac_f32_e32 v4, v5, v1
	v_fma_f32 v0, -v0, v4, v2
	v_div_fmas_f32 v0, v0, v1, v4
	v_div_fixup_f32 v2, v0, v18, 1.0
	v_add_u32_e32 v3, s2, v3
	v_add_u32_e32 v0, s3, v3
	s_and_saveexec_b64 s[6:7], s[48:49]
	s_cbranch_execz .LBB0_63
.LBB0_85:
	v_cvt_f32_f16_sdwa v9, v111 dst_sel:DWORD dst_unused:UNUSED_PAD src0_sel:WORD_1
	v_cvt_f32_f16_e32 v8, v111
	v_cvt_f32_f16_sdwa v11, v108 dst_sel:DWORD dst_unused:UNUSED_PAD src0_sel:WORD_1
	v_cvt_f32_f16_e32 v10, v108
	s_movk_i32 s8, 0x70
	v_mad_u64_u32 v[4:5], s[8:9], v0, s8, v[104:105]
	v_mov_b32_e32 v5, 0
	v_lshl_add_u64 v[4:5], v[4:5], 2, s[64:65]
	v_pk_mul_f32 v[8:9], v[2:3], v[8:9] op_sel_hi:[0,1]
	v_pk_mul_f32 v[10:11], v[2:3], v[10:11] op_sel_hi:[0,1]
	global_store_dwordx4 v[4:5], v[8:11], off
	s_or_b64 exec, exec, s[6:7]
	s_and_saveexec_b64 s[6:7], s[4:5]
	s_cbranch_execz .LBB0_64
.LBB0_86:
	v_ashrrev_i32_e32 v1, 31, v0
	v_lshl_add_u64 v[0:1], v[0:1], 3, s[66:67]
	v_mov_b32_e32 v4, v6
	v_mov_b32_e32 v5, v18
	global_store_dwordx2 v[0:1], v[4:5], off
	s_or_b64 exec, exec, s[6:7]
	s_and_b64 vcc, exec, s[0:1]
	v_mov_b32_e32 v2, 1.0
	s_cbranch_vccnz .LBB0_65
.LBB0_87:
	v_div_scale_f32 v0, s[0:1], v19, v19, 1.0
	v_rcp_f32_e32 v1, v0
	v_div_scale_f32 v2, vcc, 1.0, v19, 1.0
	v_fma_f32 v4, -v0, v1, 1.0
	v_fmac_f32_e32 v1, v4, v1
	v_mul_f32_e32 v4, v2, v1
	v_fma_f32 v5, -v0, v4, v2
	v_fmac_f32_e32 v4, v5, v1
	v_fma_f32 v0, -v0, v4, v2
	v_div_fmas_f32 v0, v0, v1, v4
	v_div_fixup_f32 v2, v0, v19, 1.0
	s_add_i32 s3, s3, s2
	v_add_u32_e32 v0, s3, v3
	s_and_saveexec_b64 s[0:1], s[48:49]
	s_cbranch_execz .LBB0_66
.LBB0_88:
	v_cvt_f32_f16_sdwa v9, v107 dst_sel:DWORD dst_unused:UNUSED_PAD src0_sel:WORD_1
	v_cvt_f32_f16_e32 v8, v107
	v_cvt_f32_f16_sdwa v11, v109 dst_sel:DWORD dst_unused:UNUSED_PAD src0_sel:WORD_1
	v_cvt_f32_f16_e32 v10, v109
	s_movk_i32 s2, 0x70
	v_mad_u64_u32 v[4:5], s[2:3], v0, s2, v[104:105]
	v_mov_b32_e32 v5, 0
	v_lshl_add_u64 v[4:5], v[4:5], 2, s[64:65]
	v_pk_mul_f32 v[8:9], v[2:3], v[8:9] op_sel_hi:[0,1]
	v_pk_mul_f32 v[10:11], v[2:3], v[10:11] op_sel_hi:[0,1]
	global_store_dwordx4 v[4:5], v[8:11], off
	s_or_b64 exec, exec, s[0:1]
	s_and_b64 exec, exec, s[4:5]
	s_cbranch_execnz .LBB0_67
	s_branch .LBB0_68
	.section	.rodata,"a",@progbits
	.p2align	6, 0x0
	.amdhsa_kernel _ZL15flash_attn_tileILi112ELi112ELi8ELi8ELb0EEvPKcS1_S1_S1_S1_PKiPfP15HIP_vector_typeIfLj2EEffffjfiS5_IjLj3EEiiiiiiiiiiiliiliiiiil
		.amdhsa_group_segment_fixed_size 22592
		.amdhsa_private_segment_fixed_size 0
		.amdhsa_kernarg_size 464
		.amdhsa_user_sgpr_count 2
		.amdhsa_user_sgpr_dispatch_ptr 0
		.amdhsa_user_sgpr_queue_ptr 0
		.amdhsa_user_sgpr_kernarg_segment_ptr 1
		.amdhsa_user_sgpr_dispatch_id 0
		.amdhsa_user_sgpr_kernarg_preload_length 0
		.amdhsa_user_sgpr_kernarg_preload_offset 0
		.amdhsa_user_sgpr_private_segment_size 0
		.amdhsa_uses_dynamic_stack 0
		.amdhsa_enable_private_segment 0
		.amdhsa_system_sgpr_workgroup_id_x 1
		.amdhsa_system_sgpr_workgroup_id_y 1
		.amdhsa_system_sgpr_workgroup_id_z 1
		.amdhsa_system_sgpr_workgroup_info 0
		.amdhsa_system_vgpr_workitem_id 1
		.amdhsa_next_free_vgpr 192
		.amdhsa_next_free_sgpr 78
		.amdhsa_accum_offset 192
		.amdhsa_reserve_vcc 1
		.amdhsa_float_round_mode_32 0
		.amdhsa_float_round_mode_16_64 0
		.amdhsa_float_denorm_mode_32 3
		.amdhsa_float_denorm_mode_16_64 3
		.amdhsa_dx10_clamp 1
		.amdhsa_ieee_mode 1
		.amdhsa_fp16_overflow 0
		.amdhsa_tg_split 0
		.amdhsa_exception_fp_ieee_invalid_op 0
		.amdhsa_exception_fp_denorm_src 0
		.amdhsa_exception_fp_ieee_div_zero 0
		.amdhsa_exception_fp_ieee_overflow 0
		.amdhsa_exception_fp_ieee_underflow 0
		.amdhsa_exception_fp_ieee_inexact 0
		.amdhsa_exception_int_div_zero 0
	.end_amdhsa_kernel
	.section	.text._ZL15flash_attn_tileILi112ELi112ELi8ELi8ELb0EEvPKcS1_S1_S1_S1_PKiPfP15HIP_vector_typeIfLj2EEffffjfiS5_IjLj3EEiiiiiiiiiiiliiliiiiil,"axG",@progbits,_ZL15flash_attn_tileILi112ELi112ELi8ELi8ELb0EEvPKcS1_S1_S1_S1_PKiPfP15HIP_vector_typeIfLj2EEffffjfiS5_IjLj3EEiiiiiiiiiiiliiliiiiil,comdat
.Lfunc_end0:
	.size	_ZL15flash_attn_tileILi112ELi112ELi8ELi8ELb0EEvPKcS1_S1_S1_S1_PKiPfP15HIP_vector_typeIfLj2EEffffjfiS5_IjLj3EEiiiiiiiiiiiliiliiiiil, .Lfunc_end0-_ZL15flash_attn_tileILi112ELi112ELi8ELi8ELb0EEvPKcS1_S1_S1_S1_PKiPfP15HIP_vector_typeIfLj2EEffffjfiS5_IjLj3EEiiiiiiiiiiiliiliiiiil
                                        ; -- End function
	.section	.AMDGPU.csdata,"",@progbits
; Kernel info:
; codeLenInByte = 21340
; NumSgprs: 84
; NumVgprs: 192
; NumAgprs: 0
; TotalNumVgprs: 192
; ScratchSize: 0
; MemoryBound: 0
; FloatMode: 240
; IeeeMode: 1
; LDSByteSize: 22592 bytes/workgroup (compile time only)
; SGPRBlocks: 10
; VGPRBlocks: 23
; NumSGPRsForWavesPerEU: 84
; NumVGPRsForWavesPerEU: 192
; AccumOffset: 192
; Occupancy: 2
; WaveLimiterHint : 1
; COMPUTE_PGM_RSRC2:SCRATCH_EN: 0
; COMPUTE_PGM_RSRC2:USER_SGPR: 2
; COMPUTE_PGM_RSRC2:TRAP_HANDLER: 0
; COMPUTE_PGM_RSRC2:TGID_X_EN: 1
; COMPUTE_PGM_RSRC2:TGID_Y_EN: 1
; COMPUTE_PGM_RSRC2:TGID_Z_EN: 1
; COMPUTE_PGM_RSRC2:TIDIG_COMP_CNT: 1
; COMPUTE_PGM_RSRC3_GFX90A:ACCUM_OFFSET: 47
; COMPUTE_PGM_RSRC3_GFX90A:TG_SPLIT: 0
	.section	.text._ZL25flash_attn_mask_to_KV_maxILi8EEvPK7__half2Piiii,"axG",@progbits,_ZL25flash_attn_mask_to_KV_maxILi8EEvPK7__half2Piiii,comdat
	.globl	_ZL25flash_attn_mask_to_KV_maxILi8EEvPK7__half2Piiii ; -- Begin function _ZL25flash_attn_mask_to_KV_maxILi8EEvPK7__half2Piiii
	.p2align	8
	.type	_ZL25flash_attn_mask_to_KV_maxILi8EEvPK7__half2Piiii,@function
_ZL25flash_attn_mask_to_KV_maxILi8EEvPK7__half2Piiii: ; @_ZL25flash_attn_mask_to_KV_maxILi8EEvPK7__half2Piiii
; %bb.0:
	s_load_dwordx4 s[4:7], s[0:1], 0x0
	v_cmp_gt_u32_e32 vcc, 32, v0
	s_and_saveexec_b64 s[8:9], vcc
	s_cbranch_execz .LBB1_2
; %bb.1:
	v_lshlrev_b32_e32 v1, 2, v0
	v_mov_b32_e32 v2, 1
	ds_write_b32 v1, v2
.LBB1_2:
	s_or_b64 exec, exec, s[8:9]
	s_load_dwordx4 s[8:11], s[0:1], 0x10
	s_load_dword s33, s[0:1], 0x20
	v_and_b32_e32 v2, 31, v0
	v_lshlrev_b32_e32 v6, 2, v2
	v_lshrrev_b32_e32 v1, 3, v0
	s_waitcnt lgkmcnt(0)
	s_mul_i32 s1, s2, s9
	s_mul_i32 s0, s3, s10
	s_lshl_b32 s1, s1, 3
	s_add_i32 s0, s0, s1
	s_ashr_i32 s1, s0, 31
	s_lshl_b64 s[0:1], s[0:1], 2
	s_add_u32 s10, s4, s0
	s_addc_u32 s11, s5, s1
	v_cmp_eq_u32_e64 s[0:1], 0, v2
	v_mbcnt_lo_u32_b32 v2, -1, 0
	v_mbcnt_hi_u32_b32 v7, -1, v2
	v_and_b32_e32 v2, 0x60, v7
	s_lshl_b32 s8, s8, 8
	s_mov_b64 s[12:13], 0
	v_mov_b32_e32 v3, 0
	s_movk_i32 s44, 0x204
	s_movk_i32 s45, 0x7fff
	;; [unrolled: 1-line block ×3, first 2 shown]
	v_add_u32_e32 v8, 32, v2
	v_xor_b32_e32 v9, 16, v7
	v_xor_b32_e32 v10, 8, v7
	;; [unrolled: 1-line block ×5, first 2 shown]
	s_barrier
	s_waitcnt lgkmcnt(0)
                                        ; implicit-def: $sgpr4_sgpr5
	s_branch .LBB1_5
.LBB1_3:                                ;   in Loop: Header=BB1_5 Depth=1
	s_or_b64 exec, exec, s[14:15]
	s_waitcnt lgkmcnt(0)
	s_barrier
	ds_read_b32 v16, v6
	s_waitcnt lgkmcnt(0)
	s_barrier
	ds_bpermute_b32 v2, v2, v16
	v_cmp_ne_u32_e32 vcc, 0, v16
	s_waitcnt lgkmcnt(0)
	v_cmp_ne_u32_e64 s[4:5], 0, v2
	s_and_b64 s[4:5], vcc, s[4:5]
	s_nop 0
	v_cndmask_b32_e64 v2, 0, 1, s[4:5]
	ds_bpermute_b32 v2, v4, v2
	s_waitcnt lgkmcnt(0)
	v_cmp_ne_u32_e32 vcc, 0, v2
	s_and_b64 s[4:5], vcc, s[4:5]
	v_cndmask_b32_e64 v2, 0, 1, s[4:5]
	ds_bpermute_b32 v2, v5, v2
	s_waitcnt lgkmcnt(0)
	v_cmp_ne_u32_e32 vcc, 0, v2
	s_and_b64 s[4:5], vcc, s[4:5]
	;; [unrolled: 5-line block ×3, first 2 shown]
	v_cndmask_b32_e64 v2, 0, 1, s[4:5]
	ds_bpermute_b32 v2, v15, v2
	s_xor_b64 s[4:5], s[4:5], -1
	s_waitcnt lgkmcnt(0)
	v_cmp_eq_u32_e32 vcc, 0, v2
	s_or_b64 s[4:5], vcc, s[4:5]
.LBB1_4:                                ;   in Loop: Header=BB1_5 Depth=1
	s_and_b64 s[14:15], exec, s[4:5]
	s_or_b64 s[12:13], s[14:15], s[12:13]
	v_mov_b32_e32 v2, s8
	s_mov_b32 s8, s47
	s_andn2_b64 exec, exec, s[12:13]
	s_cbranch_execz .LBB1_36
.LBB1_5:                                ; =>This Inner Loop Header: Depth=1
	s_add_i32 s47, s8, 0xffffff00
	s_or_b64 s[4:5], s[4:5], exec
	s_cmp_lt_i32 s47, 0
	s_cbranch_scc1 .LBB1_4
; %bb.6:                                ;   in Loop: Header=BB1_5 Depth=1
	s_lshr_b32 s4, s47, 1
	v_add_u32_e32 v2, s4, v0
	v_lshl_add_u64 v[4:5], v[2:3], 2, s[10:11]
	global_load_dword v4, v[4:5], off
	s_mov_b64 s[14:15], 0
	s_waitcnt vmcnt(0)
	v_cmp_class_f16_e64 s[4:5], v4, s44
	v_and_b32_sdwa v4, s45, v4 dst_sel:DWORD dst_unused:UNUSED_PAD src0_sel:DWORD src1_sel:WORD_1
	v_cmp_eq_f16_e32 vcc, s46, v4
	s_and_b64 s[16:17], s[4:5], vcc
	s_and_saveexec_b64 s[4:5], s[16:17]
	s_cbranch_execz .LBB1_34
; %bb.7:                                ;   in Loop: Header=BB1_5 Depth=1
	v_add_u32_e32 v4, s9, v2
	v_ashrrev_i32_e32 v5, 31, v4
	v_lshl_add_u64 v[14:15], v[4:5], 2, s[10:11]
	global_load_dword v2, v[14:15], off
	s_mov_b64 s[16:17], 0
	s_waitcnt vmcnt(0)
	v_cmp_class_f16_e64 s[18:19], v2, s44
	s_and_saveexec_b64 s[14:15], s[18:19]
	s_cbranch_execz .LBB1_33
; %bb.8:                                ;   in Loop: Header=BB1_5 Depth=1
	v_cmp_class_f16_sdwa s[20:21], v2, s44 src0_sel:WORD_1 src1_sel:DWORD
	s_mov_b64 s[18:19], 0
	s_and_saveexec_b64 s[16:17], s[20:21]
	s_cbranch_execz .LBB1_32
; %bb.9:                                ;   in Loop: Header=BB1_5 Depth=1
	v_add_u32_e32 v4, s9, v4
	v_ashrrev_i32_e32 v5, 31, v4
	v_lshl_add_u64 v[14:15], v[4:5], 2, s[10:11]
	global_load_dword v2, v[14:15], off
	s_mov_b64 s[20:21], 0
	s_waitcnt vmcnt(0)
	v_cmp_class_f16_e64 s[22:23], v2, s44
	s_and_saveexec_b64 s[18:19], s[22:23]
	s_cbranch_execz .LBB1_31
; %bb.10:                               ;   in Loop: Header=BB1_5 Depth=1
	v_cmp_class_f16_sdwa s[24:25], v2, s44 src0_sel:WORD_1 src1_sel:DWORD
	s_mov_b64 s[22:23], 0
	s_and_saveexec_b64 s[20:21], s[24:25]
	s_cbranch_execz .LBB1_30
; %bb.11:                               ;   in Loop: Header=BB1_5 Depth=1
	v_add_u32_e32 v4, s9, v4
	v_ashrrev_i32_e32 v5, 31, v4
	v_lshl_add_u64 v[14:15], v[4:5], 2, s[10:11]
	global_load_dword v2, v[14:15], off
	s_mov_b64 s[24:25], 0
	s_waitcnt vmcnt(0)
	v_cmp_class_f16_e64 s[26:27], v2, s44
	s_and_saveexec_b64 s[22:23], s[26:27]
	s_cbranch_execz .LBB1_29
; %bb.12:                               ;   in Loop: Header=BB1_5 Depth=1
	v_cmp_class_f16_sdwa s[28:29], v2, s44 src0_sel:WORD_1 src1_sel:DWORD
	s_mov_b64 s[26:27], 0
	s_and_saveexec_b64 s[24:25], s[28:29]
	s_cbranch_execz .LBB1_28
; %bb.13:                               ;   in Loop: Header=BB1_5 Depth=1
	;; [unrolled: 15-line block ×5, first 2 shown]
	v_add_u32_e32 v4, s9, v4
	v_ashrrev_i32_e32 v5, 31, v4
	v_lshl_add_u64 v[4:5], v[4:5], 2, s[10:11]
	global_load_dword v2, v[4:5], off
	s_waitcnt vmcnt(0)
	v_cmp_class_f16_e64 s[48:49], v2, s44
	s_and_saveexec_b64 s[42:43], s[48:49]
; %bb.20:                               ;   in Loop: Header=BB1_5 Depth=1
	v_cmp_class_f16_sdwa s[40:41], v2, s44 src0_sel:WORD_1 src1_sel:DWORD
	s_and_b64 s[40:41], s[40:41], exec
; %bb.21:                               ;   in Loop: Header=BB1_5 Depth=1
	s_or_b64 exec, exec, s[42:43]
	s_and_b64 s[40:41], s[40:41], exec
.LBB1_22:                               ;   in Loop: Header=BB1_5 Depth=1
	s_or_b64 exec, exec, s[38:39]
	s_and_b64 s[38:39], s[40:41], exec
.LBB1_23:                               ;   in Loop: Header=BB1_5 Depth=1
	s_or_b64 exec, exec, s[36:37]
	s_and_b64 s[36:37], s[38:39], exec
.LBB1_24:                               ;   in Loop: Header=BB1_5 Depth=1
	s_or_b64 exec, exec, s[34:35]
	s_and_b64 s[34:35], s[36:37], exec
.LBB1_25:                               ;   in Loop: Header=BB1_5 Depth=1
	s_or_b64 exec, exec, s[30:31]
	s_and_b64 s[30:31], s[34:35], exec
.LBB1_26:                               ;   in Loop: Header=BB1_5 Depth=1
	s_or_b64 exec, exec, s[28:29]
	s_and_b64 s[28:29], s[30:31], exec
.LBB1_27:                               ;   in Loop: Header=BB1_5 Depth=1
	s_or_b64 exec, exec, s[26:27]
	s_and_b64 s[26:27], s[28:29], exec
.LBB1_28:                               ;   in Loop: Header=BB1_5 Depth=1
	s_or_b64 exec, exec, s[24:25]
	s_and_b64 s[24:25], s[26:27], exec
.LBB1_29:                               ;   in Loop: Header=BB1_5 Depth=1
	s_or_b64 exec, exec, s[22:23]
	s_and_b64 s[22:23], s[24:25], exec
.LBB1_30:                               ;   in Loop: Header=BB1_5 Depth=1
	s_or_b64 exec, exec, s[20:21]
	s_and_b64 s[20:21], s[22:23], exec
.LBB1_31:                               ;   in Loop: Header=BB1_5 Depth=1
	s_or_b64 exec, exec, s[18:19]
	s_and_b64 s[18:19], s[20:21], exec
.LBB1_32:                               ;   in Loop: Header=BB1_5 Depth=1
	s_or_b64 exec, exec, s[16:17]
	s_and_b64 s[16:17], s[18:19], exec
.LBB1_33:                               ;   in Loop: Header=BB1_5 Depth=1
	s_or_b64 exec, exec, s[14:15]
	s_and_b64 s[14:15], s[16:17], exec
.LBB1_34:                               ;   in Loop: Header=BB1_5 Depth=1
	s_or_b64 exec, exec, s[4:5]
	v_cmp_lt_i32_e32 vcc, v9, v8
	v_cndmask_b32_e64 v4, 0, 1, s[14:15]
	s_nop 0
	v_cndmask_b32_e32 v2, v7, v9, vcc
	v_lshlrev_b32_e32 v2, 2, v2
	ds_bpermute_b32 v4, v2, v4
	s_waitcnt lgkmcnt(0)
	v_cmp_ne_u32_e32 vcc, 0, v4
	s_and_b64 s[4:5], s[14:15], vcc
	v_cmp_lt_i32_e32 vcc, v10, v8
	v_cndmask_b32_e64 v5, 0, 1, s[4:5]
	s_nop 0
	v_cndmask_b32_e32 v4, v7, v10, vcc
	v_lshlrev_b32_e32 v4, 2, v4
	ds_bpermute_b32 v5, v4, v5
	s_waitcnt lgkmcnt(0)
	v_cmp_ne_u32_e32 vcc, 0, v5
	s_and_b64 s[4:5], vcc, s[4:5]
	v_cmp_lt_i32_e32 vcc, v11, v8
	v_cndmask_b32_e64 v14, 0, 1, s[4:5]
	s_nop 0
	v_cndmask_b32_e32 v5, v7, v11, vcc
	v_lshlrev_b32_e32 v5, 2, v5
	ds_bpermute_b32 v14, v5, v14
	s_waitcnt lgkmcnt(0)
	v_cmp_ne_u32_e32 vcc, 0, v14
	s_and_b64 s[4:5], vcc, s[4:5]
	;; [unrolled: 9-line block ×3, first 2 shown]
	v_cmp_lt_i32_e32 vcc, v13, v8
	v_cndmask_b32_e64 v16, 0, 1, s[4:5]
	s_nop 0
	v_cndmask_b32_e32 v15, v7, v13, vcc
	v_lshlrev_b32_e32 v15, 2, v15
	ds_bpermute_b32 v16, v15, v16
	s_and_saveexec_b64 s[14:15], s[0:1]
	s_cbranch_execz .LBB1_3
; %bb.35:                               ;   in Loop: Header=BB1_5 Depth=1
	s_waitcnt lgkmcnt(0)
	v_cmp_ne_u32_e32 vcc, 0, v16
	s_and_b64 s[4:5], vcc, s[4:5]
	v_cndmask_b32_e64 v16, 0, 1, s[4:5]
	ds_write_b32 v1, v16
	s_branch .LBB1_3
.LBB1_36:
	s_or_b64 exec, exec, s[12:13]
	v_cmp_eq_u32_e32 vcc, 0, v0
	s_and_saveexec_b64 s[0:1], vcc
	s_cbranch_execz .LBB1_38
; %bb.37:
	s_mul_i32 s0, s33, s3
	s_add_i32 s0, s0, s2
	s_ashr_i32 s1, s0, 31
	s_lshl_b64 s[0:1], s[0:1], 2
	s_add_u32 s0, s6, s0
	s_addc_u32 s1, s7, s1
	v_mov_b32_e32 v0, 0
	global_store_dword v0, v2, s[0:1]
.LBB1_38:
	s_endpgm
	.section	.rodata,"a",@progbits
	.p2align	6, 0x0
	.amdhsa_kernel _ZL25flash_attn_mask_to_KV_maxILi8EEvPK7__half2Piiii
		.amdhsa_group_segment_fixed_size 128
		.amdhsa_private_segment_fixed_size 0
		.amdhsa_kernarg_size 288
		.amdhsa_user_sgpr_count 2
		.amdhsa_user_sgpr_dispatch_ptr 0
		.amdhsa_user_sgpr_queue_ptr 0
		.amdhsa_user_sgpr_kernarg_segment_ptr 1
		.amdhsa_user_sgpr_dispatch_id 0
		.amdhsa_user_sgpr_kernarg_preload_length 0
		.amdhsa_user_sgpr_kernarg_preload_offset 0
		.amdhsa_user_sgpr_private_segment_size 0
		.amdhsa_uses_dynamic_stack 0
		.amdhsa_enable_private_segment 0
		.amdhsa_system_sgpr_workgroup_id_x 1
		.amdhsa_system_sgpr_workgroup_id_y 1
		.amdhsa_system_sgpr_workgroup_id_z 0
		.amdhsa_system_sgpr_workgroup_info 0
		.amdhsa_system_vgpr_workitem_id 0
		.amdhsa_next_free_vgpr 17
		.amdhsa_next_free_sgpr 50
		.amdhsa_accum_offset 20
		.amdhsa_reserve_vcc 1
		.amdhsa_float_round_mode_32 0
		.amdhsa_float_round_mode_16_64 0
		.amdhsa_float_denorm_mode_32 3
		.amdhsa_float_denorm_mode_16_64 3
		.amdhsa_dx10_clamp 1
		.amdhsa_ieee_mode 1
		.amdhsa_fp16_overflow 0
		.amdhsa_tg_split 0
		.amdhsa_exception_fp_ieee_invalid_op 0
		.amdhsa_exception_fp_denorm_src 0
		.amdhsa_exception_fp_ieee_div_zero 0
		.amdhsa_exception_fp_ieee_overflow 0
		.amdhsa_exception_fp_ieee_underflow 0
		.amdhsa_exception_fp_ieee_inexact 0
		.amdhsa_exception_int_div_zero 0
	.end_amdhsa_kernel
	.section	.text._ZL25flash_attn_mask_to_KV_maxILi8EEvPK7__half2Piiii,"axG",@progbits,_ZL25flash_attn_mask_to_KV_maxILi8EEvPK7__half2Piiii,comdat
.Lfunc_end1:
	.size	_ZL25flash_attn_mask_to_KV_maxILi8EEvPK7__half2Piiii, .Lfunc_end1-_ZL25flash_attn_mask_to_KV_maxILi8EEvPK7__half2Piiii
                                        ; -- End function
	.section	.AMDGPU.csdata,"",@progbits
; Kernel info:
; codeLenInByte = 1352
; NumSgprs: 56
; NumVgprs: 17
; NumAgprs: 0
; TotalNumVgprs: 17
; ScratchSize: 0
; MemoryBound: 0
; FloatMode: 240
; IeeeMode: 1
; LDSByteSize: 128 bytes/workgroup (compile time only)
; SGPRBlocks: 6
; VGPRBlocks: 2
; NumSGPRsForWavesPerEU: 56
; NumVGPRsForWavesPerEU: 17
; AccumOffset: 20
; Occupancy: 8
; WaveLimiterHint : 0
; COMPUTE_PGM_RSRC2:SCRATCH_EN: 0
; COMPUTE_PGM_RSRC2:USER_SGPR: 2
; COMPUTE_PGM_RSRC2:TRAP_HANDLER: 0
; COMPUTE_PGM_RSRC2:TGID_X_EN: 1
; COMPUTE_PGM_RSRC2:TGID_Y_EN: 1
; COMPUTE_PGM_RSRC2:TGID_Z_EN: 0
; COMPUTE_PGM_RSRC2:TIDIG_COMP_CNT: 0
; COMPUTE_PGM_RSRC3_GFX90A:ACCUM_OFFSET: 4
; COMPUTE_PGM_RSRC3_GFX90A:TG_SPLIT: 0
	.section	.text._ZL33flash_attn_stream_k_fixup_uniformILi112ELi8ELi8EEvPfPK15HIP_vector_typeIfLj2EEiiiiiiS1_IjLj3EES5_S5_,"axG",@progbits,_ZL33flash_attn_stream_k_fixup_uniformILi112ELi8ELi8EEvPfPK15HIP_vector_typeIfLj2EEiiiiiiS1_IjLj3EES5_S5_,comdat
	.globl	_ZL33flash_attn_stream_k_fixup_uniformILi112ELi8ELi8EEvPfPK15HIP_vector_typeIfLj2EEiiiiiiS1_IjLj3EES5_S5_ ; -- Begin function _ZL33flash_attn_stream_k_fixup_uniformILi112ELi8ELi8EEvPfPK15HIP_vector_typeIfLj2EEiiiiiiS1_IjLj3EES5_S5_
	.p2align	8
	.type	_ZL33flash_attn_stream_k_fixup_uniformILi112ELi8ELi8EEvPfPK15HIP_vector_typeIfLj2EEiiiiiiS1_IjLj3EES5_S5_,@function
_ZL33flash_attn_stream_k_fixup_uniformILi112ELi8ELi8EEvPfPK15HIP_vector_typeIfLj2EEiiiiiiS1_IjLj3EES5_S5_: ; @_ZL33flash_attn_stream_k_fixup_uniformILi112ELi8ELi8EEvPfPK15HIP_vector_typeIfLj2EEiiiiiiS1_IjLj3EES5_S5_
; %bb.0:
	s_load_dwordx8 s[8:15], s[0:1], 0x1c
	s_load_dwordx2 s[6:7], s[0:1], 0x10
	s_load_dwordx4 s[16:19], s[0:1], 0x3c
	s_waitcnt lgkmcnt(0)
	s_mul_hi_u32 s5, s11, s2
	s_add_i32 s5, s2, s5
	s_lshr_b32 s5, s5, s12
	s_mul_i32 s11, s5, s13
	s_sub_i32 s12, s2, s11
	s_mul_hi_u32 s11, s12, s14
	s_add_i32 s11, s12, s11
	s_lshr_b32 s11, s11, s15
	s_mul_i32 s13, s11, s16
	s_sub_i32 s12, s12, s13
	;; [unrolled: 5-line block ×3, first 2 shown]
	s_lshl_b32 s12, s16, 3
	s_lshl_b32 s17, s13, 3
	s_add_i32 s12, s12, s3
	s_cmp_lt_i32 s12, s6
	s_cselect_b64 s[12:13], -1, 0
	s_add_i32 s17, s17, s4
	s_cmp_lt_i32 s17, s9
	s_cselect_b64 s[14:15], -1, 0
	s_and_b64 s[12:13], s[12:13], s[14:15]
	s_andn2_b64 vcc, exec, s[12:13]
	s_cbranch_vccnz .LBB2_6
; %bb.1:
	s_load_dwordx4 s[12:15], s[0:1], 0x0
	s_mul_i32 s0, s5, s6
	s_mul_i32 s11, s11, s9
	s_add_i32 s0, s0, s3
	s_mul_i32 s0, s0, s7
	s_add_i32 s5, s17, s11
	;; [unrolled: 2-line block ×3, first 2 shown]
	s_mulk_i32 s1, 0x380
	s_mulk_i32 s0, 0x70
	s_add_i32 s0, s0, s1
	v_add_u32_e32 v4, s0, v0
	s_waitcnt lgkmcnt(0)
	v_mov_b32_e32 v2, s12
	v_mov_b32_e32 v3, s13
	v_ashrrev_i32_e32 v5, 31, v4
	v_lshl_add_u64 v[2:3], v[4:5], 2, v[2:3]
	global_load_dword v7, v[2:3], off
	s_mul_i32 s5, s2, s10
	s_lshl_b32 s11, s3, 3
	s_add_i32 s9, s5, s10
	s_add_i32 s0, s11, s4
	s_lshl_b32 s1, s9, 6
	s_add_i32 s0, s0, s1
	s_sub_i32 s0, s0, 64
	s_ashr_i32 s1, s0, 31
	s_lshl_b64 s[0:1], s[0:1], 3
	s_add_u32 s0, s14, s0
	s_addc_u32 s1, s15, s1
	s_load_dword s12, s[0:1], 0x4
	s_add_i32 s6, s9, -2
	s_cmp_lt_i32 s6, s5
	s_cbranch_scc1 .LBB2_4
; %bb.2:
	s_lshl_b32 s6, s8, 8
	s_ashr_i32 s7, s6, 31
	s_lshl_b64 s[6:7], s[6:7], 2
	s_add_u32 s6, s14, s6
	s_addc_u32 s7, s15, s7
	s_add_i32 s2, s2, 1
	s_load_dword s0, s[0:1], 0x0
	s_mul_i32 s1, s10, s2
	s_lshl_b32 s2, s1, 6
	s_add_i32 s2, s4, s2
	s_mulk_i32 s3, 0x380
	s_mulk_i32 s4, 0x70
	s_lshl_b32 s8, s8, 6
	s_mulk_i32 s1, 0x1c00
	s_add_i32 s3, s4, s3
	s_add_i32 s2, s2, s8
	s_add_i32 s3, s3, s1
	s_add_i32 s2, s2, s11
	v_add_u32_e32 v0, s3, v0
	s_add_i32 s9, s9, -1
	s_addk_i32 s2, 0xff80
	v_add_u32_e32 v0, 0xffffc800, v0
	s_waitcnt lgkmcnt(0)
	v_mov_b32_e32 v6, s12
	v_mov_b32_e32 v5, s0
	s_mov_b32 s4, 0x3fb8aa3b
	s_mov_b32 s8, 0xc2ce8ed0
	;; [unrolled: 1-line block ×3, first 2 shown]
	v_mov_b32_e32 v4, 0x7f800000
	s_mov_b32 s11, 0xc1a00000
.LBB2_3:                                ; =>This Inner Loop Header: Depth=1
	v_ashrrev_i32_e32 v1, 31, v0
	v_lshl_add_u64 v[8:9], v[0:1], 2, s[6:7]
	global_load_dword v1, v[8:9], off
	s_ashr_i32 s3, s2, 31
	s_lshl_b64 s[0:1], s[2:3], 3
	s_add_u32 s0, s14, s0
	s_addc_u32 s1, s15, s1
	s_load_dwordx2 s[12:13], s[0:1], 0x0
	s_waitcnt vmcnt(1)
	v_mov_b32_e32 v8, v7
	v_max_f32_e32 v7, v5, v5
	v_mov_b32_e32 v9, v6
	s_add_i32 s9, s9, -1
	s_waitcnt lgkmcnt(0)
	v_max_f32_e64 v6, s12, s12
	v_max_f32_e32 v6, v7, v6
	v_sub_f32_e32 v10, s12, v6
	v_sub_f32_e32 v7, v5, v6
	v_mul_f32_e32 v11, 0x3fb8aa3b, v10
	v_mov_b32_e32 v5, v6
	v_mul_f32_e32 v6, 0x3fb8aa3b, v7
	v_fma_f32 v14, v10, s4, -v11
	v_rndne_f32_e32 v15, v11
	v_fma_f32 v12, v7, s4, -v6
	v_rndne_f32_e32 v13, v6
	v_fmac_f32_e32 v14, 0x32a5705f, v10
	v_sub_f32_e32 v11, v11, v15
	v_fmac_f32_e32 v12, 0x32a5705f, v7
	v_sub_f32_e32 v6, v6, v13
	v_add_f32_e32 v11, v11, v14
	v_cvt_i32_f32_e32 v15, v15
	v_add_f32_e32 v6, v6, v12
	v_exp_f32_e32 v11, v11
	v_cvt_i32_f32_e32 v13, v13
	v_exp_f32_e32 v6, v6
	v_cmp_ngt_f32_e32 vcc, s8, v10
	v_ldexp_f32 v11, v11, v15
	v_cmp_ngt_f32_e64 s[0:1], s8, v7
	v_ldexp_f32 v6, v6, v13
	v_cndmask_b32_e32 v11, 0, v11, vcc
	v_cmp_nlt_f32_e32 vcc, s10, v10
	v_cndmask_b32_e64 v6, 0, v6, s[0:1]
	v_cmp_nlt_f32_e64 s[0:1], s10, v7
	v_cndmask_b32_e32 v11, v4, v11, vcc
	v_cmp_le_f32_e32 vcc, s11, v10
	v_cndmask_b32_e64 v6, v4, v6, s[0:1]
	v_cmp_le_f32_e64 s[0:1], s11, v7
	v_cndmask_b32_e32 v7, 0, v11, vcc
	s_sub_i32 s2, s2, 64
	v_cndmask_b32_e64 v10, 0, v6, s[0:1]
	v_mul_f32_e32 v6, s13, v7
	v_add_u32_e32 v0, 0xffffe400, v0
	s_cmp_le_i32 s9, s5
	v_fmac_f32_e32 v6, v9, v10
	s_waitcnt vmcnt(0)
	v_mul_f32_e32 v7, v1, v7
	v_fmac_f32_e32 v7, v8, v10
	s_cbranch_scc0 .LBB2_3
	s_branch .LBB2_5
.LBB2_4:
	s_waitcnt lgkmcnt(0)
	v_mov_b32_e32 v6, s12
.LBB2_5:
	s_waitcnt vmcnt(0)
	v_div_scale_f32 v0, s[0:1], v6, v6, v7
	v_rcp_f32_e32 v1, v0
	v_div_scale_f32 v4, vcc, v7, v6, v7
	v_fma_f32 v5, -v0, v1, 1.0
	v_fmac_f32_e32 v1, v5, v1
	v_mul_f32_e32 v5, v4, v1
	v_fma_f32 v8, -v0, v5, v4
	v_fmac_f32_e32 v5, v8, v1
	v_fma_f32 v0, -v0, v5, v4
	v_div_fmas_f32 v0, v0, v1, v5
	v_div_fixup_f32 v0, v0, v6, v7
	global_store_dword v[2:3], v0, off
.LBB2_6:
	s_endpgm
	.section	.rodata,"a",@progbits
	.p2align	6, 0x0
	.amdhsa_kernel _ZL33flash_attn_stream_k_fixup_uniformILi112ELi8ELi8EEvPfPK15HIP_vector_typeIfLj2EEiiiiiiS1_IjLj3EES5_S5_
		.amdhsa_group_segment_fixed_size 0
		.amdhsa_private_segment_fixed_size 0
		.amdhsa_kernarg_size 76
		.amdhsa_user_sgpr_count 2
		.amdhsa_user_sgpr_dispatch_ptr 0
		.amdhsa_user_sgpr_queue_ptr 0
		.amdhsa_user_sgpr_kernarg_segment_ptr 1
		.amdhsa_user_sgpr_dispatch_id 0
		.amdhsa_user_sgpr_kernarg_preload_length 0
		.amdhsa_user_sgpr_kernarg_preload_offset 0
		.amdhsa_user_sgpr_private_segment_size 0
		.amdhsa_uses_dynamic_stack 0
		.amdhsa_enable_private_segment 0
		.amdhsa_system_sgpr_workgroup_id_x 1
		.amdhsa_system_sgpr_workgroup_id_y 1
		.amdhsa_system_sgpr_workgroup_id_z 1
		.amdhsa_system_sgpr_workgroup_info 0
		.amdhsa_system_vgpr_workitem_id 0
		.amdhsa_next_free_vgpr 16
		.amdhsa_next_free_sgpr 20
		.amdhsa_accum_offset 16
		.amdhsa_reserve_vcc 1
		.amdhsa_float_round_mode_32 0
		.amdhsa_float_round_mode_16_64 0
		.amdhsa_float_denorm_mode_32 3
		.amdhsa_float_denorm_mode_16_64 3
		.amdhsa_dx10_clamp 1
		.amdhsa_ieee_mode 1
		.amdhsa_fp16_overflow 0
		.amdhsa_tg_split 0
		.amdhsa_exception_fp_ieee_invalid_op 0
		.amdhsa_exception_fp_denorm_src 0
		.amdhsa_exception_fp_ieee_div_zero 0
		.amdhsa_exception_fp_ieee_overflow 0
		.amdhsa_exception_fp_ieee_underflow 0
		.amdhsa_exception_fp_ieee_inexact 0
		.amdhsa_exception_int_div_zero 0
	.end_amdhsa_kernel
	.section	.text._ZL33flash_attn_stream_k_fixup_uniformILi112ELi8ELi8EEvPfPK15HIP_vector_typeIfLj2EEiiiiiiS1_IjLj3EES5_S5_,"axG",@progbits,_ZL33flash_attn_stream_k_fixup_uniformILi112ELi8ELi8EEvPfPK15HIP_vector_typeIfLj2EEiiiiiiS1_IjLj3EES5_S5_,comdat
.Lfunc_end2:
	.size	_ZL33flash_attn_stream_k_fixup_uniformILi112ELi8ELi8EEvPfPK15HIP_vector_typeIfLj2EEiiiiiiS1_IjLj3EES5_S5_, .Lfunc_end2-_ZL33flash_attn_stream_k_fixup_uniformILi112ELi8ELi8EEvPfPK15HIP_vector_typeIfLj2EEiiiiiiS1_IjLj3EES5_S5_
                                        ; -- End function
	.section	.AMDGPU.csdata,"",@progbits
; Kernel info:
; codeLenInByte = 836
; NumSgprs: 26
; NumVgprs: 16
; NumAgprs: 0
; TotalNumVgprs: 16
; ScratchSize: 0
; MemoryBound: 0
; FloatMode: 240
; IeeeMode: 1
; LDSByteSize: 0 bytes/workgroup (compile time only)
; SGPRBlocks: 3
; VGPRBlocks: 1
; NumSGPRsForWavesPerEU: 26
; NumVGPRsForWavesPerEU: 16
; AccumOffset: 16
; Occupancy: 8
; WaveLimiterHint : 0
; COMPUTE_PGM_RSRC2:SCRATCH_EN: 0
; COMPUTE_PGM_RSRC2:USER_SGPR: 2
; COMPUTE_PGM_RSRC2:TRAP_HANDLER: 0
; COMPUTE_PGM_RSRC2:TGID_X_EN: 1
; COMPUTE_PGM_RSRC2:TGID_Y_EN: 1
; COMPUTE_PGM_RSRC2:TGID_Z_EN: 1
; COMPUTE_PGM_RSRC2:TIDIG_COMP_CNT: 0
; COMPUTE_PGM_RSRC3_GFX90A:ACCUM_OFFSET: 3
; COMPUTE_PGM_RSRC3_GFX90A:TG_SPLIT: 0
	.section	.text._ZL33flash_attn_stream_k_fixup_generalILi112ELi8ELi8EEvPfPK15HIP_vector_typeIfLj2EEiiiiS1_IjLj3EES5_S5_S5_,"axG",@progbits,_ZL33flash_attn_stream_k_fixup_generalILi112ELi8ELi8EEvPfPK15HIP_vector_typeIfLj2EEiiiiS1_IjLj3EES5_S5_S5_,comdat
	.globl	_ZL33flash_attn_stream_k_fixup_generalILi112ELi8ELi8EEvPfPK15HIP_vector_typeIfLj2EEiiiiS1_IjLj3EES5_S5_S5_ ; -- Begin function _ZL33flash_attn_stream_k_fixup_generalILi112ELi8ELi8EEvPfPK15HIP_vector_typeIfLj2EEiiiiS1_IjLj3EES5_S5_S5_
	.p2align	8
	.type	_ZL33flash_attn_stream_k_fixup_generalILi112ELi8ELi8EEvPfPK15HIP_vector_typeIfLj2EEiiiiS1_IjLj3EES5_S5_S5_,@function
_ZL33flash_attn_stream_k_fixup_generalILi112ELi8ELi8EEvPfPK15HIP_vector_typeIfLj2EEiiiiS1_IjLj3EES5_S5_S5_: ; @_ZL33flash_attn_stream_k_fixup_generalILi112ELi8ELi8EEvPfPK15HIP_vector_typeIfLj2EEiiiiS1_IjLj3EES5_S5_S5_
; %bb.0:
	s_load_dwordx4 s[12:15], s[0:1], 0x10
	s_load_dword s22, s[0:1], 0x50
	s_mov_b32 s8, 0
	s_waitcnt lgkmcnt(0)
	s_mul_hi_i32 s9, s15, s2
	s_cmp_lg_u64 s[8:9], 0
	s_mul_i32 s5, s15, s2
	s_cbranch_scc0 .LBB3_21
; %bb.1:
	v_cvt_f32_u32_e32 v1, s22
	v_cvt_f32_ubyte0_e32 v2, 0
	s_sub_u32 s8, 0, s22
	s_subb_u32 s10, 0, 0
	v_fmamk_f32 v1, v2, 0x4f800000, v1
	v_rcp_f32_e32 v1, v1
	s_nop 0
	v_mul_f32_e32 v1, 0x5f7ffffc, v1
	v_mul_f32_e32 v2, 0x2f800000, v1
	v_trunc_f32_e32 v2, v2
	v_fmamk_f32 v1, v2, 0xcf800000, v1
	v_cvt_u32_f32_e32 v2, v2
	v_cvt_u32_f32_e32 v1, v1
	v_readfirstlane_b32 s11, v2
	v_readfirstlane_b32 s16, v1
	s_mul_i32 s17, s8, s11
	s_mul_hi_u32 s19, s8, s16
	s_mul_i32 s18, s10, s16
	s_add_i32 s17, s19, s17
	s_add_i32 s17, s17, s18
	s_mul_i32 s20, s8, s16
	s_mul_hi_u32 s18, s16, s17
	s_mul_i32 s19, s16, s17
	s_mul_hi_u32 s16, s16, s20
	s_add_u32 s16, s16, s19
	s_addc_u32 s18, 0, s18
	s_mul_hi_u32 s21, s11, s20
	s_mul_i32 s20, s11, s20
	s_add_u32 s16, s16, s20
	s_mul_hi_u32 s19, s11, s17
	s_addc_u32 s16, s18, s21
	s_addc_u32 s18, s19, 0
	s_mul_i32 s17, s11, s17
	s_add_u32 s16, s16, s17
	s_addc_u32 s17, 0, s18
	v_add_co_u32_e32 v1, vcc, s16, v1
	s_cmp_lg_u64 vcc, 0
	s_addc_u32 s11, s11, s17
	v_readfirstlane_b32 s17, v1
	s_mul_i32 s16, s8, s11
	s_mul_hi_u32 s18, s8, s17
	s_add_i32 s16, s18, s16
	s_mul_i32 s10, s10, s17
	s_add_i32 s16, s16, s10
	s_mul_i32 s8, s8, s17
	s_mul_hi_u32 s18, s11, s8
	s_mul_i32 s19, s11, s8
	s_mul_i32 s21, s17, s16
	s_mul_hi_u32 s8, s17, s8
	s_mul_hi_u32 s20, s17, s16
	s_add_u32 s8, s8, s21
	s_addc_u32 s17, 0, s20
	s_add_u32 s8, s8, s19
	s_mul_hi_u32 s10, s11, s16
	s_addc_u32 s8, s17, s18
	s_addc_u32 s10, s10, 0
	s_mul_i32 s16, s11, s16
	s_add_u32 s8, s8, s16
	s_addc_u32 s10, 0, s10
	v_add_co_u32_e32 v1, vcc, s8, v1
	s_cmp_lg_u64 vcc, 0
	s_addc_u32 s16, s11, s10
	s_ashr_i32 s10, s9, 31
	s_add_u32 s8, s5, s10
	s_mov_b32 s11, s10
	s_addc_u32 s9, s9, s10
	s_xor_b64 s[8:9], s[8:9], s[10:11]
	v_readfirstlane_b32 s19, v1
	s_mul_i32 s18, s8, s16
	s_mul_hi_u32 s20, s8, s19
	s_mul_hi_u32 s17, s8, s16
	s_add_u32 s18, s20, s18
	s_addc_u32 s17, 0, s17
	s_mul_hi_u32 s21, s9, s19
	s_mul_i32 s19, s9, s19
	s_add_u32 s18, s18, s19
	s_mul_hi_u32 s20, s9, s16
	s_addc_u32 s17, s17, s21
	s_addc_u32 s18, s20, 0
	s_mul_i32 s16, s9, s16
	s_add_u32 s16, s17, s16
	s_addc_u32 s17, 0, s18
	s_add_u32 s18, s16, 1
	s_addc_u32 s19, s17, 0
	s_add_u32 s20, s16, 2
	s_mul_i32 s23, s22, s17
	s_mul_hi_u32 s24, s22, s16
	s_addc_u32 s21, s17, 0
	s_add_i32 s24, s24, s23
	s_mul_i32 s23, s22, s16
	v_mov_b32_e32 v1, s23
	v_sub_co_u32_e32 v1, vcc, s8, v1
	s_cmp_lg_u64 vcc, 0
	s_subb_u32 s8, s9, s24
	v_subrev_co_u32_e32 v2, vcc, s22, v1
	s_cmp_lg_u64 vcc, 0
	s_subb_u32 s9, s8, 0
	v_readfirstlane_b32 s23, v2
	s_cmp_ge_u32 s23, s22
	s_cselect_b32 s23, -1, 0
	s_cmp_eq_u32 s9, 0
	s_cselect_b32 s9, s23, -1
	s_cmp_lg_u32 s9, 0
	s_cselect_b32 s9, s21, s19
	v_readfirstlane_b32 s19, v1
	s_cselect_b32 s18, s20, s18
	s_cmp_ge_u32 s19, s22
	s_cselect_b32 s19, -1, 0
	s_cmp_eq_u32 s8, 0
	s_cselect_b32 s8, s19, -1
	s_cmp_lg_u32 s8, 0
	s_cselect_b32 s9, s9, s17
	s_cselect_b32 s8, s18, s16
	s_xor_b64 s[8:9], s[8:9], s[10:11]
	s_sub_u32 s20, s8, s10
	s_load_dwordx4 s[16:19], s[0:1], 0x44
	s_cbranch_execnz .LBB3_3
.LBB3_2:
	v_cvt_f32_u32_e32 v1, s22
	s_sub_i32 s6, 0, s22
	v_rcp_iflag_f32_e32 v1, v1
	s_nop 0
	v_mul_f32_e32 v1, 0x4f7ffffe, v1
	v_cvt_u32_f32_e32 v1, v1
	s_nop 0
	v_readfirstlane_b32 s7, v1
	s_mul_i32 s6, s6, s7
	s_mul_hi_u32 s6, s7, s6
	s_add_i32 s7, s7, s6
	s_mul_hi_u32 s6, s5, s7
	s_mul_i32 s8, s6, s22
	s_sub_i32 s5, s5, s8
	s_add_i32 s7, s6, 1
	s_sub_i32 s8, s5, s22
	s_cmp_ge_u32 s5, s22
	s_cselect_b32 s6, s7, s6
	s_cselect_b32 s5, s8, s5
	s_add_i32 s7, s6, 1
	s_cmp_ge_u32 s5, s22
	s_cselect_b32 s20, s7, s6
.LBB3_3:
	s_add_i32 s5, s2, 1
	s_mul_hi_i32 s9, s15, s5
	s_mov_b32 s8, 0
	s_cmp_lg_u64 s[8:9], 0
	s_mul_i32 s5, s15, s5
	s_cbranch_scc0 .LBB3_22
; %bb.4:
	v_cvt_f32_u32_e32 v1, s22
	v_cvt_f32_ubyte0_e32 v2, 0
	s_sub_u32 s8, 0, s22
	s_subb_u32 s10, 0, 0
	v_fmamk_f32 v1, v2, 0x4f800000, v1
	v_rcp_f32_e32 v1, v1
	s_nop 0
	v_mul_f32_e32 v1, 0x5f7ffffc, v1
	v_mul_f32_e32 v2, 0x2f800000, v1
	v_trunc_f32_e32 v2, v2
	v_fmamk_f32 v1, v2, 0xcf800000, v1
	v_cvt_u32_f32_e32 v2, v2
	v_cvt_u32_f32_e32 v1, v1
	v_readfirstlane_b32 s11, v2
	s_waitcnt lgkmcnt(0)
	v_readfirstlane_b32 s19, v1
	s_mul_i32 s21, s8, s11
	s_mul_hi_u32 s24, s8, s19
	s_mul_i32 s23, s10, s19
	s_add_i32 s21, s24, s21
	s_add_i32 s21, s21, s23
	s_mul_i32 s25, s8, s19
	s_mul_hi_u32 s23, s19, s21
	s_mul_i32 s24, s19, s21
	s_mul_hi_u32 s19, s19, s25
	s_add_u32 s19, s19, s24
	s_addc_u32 s23, 0, s23
	s_mul_hi_u32 s26, s11, s25
	s_mul_i32 s25, s11, s25
	s_add_u32 s19, s19, s25
	s_mul_hi_u32 s24, s11, s21
	s_addc_u32 s19, s23, s26
	s_addc_u32 s23, s24, 0
	s_mul_i32 s21, s11, s21
	s_add_u32 s19, s19, s21
	s_addc_u32 s21, 0, s23
	v_add_co_u32_e32 v1, vcc, s19, v1
	s_cmp_lg_u64 vcc, 0
	s_addc_u32 s11, s11, s21
	v_readfirstlane_b32 s21, v1
	s_mul_i32 s19, s8, s11
	s_mul_hi_u32 s23, s8, s21
	s_add_i32 s19, s23, s19
	s_mul_i32 s10, s10, s21
	s_add_i32 s19, s19, s10
	s_mul_i32 s8, s8, s21
	s_mul_hi_u32 s23, s11, s8
	s_mul_i32 s24, s11, s8
	s_mul_i32 s26, s21, s19
	s_mul_hi_u32 s8, s21, s8
	s_mul_hi_u32 s25, s21, s19
	s_add_u32 s8, s8, s26
	s_addc_u32 s21, 0, s25
	s_add_u32 s8, s8, s24
	s_mul_hi_u32 s10, s11, s19
	s_addc_u32 s8, s21, s23
	s_addc_u32 s10, s10, 0
	s_mul_i32 s19, s11, s19
	s_add_u32 s8, s8, s19
	s_addc_u32 s10, 0, s10
	v_add_co_u32_e32 v1, vcc, s8, v1
	s_cmp_lg_u64 vcc, 0
	s_addc_u32 s19, s11, s10
	s_ashr_i32 s10, s9, 31
	s_add_u32 s8, s5, s10
	s_mov_b32 s11, s10
	s_addc_u32 s9, s9, s10
	s_xor_b64 s[8:9], s[8:9], s[10:11]
	v_readfirstlane_b32 s23, v1
	s_mul_i32 s21, s8, s19
	s_mul_hi_u32 s24, s8, s23
	s_mul_hi_u32 s11, s8, s19
	s_add_u32 s21, s24, s21
	s_addc_u32 s11, 0, s11
	s_mul_hi_u32 s25, s9, s23
	s_mul_i32 s23, s9, s23
	s_add_u32 s21, s21, s23
	s_mul_hi_u32 s24, s9, s19
	s_addc_u32 s11, s11, s25
	s_addc_u32 s21, s24, 0
	s_mul_i32 s19, s9, s19
	s_add_u32 s11, s11, s19
	s_addc_u32 s19, 0, s21
	s_mul_i32 s19, s22, s19
	s_mul_hi_u32 s24, s22, s11
	s_add_i32 s24, s24, s19
	s_mul_i32 s19, s22, s11
	v_mov_b32_e32 v1, s19
	s_add_u32 s21, s11, 1
	s_add_u32 s23, s11, 2
	v_sub_co_u32_e32 v1, vcc, s8, v1
	s_cmp_lg_u64 vcc, 0
	s_subb_u32 s8, s9, s24
	v_subrev_co_u32_e32 v2, vcc, s22, v1
	s_cmp_lg_u64 vcc, 0
	s_subb_u32 s9, s8, 0
	v_cmp_le_u32_e32 vcc, s22, v2
	s_cmp_eq_u32 s9, 0
	v_mov_b32_e32 v3, s21
	v_cndmask_b32_e64 v2, 0, -1, vcc
	s_cselect_b64 vcc, -1, 0
	v_cndmask_b32_e32 v2, -1, v2, vcc
	v_mov_b32_e32 v4, s23
	v_cmp_ne_u32_e32 vcc, 0, v2
	s_cmp_eq_u32 s8, 0
	s_nop 0
	v_cndmask_b32_e32 v2, v3, v4, vcc
	v_cmp_le_u32_e32 vcc, s22, v1
	v_mov_b32_e32 v3, s11
	s_nop 0
	v_cndmask_b32_e64 v1, 0, -1, vcc
	s_cselect_b64 vcc, -1, 0
	v_cndmask_b32_e32 v1, -1, v1, vcc
	v_cmp_ne_u32_e32 vcc, 0, v1
	s_nop 1
	v_cndmask_b32_e32 v1, v3, v2, vcc
	v_xor_b32_e32 v1, s10, v1
	v_subrev_co_u32_e32 v2, vcc, s10, v1
	s_cbranch_execnz .LBB3_6
.LBB3_5:
	v_cvt_f32_u32_e32 v1, s22
	s_sub_i32 s6, 0, s22
	s_mov_b32 s7, 0
	v_rcp_iflag_f32_e32 v1, v1
	s_nop 0
	v_mul_f32_e32 v1, 0x4f7ffffe, v1
	v_cvt_u32_f32_e32 v1, v1
	s_nop 0
	v_readfirstlane_b32 s8, v1
	s_mul_i32 s6, s6, s8
	s_mul_hi_u32 s6, s8, s6
	s_add_i32 s8, s8, s6
	s_mul_hi_u32 s6, s5, s8
	s_mul_i32 s9, s6, s22
	s_sub_i32 s5, s5, s9
	s_add_i32 s8, s6, 1
	s_sub_i32 s9, s5, s22
	s_cmp_ge_u32 s5, s22
	s_cselect_b32 s6, s8, s6
	s_cselect_b32 s5, s9, s5
	s_add_i32 s8, s6, 1
	s_cmp_ge_u32 s5, s22
	s_cselect_b32 s6, s8, s6
	v_mov_b64_e32 v[2:3], s[6:7]
.LBB3_6:
	s_waitcnt lgkmcnt(0)
	s_mul_hi_u32 s5, s20, s16
	s_add_i32 s5, s5, s20
	v_mul_hi_u32 v1, v2, s16
	s_lshr_b32 s19, s5, s17
	v_add_u32_e32 v1, v1, v2
	s_mul_i32 s5, s19, s18
	v_lshrrev_b32_e32 v1, s17, v1
	s_cmp_eq_u32 s5, s20
	v_cmp_eq_u32_e64 s[6:7], s19, v1
	v_mul_lo_u32 v1, v1, s18
	v_cmp_eq_u32_e32 vcc, s20, v2
	s_cselect_b64 s[10:11], -1, 0
	v_cmp_ne_u32_e64 s[8:9], v1, v2
	s_and_b64 s[6:7], s[6:7], s[8:9]
	s_or_b64 s[8:9], vcc, s[10:11]
	s_or_b64 s[6:7], s[8:9], s[6:7]
	s_and_b64 vcc, exec, s[6:7]
	s_cbranch_vccnz .LBB3_24
; %bb.7:
	s_load_dwordx8 s[24:31], s[0:1], 0x20
	s_load_dword s5, s[0:1], 0x40
	s_waitcnt lgkmcnt(0)
	s_mul_hi_u32 s6, s20, s24
	s_add_i32 s6, s6, s20
	s_lshr_b32 s7, s6, s25
	s_mul_i32 s6, s7, s26
	s_sub_i32 s6, s20, s6
	s_mul_hi_u32 s8, s6, s27
	s_add_i32 s8, s6, s8
	s_lshr_b32 s23, s8, s28
	s_mul_i32 s8, s23, s29
	s_sub_i32 s6, s6, s8
	;; [unrolled: 5-line block ×3, first 2 shown]
	s_mul_hi_u32 s6, s5, s16
	s_add_i32 s5, s5, s6
	s_lshr_b32 s24, s5, s17
	s_lshl_b32 s5, s24, 3
	s_lshl_b32 s25, s8, 3
	s_add_i32 s5, s5, s3
	s_cmp_lt_i32 s5, s12
	s_cselect_b64 s[8:9], -1, 0
	s_add_i32 s25, s25, s4
	s_cmp_lt_i32 s25, s14
	s_cselect_b64 s[10:11], -1, 0
	s_and_b64 s[8:9], s[8:9], s[10:11]
	s_andn2_b64 vcc, exec, s[8:9]
	s_mov_b32 s6, 0
	s_cbranch_vccnz .LBB3_24
; %bb.8:
	s_load_dwordx4 s[8:11], s[0:1], 0x0
	s_lshl_b32 s21, s3, 3
	s_lshl_b32 s0, s22, 8
	s_mov_b32 s1, s6
	s_add_i32 s21, s21, s4
	s_lshl_b64 s[0:1], s[0:1], 2
	s_waitcnt lgkmcnt(0)
	s_add_u32 s4, s10, s0
	s_mul_i32 s0, s7, s12
	s_addc_u32 s5, s11, s1
	s_mul_i32 s23, s23, s14
	s_add_i32 s0, s0, s3
	s_mul_i32 s0, s0, s13
	s_add_i32 s3, s25, s23
	;; [unrolled: 2-line block ×3, first 2 shown]
	s_mulk_i32 s1, 0x380
	s_mulk_i32 s0, 0x70
	s_add_i32 s1, s1, s0
	v_add_u32_e32 v4, s1, v0
	v_mov_b32_e32 v2, s8
	v_mov_b32_e32 v3, s9
	v_ashrrev_i32_e32 v5, 31, v4
	v_lshl_add_u64 v[2:3], v[4:5], 2, v[2:3]
	global_load_dword v5, v[2:3], off
	s_lshl_b32 s0, s2, 6
	s_add_i32 s0, s21, s0
	s_ashr_i32 s1, s0, 31
	s_lshl_b64 s[0:1], s[0:1], 3
	s_add_u32 s0, s10, s0
	s_addc_u32 s1, s11, s1
	s_add_i32 s12, s2, -1
	s_mul_i32 s2, s21, 0x70
	v_add_u32_e32 v4, s2, v0
	v_cvt_f32_u32_e32 v0, s22
	v_cvt_f32_ubyte0_e32 v1, 0
	s_load_dwordx2 s[0:1], s[0:1], 0x0
	v_mov_b32_e32 v8, s20
	v_fmac_f32_e32 v0, 0x4f800000, v1
	v_rcp_f32_e32 v0, v0
	v_cvt_f32_u32_e32 v1, s22
	s_waitcnt lgkmcnt(0)
	v_mov_b32_e32 v6, s1
	v_mov_b32_e32 v7, s0
	v_mul_f32_e32 v0, 0x5f7ffffc, v0
	v_rcp_iflag_f32_e32 v1, v1
	v_mul_f32_e32 v9, 0x2f800000, v0
	v_trunc_f32_e32 v10, v9
	v_fmac_f32_e32 v0, 0xcf800000, v10
	v_cvt_u32_f32_e32 v9, v0
	v_mul_f32_e32 v0, 0x4f7ffffe, v1
	v_cvt_u32_f32_e32 v10, v10
	v_cvt_u32_f32_e32 v11, v0
	s_mov_b32 s8, 0x3fb8aa3b
	s_mov_b32 s9, 0xc2ce8ed0
	;; [unrolled: 1-line block ×4, first 2 shown]
	v_mov_b32_e32 v12, 0x7f800000
	s_mul_hi_i32 s7, s12, s15
	s_cmp_lg_u64 s[6:7], 0
	s_mul_i32 s2, s12, s15
	s_cbranch_scc0 .LBB3_15
.LBB3_9:
	s_sub_u32 s0, 0, s22
	v_readfirstlane_b32 s3, v9
	v_readfirstlane_b32 s24, v10
	s_subb_u32 s1, 0, 0
	s_mul_hi_u32 s23, s0, s3
	s_mul_i32 s25, s0, s24
	s_mul_i32 s20, s1, s3
	s_add_i32 s23, s23, s25
	s_add_i32 s23, s23, s20
	s_mul_i32 s26, s0, s3
	s_mul_hi_u32 s20, s3, s23
	s_mul_i32 s25, s3, s23
	s_mul_hi_u32 s3, s3, s26
	s_add_u32 s3, s3, s25
	s_addc_u32 s20, 0, s20
	s_mul_hi_u32 s27, s24, s26
	s_mul_i32 s26, s24, s26
	s_add_u32 s3, s3, s26
	s_mul_hi_u32 s25, s24, s23
	s_addc_u32 s3, s20, s27
	s_addc_u32 s20, s25, 0
	s_mul_i32 s23, s24, s23
	s_add_u32 s3, s3, s23
	s_addc_u32 s20, 0, s20
	v_add_co_u32_e32 v0, vcc, s3, v9
	s_cmp_lg_u64 vcc, 0
	s_addc_u32 s3, s24, s20
	v_readfirstlane_b32 s23, v0
	s_mul_i32 s20, s0, s3
	s_mul_hi_u32 s24, s0, s23
	s_add_i32 s20, s24, s20
	s_mul_i32 s1, s1, s23
	s_add_i32 s20, s20, s1
	s_mul_i32 s0, s0, s23
	s_mul_hi_u32 s24, s3, s0
	s_mul_i32 s25, s3, s0
	s_mul_i32 s27, s23, s20
	s_mul_hi_u32 s0, s23, s0
	s_mul_hi_u32 s26, s23, s20
	s_add_u32 s0, s0, s27
	s_addc_u32 s23, 0, s26
	s_add_u32 s0, s0, s25
	s_mul_hi_u32 s1, s3, s20
	s_addc_u32 s0, s23, s24
	s_addc_u32 s1, s1, 0
	s_mul_i32 s20, s3, s20
	s_add_u32 s0, s0, s20
	s_addc_u32 s1, 0, s1
	v_add_co_u32_e32 v0, vcc, s0, v0
	s_cmp_lg_u64 vcc, 0
	s_addc_u32 s3, s3, s1
	s_ashr_i32 s0, s7, 31
	s_add_u32 s24, s2, s0
	s_mov_b32 s1, s0
	s_addc_u32 s25, s7, s0
	s_xor_b64 s[24:25], s[24:25], s[0:1]
	v_readfirstlane_b32 s20, v0
	s_mul_i32 s7, s24, s3
	s_mul_hi_u32 s23, s24, s20
	s_mul_hi_u32 s1, s24, s3
	s_add_u32 s7, s23, s7
	s_addc_u32 s1, 0, s1
	s_mul_hi_u32 s26, s25, s20
	s_mul_i32 s20, s25, s20
	s_add_u32 s7, s7, s20
	s_mul_hi_u32 s23, s25, s3
	s_addc_u32 s1, s1, s26
	s_addc_u32 s7, s23, 0
	s_mul_i32 s3, s25, s3
	s_add_u32 s1, s1, s3
	s_addc_u32 s3, 0, s7
	s_mul_i32 s3, s22, s3
	s_mul_hi_u32 s23, s22, s1
	s_add_i32 s23, s23, s3
	s_mul_i32 s3, s22, s1
	v_mov_b32_e32 v0, s3
	s_add_u32 s7, s1, 1
	s_add_u32 s20, s1, 2
	v_sub_co_u32_e32 v0, vcc, s24, v0
	s_cmp_lg_u64 vcc, 0
	s_subb_u32 s3, s25, s23
	v_subrev_co_u32_e32 v1, vcc, s22, v0
	s_cmp_lg_u64 vcc, 0
	s_subb_u32 s23, s3, 0
	v_cmp_le_u32_e32 vcc, s22, v1
	s_cmp_eq_u32 s23, 0
	v_mov_b32_e32 v13, s7
	v_cndmask_b32_e64 v1, 0, -1, vcc
	s_cselect_b64 vcc, -1, 0
	v_cndmask_b32_e32 v1, -1, v1, vcc
	v_mov_b32_e32 v14, s20
	v_cmp_ne_u32_e32 vcc, 0, v1
	s_cmp_eq_u32 s3, 0
	s_nop 0
	v_cndmask_b32_e32 v1, v13, v14, vcc
	v_cmp_le_u32_e32 vcc, s22, v0
	v_mov_b32_e32 v13, s1
	s_nop 0
	v_cndmask_b32_e64 v0, 0, -1, vcc
	s_cselect_b64 vcc, -1, 0
	v_cndmask_b32_e32 v0, -1, v0, vcc
	v_cmp_ne_u32_e32 vcc, 0, v0
	s_nop 1
	v_cndmask_b32_e32 v0, v13, v1, vcc
	v_xor_b32_e32 v0, s0, v0
	v_subrev_co_u32_e32 v0, vcc, s0, v0
	s_cbranch_execnz .LBB3_11
.LBB3_10:
	s_sub_i32 s0, 0, s22
	v_mul_lo_u32 v0, s0, v11
	v_mul_hi_u32 v0, v11, v0
	v_add_u32_e32 v0, v11, v0
	v_mul_hi_u32 v0, s2, v0
	v_mul_lo_u32 v13, v0, s22
	v_sub_u32_e32 v13, s2, v13
	v_add_u32_e32 v1, 1, v0
	v_subrev_u32_e32 v14, s22, v13
	v_cmp_le_u32_e32 vcc, s22, v13
	s_nop 1
	v_cndmask_b32_e32 v13, v13, v14, vcc
	v_cndmask_b32_e32 v0, v0, v1, vcc
	v_add_u32_e32 v1, 1, v0
	v_cmp_le_u32_e32 vcc, s22, v13
	s_nop 1
	v_cndmask_b32_e32 v0, v0, v1, vcc
.LBB3_11:
	v_cmp_ne_u32_e32 vcc, v8, v0
	s_cbranch_vccz .LBB3_14
; %bb.12:
	s_add_i32 s0, s12, s22
	s_lshl_b32 s0, s0, 6
	v_mul_hi_u32 v1, v0, s16
	s_add_i32 s0, s0, s21
	s_mov_b32 s1, s6
	v_add_u32_e32 v1, v1, v0
	s_lshl_b64 s[0:1], s[0:1], 3
	v_lshrrev_b32_e32 v1, s17, v1
	s_add_u32 s2, s10, s0
	v_mul_lo_u32 v13, v1, s18
	s_addc_u32 s3, s11, s1
	v_cmp_eq_u32_e32 vcc, v13, v0
	v_cmp_gt_u32_e64 s[0:1], s19, v1
	s_or_b64 s[0:1], s[0:1], vcc
	s_and_b64 vcc, exec, s[0:1]
	s_cbranch_vccnz .LBB3_16
; %bb.13:
	s_add_i32 s7, s12, -1
	s_mov_b64 s[0:1], 0
	s_branch .LBB3_17
.LBB3_14:
                                        ; implicit-def: $sgpr0_sgpr1
                                        ; implicit-def: $vgpr14
                                        ; implicit-def: $vgpr1
                                        ; implicit-def: $vgpr13
                                        ; implicit-def: $sgpr7
                                        ; implicit-def: $vgpr0
	s_branch .LBB3_18
.LBB3_15:
                                        ; implicit-def: $vgpr0_vgpr1
	s_branch .LBB3_10
.LBB3_16:
	s_mov_b64 s[0:1], -1
	s_mov_b32 s7, s12
	v_mov_b32_e32 v0, v8
.LBB3_17:
	s_mul_i32 s20, s12, 0x1c00
	v_add_u32_e32 v14, s20, v4
	v_ashrrev_i32_e32 v15, 31, v14
	v_lshl_add_u64 v[14:15], v[14:15], 2, s[4:5]
	global_load_dword v14, v[14:15], off
	s_load_dwordx2 s[2:3], s[2:3], 0x0
	v_max_f32_e32 v1, v7, v7
	s_waitcnt lgkmcnt(0)
	v_max_f32_e64 v13, s2, s2
	v_max_f32_e32 v1, v1, v13
	v_sub_f32_e32 v13, v7, v1
	v_sub_f32_e32 v15, s2, v1
	v_mul_f32_e32 v16, 0x3fb8aa3b, v13
	v_mul_f32_e32 v17, 0x3fb8aa3b, v15
	v_fma_f32 v18, v13, s8, -v16
	v_rndne_f32_e32 v19, v16
	v_fma_f32 v20, v15, s8, -v17
	v_rndne_f32_e32 v21, v17
	v_fmac_f32_e32 v18, 0x32a5705f, v13
	v_sub_f32_e32 v16, v16, v19
	v_fmac_f32_e32 v20, 0x32a5705f, v15
	v_sub_f32_e32 v17, v17, v21
	v_add_f32_e32 v16, v16, v18
	v_cvt_i32_f32_e32 v19, v19
	v_add_f32_e32 v17, v17, v20
	v_exp_f32_e32 v16, v16
	v_cvt_i32_f32_e32 v21, v21
	v_exp_f32_e32 v17, v17
	v_cmp_ngt_f32_e32 vcc, s9, v13
	v_ldexp_f32 v16, v16, v19
	v_ldexp_f32 v17, v17, v21
	v_cndmask_b32_e32 v16, 0, v16, vcc
	v_cmp_ngt_f32_e32 vcc, s9, v15
	s_nop 1
	v_cndmask_b32_e32 v17, 0, v17, vcc
	v_cmp_nlt_f32_e32 vcc, s13, v13
	s_nop 1
	v_cndmask_b32_e32 v16, v12, v16, vcc
	v_cmp_nlt_f32_e32 vcc, s13, v15
	s_nop 1
	v_cndmask_b32_e32 v17, v12, v17, vcc
	v_cmp_le_f32_e32 vcc, s14, v13
	s_nop 1
	v_cndmask_b32_e32 v16, 0, v16, vcc
	v_cmp_le_f32_e32 vcc, s14, v15
	s_nop 1
	v_cndmask_b32_e32 v15, 0, v17, vcc
	v_mul_f32_e32 v13, s3, v15
	v_fmac_f32_e32 v13, v6, v16
	s_waitcnt vmcnt(0)
	v_mul_f32_e32 v14, v14, v15
	v_fmac_f32_e32 v14, v5, v16
	s_cbranch_execnz .LBB3_19
.LBB3_18:
	s_add_i32 s7, s12, -1
	s_mov_b64 s[0:1], 0
	v_mov_b32_e32 v0, v8
	v_mov_b32_e32 v13, v6
	;; [unrolled: 1-line block ×3, first 2 shown]
	s_waitcnt vmcnt(0)
	v_mov_b32_e32 v14, v5
.LBB3_19:
	s_andn2_b64 vcc, exec, s[0:1]
	s_cbranch_vccz .LBB3_23
; %bb.20:
	v_mov_b32_e32 v8, v0
	s_mov_b32 s12, s7
	v_mov_b32_e32 v6, v13
	v_mov_b32_e32 v7, v1
	s_waitcnt vmcnt(0)
	v_mov_b32_e32 v5, v14
	s_mul_hi_i32 s7, s12, s15
	s_cmp_lg_u64 s[6:7], 0
	s_mul_i32 s2, s12, s15
	s_cbranch_scc1 .LBB3_9
	s_branch .LBB3_15
.LBB3_21:
                                        ; implicit-def: $sgpr20_sgpr21
	s_load_dwordx4 s[16:19], s[0:1], 0x44
	s_branch .LBB3_2
.LBB3_22:
                                        ; implicit-def: $vgpr2_vgpr3
	s_branch .LBB3_5
.LBB3_23:
	v_div_scale_f32 v0, s[0:1], v13, v13, v14
	v_rcp_f32_e32 v1, v0
	v_div_scale_f32 v4, vcc, v14, v13, v14
	s_waitcnt vmcnt(0)
	v_fma_f32 v5, -v0, v1, 1.0
	v_fmac_f32_e32 v1, v5, v1
	v_mul_f32_e32 v5, v4, v1
	v_fma_f32 v6, -v0, v5, v4
	v_fmac_f32_e32 v5, v6, v1
	v_fma_f32 v0, -v0, v5, v4
	v_div_fmas_f32 v0, v0, v1, v5
	v_div_fixup_f32 v0, v0, v13, v14
	global_store_dword v[2:3], v0, off
.LBB3_24:
	s_endpgm
	.section	.rodata,"a",@progbits
	.p2align	6, 0x0
	.amdhsa_kernel _ZL33flash_attn_stream_k_fixup_generalILi112ELi8ELi8EEvPfPK15HIP_vector_typeIfLj2EEiiiiS1_IjLj3EES5_S5_S5_
		.amdhsa_group_segment_fixed_size 0
		.amdhsa_private_segment_fixed_size 0
		.amdhsa_kernarg_size 336
		.amdhsa_user_sgpr_count 2
		.amdhsa_user_sgpr_dispatch_ptr 0
		.amdhsa_user_sgpr_queue_ptr 0
		.amdhsa_user_sgpr_kernarg_segment_ptr 1
		.amdhsa_user_sgpr_dispatch_id 0
		.amdhsa_user_sgpr_kernarg_preload_length 0
		.amdhsa_user_sgpr_kernarg_preload_offset 0
		.amdhsa_user_sgpr_private_segment_size 0
		.amdhsa_uses_dynamic_stack 0
		.amdhsa_enable_private_segment 0
		.amdhsa_system_sgpr_workgroup_id_x 1
		.amdhsa_system_sgpr_workgroup_id_y 1
		.amdhsa_system_sgpr_workgroup_id_z 1
		.amdhsa_system_sgpr_workgroup_info 0
		.amdhsa_system_vgpr_workitem_id 0
		.amdhsa_next_free_vgpr 22
		.amdhsa_next_free_sgpr 32
		.amdhsa_accum_offset 24
		.amdhsa_reserve_vcc 1
		.amdhsa_float_round_mode_32 0
		.amdhsa_float_round_mode_16_64 0
		.amdhsa_float_denorm_mode_32 3
		.amdhsa_float_denorm_mode_16_64 3
		.amdhsa_dx10_clamp 1
		.amdhsa_ieee_mode 1
		.amdhsa_fp16_overflow 0
		.amdhsa_tg_split 0
		.amdhsa_exception_fp_ieee_invalid_op 0
		.amdhsa_exception_fp_denorm_src 0
		.amdhsa_exception_fp_ieee_div_zero 0
		.amdhsa_exception_fp_ieee_overflow 0
		.amdhsa_exception_fp_ieee_underflow 0
		.amdhsa_exception_fp_ieee_inexact 0
		.amdhsa_exception_int_div_zero 0
	.end_amdhsa_kernel
	.section	.text._ZL33flash_attn_stream_k_fixup_generalILi112ELi8ELi8EEvPfPK15HIP_vector_typeIfLj2EEiiiiS1_IjLj3EES5_S5_S5_,"axG",@progbits,_ZL33flash_attn_stream_k_fixup_generalILi112ELi8ELi8EEvPfPK15HIP_vector_typeIfLj2EEiiiiS1_IjLj3EES5_S5_S5_,comdat
.Lfunc_end3:
	.size	_ZL33flash_attn_stream_k_fixup_generalILi112ELi8ELi8EEvPfPK15HIP_vector_typeIfLj2EEiiiiS1_IjLj3EES5_S5_S5_, .Lfunc_end3-_ZL33flash_attn_stream_k_fixup_generalILi112ELi8ELi8EEvPfPK15HIP_vector_typeIfLj2EEiiiiS1_IjLj3EES5_S5_S5_
                                        ; -- End function
	.section	.AMDGPU.csdata,"",@progbits
; Kernel info:
; codeLenInByte = 2868
; NumSgprs: 38
; NumVgprs: 22
; NumAgprs: 0
; TotalNumVgprs: 22
; ScratchSize: 0
; MemoryBound: 0
; FloatMode: 240
; IeeeMode: 1
; LDSByteSize: 0 bytes/workgroup (compile time only)
; SGPRBlocks: 4
; VGPRBlocks: 2
; NumSGPRsForWavesPerEU: 38
; NumVGPRsForWavesPerEU: 22
; AccumOffset: 24
; Occupancy: 8
; WaveLimiterHint : 0
; COMPUTE_PGM_RSRC2:SCRATCH_EN: 0
; COMPUTE_PGM_RSRC2:USER_SGPR: 2
; COMPUTE_PGM_RSRC2:TRAP_HANDLER: 0
; COMPUTE_PGM_RSRC2:TGID_X_EN: 1
; COMPUTE_PGM_RSRC2:TGID_Y_EN: 1
; COMPUTE_PGM_RSRC2:TGID_Z_EN: 1
; COMPUTE_PGM_RSRC2:TIDIG_COMP_CNT: 0
; COMPUTE_PGM_RSRC3_GFX90A:ACCUM_OFFSET: 5
; COMPUTE_PGM_RSRC3_GFX90A:TG_SPLIT: 0
	.section	.text._ZL26flash_attn_combine_resultsILi112EEvPKfPK15HIP_vector_typeIfLj2EEPfi,"axG",@progbits,_ZL26flash_attn_combine_resultsILi112EEvPKfPK15HIP_vector_typeIfLj2EEPfi,comdat
	.globl	_ZL26flash_attn_combine_resultsILi112EEvPKfPK15HIP_vector_typeIfLj2EEPfi ; -- Begin function _ZL26flash_attn_combine_resultsILi112EEvPKfPK15HIP_vector_typeIfLj2EEPfi
	.p2align	8
	.type	_ZL26flash_attn_combine_resultsILi112EEvPKfPK15HIP_vector_typeIfLj2EEPfi,@function
_ZL26flash_attn_combine_resultsILi112EEvPKfPK15HIP_vector_typeIfLj2EEPfi: ; @_ZL26flash_attn_combine_resultsILi112EEvPKfPK15HIP_vector_typeIfLj2EEPfi
; %bb.0:
	s_load_dwordx2 s[6:7], s[0:1], 0x20
	s_load_dword s25, s[0:1], 0x18
	s_load_dwordx4 s[16:19], s[0:1], 0x0
	s_load_dwordx2 s[14:15], s[0:1], 0x10
	s_waitcnt lgkmcnt(0)
	s_mul_i32 s0, s6, s4
	s_add_i32 s0, s0, s2
	s_mul_i32 s24, s0, s7
	s_add_i32 s24, s24, s3
	s_lshl_b32 s12, s25, 1
	s_mul_i32 s0, s24, s25
	v_cmp_gt_i32_e32 vcc, s12, v0
	s_and_saveexec_b64 s[2:3], vcc
	s_cbranch_execz .LBB4_13
; %bb.1:
	v_xad_u32 v1, v0, -1, s12
	s_movk_i32 s4, 0x6f
	s_ashr_i32 s1, s0, 31
	v_cmp_lt_u32_e32 vcc, s4, v1
	s_mov_b64 s[6:7], -1
	v_mov_b32_e32 v2, v0
	s_and_saveexec_b64 s[4:5], vcc
	s_cbranch_execz .LBB4_10
; %bb.2:
	v_lshrrev_b32_e32 v1, 4, v1
	s_mov_b32 s6, 0x24924925
	v_mul_hi_u32 v6, v1, s6
	s_lshl_b64 s[6:7], s[0:1], 3
	v_add_u32_e32 v2, -1, v6
	s_add_u32 s6, s18, s6
	v_add_u32_e32 v1, 0x70, v0
	v_lshrrev_b32_e32 v3, 1, v2
	s_addc_u32 s7, s19, s7
	v_add_u32_e32 v7, 1, v3
	v_cmp_lt_u32_e32 vcc, 13, v2
	v_mov_b32_e32 v4, 0
	v_mov_b64_e32 v[2:3], v[0:1]
	s_and_saveexec_b64 s[8:9], vcc
	s_cbranch_execz .LBB4_6
; %bb.3:
	v_and_b32_e32 v8, -8, v7
	s_mov_b32 s13, 0
	v_lshl_add_u32 v9, v0, 2, 0
	s_mov_b64 s[10:11], 0
	v_mov_b32_e32 v5, 0
	v_mov_b64_e32 v[2:3], v[0:1]
.LBB4_4:                                ; =>This Inner Loop Header: Depth=1
	v_mov_b32_e32 v4, v2
	v_lshl_add_u64 v[24:25], v[4:5], 2, s[6:7]
	v_mov_b32_e32 v4, v3
	v_lshl_add_u64 v[26:27], v[4:5], 2, s[6:7]
	v_add_u32_e32 v4, 0xe0, v2
	v_add_u32_e32 v10, 0xe0, v3
	v_mov_b32_e32 v11, v5
	global_load_dword v1, v[24:25], off
	global_load_dword v28, v[26:27], off
	v_lshl_add_u64 v[24:25], v[4:5], 2, s[6:7]
	v_add_u32_e32 v4, 0x1c0, v2
	v_lshl_add_u64 v[10:11], v[10:11], 2, s[6:7]
	v_lshl_add_u64 v[26:27], v[4:5], 2, s[6:7]
	v_add_u32_e32 v4, 0x2a0, v2
	v_add_u32_e32 v12, 0x1c0, v3
	v_mov_b32_e32 v13, v5
	v_add_u32_e32 v14, 0x2a0, v3
	v_mov_b32_e32 v15, v5
	global_load_dword v29, v[24:25], off
	global_load_dword v30, v[10:11], off
	v_lshl_add_u64 v[10:11], v[4:5], 2, s[6:7]
	v_add_u32_e32 v4, 0x380, v2
	v_lshl_add_u64 v[12:13], v[12:13], 2, s[6:7]
	v_lshl_add_u64 v[14:15], v[14:15], 2, s[6:7]
	global_load_dword v24, v[26:27], off
	global_load_dword v25, v[12:13], off
	;; [unrolled: 1-line block ×4, first 2 shown]
	v_lshl_add_u64 v[10:11], v[4:5], 2, s[6:7]
	v_add_u32_e32 v4, 0x460, v2
	v_add_u32_e32 v16, 0x380, v3
	v_mov_b32_e32 v17, v5
	v_add_u32_e32 v18, 0x460, v3
	v_mov_b32_e32 v19, v5
	v_lshl_add_u64 v[12:13], v[4:5], 2, s[6:7]
	v_add_u32_e32 v4, 0x540, v2
	v_add_u32_e32 v20, 0x540, v3
	v_mov_b32_e32 v21, v5
	v_add_u32_e32 v22, 0x620, v3
	v_mov_b32_e32 v23, v5
	v_lshl_add_u64 v[16:17], v[16:17], 2, s[6:7]
	v_lshl_add_u64 v[18:19], v[18:19], 2, s[6:7]
	global_load_dword v14, v[10:11], off
	global_load_dword v15, v[16:17], off
	v_lshl_add_u64 v[10:11], v[4:5], 2, s[6:7]
	v_add_u32_e32 v4, 0x620, v2
	v_lshl_add_u64 v[20:21], v[20:21], 2, s[6:7]
	v_lshl_add_u64 v[22:23], v[22:23], 2, s[6:7]
	global_load_dword v16, v[12:13], off
	global_load_dword v17, v[18:19], off
	v_lshl_add_u64 v[12:13], v[4:5], 2, s[6:7]
	global_load_dword v18, v[10:11], off
	global_load_dword v19, v[20:21], off
	;; [unrolled: 1-line block ×4, first 2 shown]
	v_add_u32_e32 v8, -8, v8
	s_add_i32 s13, s13, 16
	v_cmp_eq_u32_e32 vcc, 0, v8
	v_add_u32_e32 v10, 0x200, v9
	v_add_u32_e32 v11, 0x600, v9
	;; [unrolled: 1-line block ×8, first 2 shown]
	v_mov_b32_e32 v4, s13
	s_or_b64 s[10:11], vcc, s[10:11]
	v_add_u32_e32 v2, 0x700, v2
	s_waitcnt vmcnt(14)
	ds_write2_b32 v9, v1, v28 offset1:112
	v_add_u32_e32 v9, 0x1c00, v9
	s_waitcnt vmcnt(12)
	ds_write2_b32 v10, v29, v30 offset0:96 offset1:208
	s_waitcnt vmcnt(10)
	ds_write2_b32 v11, v24, v25 offset0:64 offset1:176
	;; [unrolled: 2-line block ×7, first 2 shown]
	s_andn2_b64 exec, exec, s[10:11]
	s_cbranch_execnz .LBB4_4
; %bb.5:
	s_or_b64 exec, exec, s[10:11]
.LBB4_6:
	s_or_b64 exec, exec, s[8:9]
	v_and_b32_e32 v1, 7, v7
	v_cmp_ne_u32_e32 vcc, 0, v1
	s_and_saveexec_b64 s[8:9], vcc
	s_cbranch_execz .LBB4_9
; %bb.7:
	s_movk_i32 s10, 0x1c0
	v_mul_lo_u32 v4, v4, s10
	v_lshlrev_b32_e32 v5, 2, v0
	v_add3_u32 v7, v4, v5, 0
	s_mov_b64 s[10:11], 0
	v_mov_b32_e32 v5, 0
.LBB4_8:                                ; =>This Inner Loop Header: Depth=1
	v_mov_b32_e32 v4, v2
	v_lshl_add_u64 v[8:9], v[4:5], 2, s[6:7]
	v_mov_b32_e32 v4, v3
	v_lshl_add_u64 v[10:11], v[4:5], 2, s[6:7]
	global_load_dword v4, v[8:9], off
	global_load_dword v12, v[10:11], off
	v_add_u32_e32 v1, -1, v1
	v_cmp_eq_u32_e32 vcc, 0, v1
	v_add_u32_e32 v2, 0xe0, v2
	v_add_u32_e32 v3, 0xe0, v3
	s_or_b64 s[10:11], vcc, s[10:11]
	s_waitcnt vmcnt(0)
	ds_write2_b32 v7, v4, v12 offset1:112
	v_add_u32_e32 v7, 0x380, v7
	s_andn2_b64 exec, exec, s[10:11]
	s_cbranch_execnz .LBB4_8
.LBB4_9:
	s_or_b64 exec, exec, s[8:9]
	v_add_u32_e32 v1, 1, v6
	v_and_b32_e32 v4, 0x7fffffe, v1
	s_movk_i32 s6, 0x70
	v_mad_u64_u32 v[2:3], s[6:7], v4, s6, v[0:1]
	v_cmp_ne_u32_e32 vcc, v1, v4
	s_orn2_b64 s[6:7], vcc, exec
.LBB4_10:
	s_or_b64 exec, exec, s[4:5]
	s_and_b64 exec, exec, s[6:7]
	s_cbranch_execz .LBB4_13
; %bb.11:
	s_lshl_b64 s[4:5], s[0:1], 3
	s_add_u32 s4, s18, s4
	v_mov_b32_e32 v3, 0
	s_addc_u32 s5, s19, s5
	v_lshl_add_u64 v[4:5], v[2:3], 2, s[4:5]
	v_lshl_add_u32 v1, v2, 2, 0
	s_mov_b64 s[4:5], 0
	s_mov_b64 s[6:7], 0x1c0
.LBB4_12:                               ; =>This Inner Loop Header: Depth=1
	global_load_dword v3, v[4:5], off
	v_add_u32_e32 v2, 0x70, v2
	v_cmp_le_i32_e32 vcc, s12, v2
	v_lshl_add_u64 v[4:5], v[4:5], 0, s[6:7]
	s_or_b64 s[4:5], vcc, s[4:5]
	s_waitcnt vmcnt(0)
	ds_write_b32 v1, v3
	v_add_u32_e32 v1, 0x1c0, v1
	s_andn2_b64 exec, exec, s[4:5]
	s_cbranch_execnz .LBB4_12
.LBB4_13:
	s_or_b64 exec, exec, s[2:3]
	v_mov_b32_e32 v1, 0
	s_waitcnt lgkmcnt(0)
	s_barrier
	ds_read_b32 v1, v1
	s_cmp_lt_i32 s25, 2
	s_cbranch_scc1 .LBB4_21
; %bb.14:
	s_add_i32 s1, s25, -1
	s_add_i32 s2, s25, -2
	s_cmp_lt_u32 s2, 7
	s_cbranch_scc1 .LBB4_18
; %bb.15:
	s_mov_b32 s4, 0
	s_add_i32 s2, 0, 8
	s_and_b32 s3, s1, -8
.LBB4_16:                               ; =>This Inner Loop Header: Depth=1
	v_mov_b32_e32 v8, s2
	ds_read2_b32 v[2:3], v8 offset1:2
	ds_read2_b32 v[4:5], v8 offset0:4 offset1:6
	ds_read2_b32 v[6:7], v8 offset0:8 offset1:10
	;; [unrolled: 1-line block ×3, first 2 shown]
	s_mov_b32 s5, s4
	s_waitcnt lgkmcnt(3)
	v_max3_f32 v1, v1, v2, v3
	s_waitcnt lgkmcnt(2)
	v_max3_f32 v1, v1, v4, v5
	s_add_i32 s2, s2, 64
	s_add_i32 s4, s4, 8
	s_waitcnt lgkmcnt(1)
	v_max3_f32 v1, v1, v6, v7
	s_cmp_eq_u32 s3, s4
	s_waitcnt lgkmcnt(0)
	v_max3_f32 v1, v1, v8, v9
	s_cbranch_scc0 .LBB4_16
; %bb.17:
	s_add_i32 s2, s5, 9
	s_and_b32 s1, s1, 7
	s_cmp_eq_u32 s1, 0
	s_cbranch_scc0 .LBB4_19
	s_branch .LBB4_21
.LBB4_18:
	s_mov_b32 s2, 1
	s_and_b32 s1, s1, 7
	s_cmp_eq_u32 s1, 0
	s_cbranch_scc1 .LBB4_21
.LBB4_19:
	s_lshl_b32 s2, s2, 3
	s_add_i32 s2, s2, 0
.LBB4_20:                               ; =>This Inner Loop Header: Depth=1
	v_mov_b32_e32 v2, s2
	ds_read_b32 v2, v2
	s_waitcnt lgkmcnt(1)
	v_max_f32_e32 v1, v1, v1
	s_add_i32 s2, s2, 8
	s_add_i32 s1, s1, -1
	s_cmp_lg_u32 s1, 0
	s_waitcnt lgkmcnt(0)
	v_max_f32_e32 v2, v2, v2
	v_max_f32_e32 v1, v1, v2
	s_cbranch_scc1 .LBB4_20
.LBB4_21:
	s_cmp_lt_i32 s25, 1
	s_cbranch_scc1 .LBB4_26
; %bb.22:
	s_mul_i32 s18, s0, 0x70
	s_ashr_i32 s19, s18, 31
	s_cmp_lt_u32 s25, 8
	v_mov_b32_e32 v8, 0
	s_cbranch_scc1 .LBB4_27
; %bb.23:
	s_lshl_b64 s[0:1], s[18:19], 2
	s_add_u32 s20, s16, s0
	s_addc_u32 s21, s17, s1
	v_lshlrev_b32_e32 v2, 2, v0
	v_mov_b32_e32 v3, 0
	v_lshl_add_u64 v[4:5], s[20:21], 0, v[2:3]
	s_mov_b64 s[0:1], 0x1c0
	s_and_b32 s26, s25, 0x7ffffff8
	v_lshl_add_u64 v[4:5], v[4:5], 0, s[0:1]
	v_add_u32_e32 v6, 0x1c0, v0
	s_mov_b32 s27, 0
	s_mov_b32 s28, 0x3fb8aa3b
	;; [unrolled: 1-line block ×4, first 2 shown]
	v_mov_b32_e32 v10, 0x7f800000
	s_mov_b64 s[22:23], 0xe00
	s_mov_b32 s31, 0
	v_mov_b32_e32 v9, 0
	v_mov_b32_e32 v8, 0
.LBB4_24:                               ; =>This Inner Loop Header: Depth=1
	v_add_u32_e32 v2, 0xfffffe40, v6
	v_mov_b32_e32 v11, s27
	v_mov_b32_e32 v7, v3
	v_lshl_add_u64 v[28:29], v[2:3], 2, s[20:21]
	global_load_dword v34, v[4:5], off
	global_load_dword v35, v[4:5], off offset:448
	ds_read2_b64 v[12:15], v11 offset1:1
	ds_read2_b64 v[16:19], v11 offset0:2 offset1:3
	v_lshl_add_u64 v[30:31], v[6:7], 2, s[20:21]
	ds_read2_b64 v[20:23], v11 offset0:4 offset1:5
	ds_read2_b64 v[24:27], v11 offset0:6 offset1:7
	global_load_dword v7, v[28:29], off
	v_add_u32_e32 v2, 0xffffff90, v6
	v_lshl_add_u64 v[32:33], v[2:3], 2, s[20:21]
	v_add_u32_e32 v2, 0x70, v6
	v_lshl_add_u64 v[28:29], v[2:3], 2, s[20:21]
	v_add_u32_e32 v2, 0xe0, v6
	global_load_dword v11, v[32:33], off
	global_load_dword v36, v[30:31], off
	v_lshl_add_u64 v[30:31], v[2:3], 2, s[20:21]
	v_add_u32_e32 v2, 0x150, v6
	global_load_dword v32, v[28:29], off
	v_lshl_add_u64 v[28:29], v[2:3], 2, s[20:21]
	global_load_dword v2, v[30:31], off
	s_waitcnt lgkmcnt(3)
	v_sub_f32_e32 v12, v12, v1
	global_load_dword v28, v[28:29], off
	v_sub_f32_e32 v14, v14, v1
	v_mul_f32_e32 v29, 0x3fb8aa3b, v12
	v_mul_f32_e32 v30, 0x3fb8aa3b, v14
	s_waitcnt lgkmcnt(2)
	v_sub_f32_e32 v16, v16, v1
	v_sub_f32_e32 v18, v18, v1
	s_waitcnt lgkmcnt(1)
	v_sub_f32_e32 v20, v20, v1
	v_sub_f32_e32 v22, v22, v1
	v_fma_f32 v41, v12, s28, -v29
	v_rndne_f32_e32 v42, v29
	v_fma_f32 v43, v14, s28, -v30
	v_rndne_f32_e32 v44, v30
	v_mul_f32_e32 v31, 0x3fb8aa3b, v16
	v_mul_f32_e32 v33, 0x3fb8aa3b, v18
	;; [unrolled: 1-line block ×4, first 2 shown]
	v_fmac_f32_e32 v41, 0x32a5705f, v12
	v_sub_f32_e32 v29, v29, v42
	v_fmac_f32_e32 v43, 0x32a5705f, v14
	v_sub_f32_e32 v30, v30, v44
	s_waitcnt lgkmcnt(0)
	v_sub_f32_e32 v24, v24, v1
	v_sub_f32_e32 v26, v26, v1
	v_fma_f32 v45, v16, s28, -v31
	v_rndne_f32_e32 v46, v31
	v_fma_f32 v47, v18, s28, -v33
	v_rndne_f32_e32 v48, v33
	v_fma_f32 v49, v20, s28, -v37
	v_rndne_f32_e32 v50, v37
	v_add_f32_e32 v29, v29, v41
	v_fma_f32 v41, v22, s28, -v38
	v_add_f32_e32 v30, v30, v43
	v_rndne_f32_e32 v43, v38
	v_mul_f32_e32 v39, 0x3fb8aa3b, v24
	v_mul_f32_e32 v40, 0x3fb8aa3b, v26
	v_fmac_f32_e32 v45, 0x32a5705f, v16
	v_sub_f32_e32 v31, v31, v46
	v_fmac_f32_e32 v47, 0x32a5705f, v18
	v_sub_f32_e32 v33, v33, v48
	v_fmac_f32_e32 v49, 0x32a5705f, v20
	v_sub_f32_e32 v37, v37, v50
	v_fmac_f32_e32 v41, 0x32a5705f, v22
	v_sub_f32_e32 v38, v38, v43
	v_add_f32_e32 v31, v31, v45
	v_fma_f32 v45, v24, s28, -v39
	v_add_f32_e32 v33, v33, v47
	v_rndne_f32_e32 v47, v39
	v_add_f32_e32 v37, v37, v49
	v_fma_f32 v49, v26, s28, -v40
	v_add_f32_e32 v38, v38, v41
	v_rndne_f32_e32 v41, v40
	v_cvt_i32_f32_e32 v42, v42
	v_fmac_f32_e32 v45, 0x32a5705f, v24
	v_sub_f32_e32 v39, v39, v47
	v_fmac_f32_e32 v49, 0x32a5705f, v26
	v_sub_f32_e32 v40, v40, v41
	v_exp_f32_e32 v29, v29
	v_cvt_i32_f32_e32 v44, v44
	v_add_f32_e32 v39, v39, v45
	v_add_f32_e32 v40, v40, v49
	v_exp_f32_e32 v30, v30
	v_cvt_i32_f32_e32 v46, v46
	v_cvt_i32_f32_e32 v48, v48
	;; [unrolled: 1-line block ×6, first 2 shown]
	v_exp_f32_e32 v31, v31
	v_exp_f32_e32 v33, v33
	;; [unrolled: 1-line block ×6, first 2 shown]
	v_ldexp_f32 v29, v29, v42
	v_cmp_ngt_f32_e64 s[12:13], s29, v12
	v_ldexp_f32 v30, v30, v44
	v_cmp_ngt_f32_e32 vcc, s29, v14
	v_cndmask_b32_e64 v29, 0, v29, s[12:13]
	v_cmp_nlt_f32_e64 s[12:13], s30, v12
	v_ldexp_f32 v31, v31, v46
	v_cmp_ngt_f32_e64 s[0:1], s29, v16
	v_ldexp_f32 v33, v33, v48
	v_cmp_ngt_f32_e64 s[2:3], s29, v18
	;; [unrolled: 2-line block ×6, first 2 shown]
	v_cndmask_b32_e32 v30, 0, v30, vcc
	v_cmp_nlt_f32_e32 vcc, s30, v14
	v_cndmask_b32_e64 v12, v10, v29, s[12:13]
	v_cndmask_b32_e64 v14, 0, v31, s[0:1]
	v_cmp_nlt_f32_e64 s[0:1], s30, v16
	v_cndmask_b32_e64 v16, 0, v33, s[2:3]
	v_cmp_nlt_f32_e64 s[2:3], s30, v18
	;; [unrolled: 2-line block ×6, first 2 shown]
	v_cndmask_b32_e32 v26, v10, v30, vcc
	v_fmac_f32_e32 v9, v12, v13
	s_waitcnt vmcnt(5)
	v_fmac_f32_e32 v8, v7, v12
	v_cndmask_b32_e64 v14, v10, v14, s[0:1]
	v_fmac_f32_e32 v9, v26, v15
	v_fmac_f32_e32 v8, v34, v26
	v_cndmask_b32_e64 v16, v10, v16, s[2:3]
	v_fmac_f32_e32 v9, v14, v17
	;; [unrolled: 3-line block ×3, first 2 shown]
	s_waitcnt vmcnt(4)
	v_fmac_f32_e32 v8, v11, v16
	v_cndmask_b32_e64 v20, v10, v20, s[6:7]
	v_fmac_f32_e32 v9, v18, v21
	s_waitcnt vmcnt(3)
	v_fmac_f32_e32 v8, v36, v18
	v_cndmask_b32_e64 v22, v10, v22, s[8:9]
	v_fmac_f32_e32 v9, v20, v23
	s_waitcnt vmcnt(2)
	v_fmac_f32_e32 v8, v32, v20
	s_add_i32 s31, s31, 8
	s_add_i32 s27, s27, 64
	v_cndmask_b32_e64 v24, v10, v24, s[10:11]
	v_fmac_f32_e32 v9, v22, v25
	s_waitcnt vmcnt(1)
	v_fmac_f32_e32 v8, v2, v22
	v_lshl_add_u64 v[4:5], v[4:5], 0, s[22:23]
	s_cmp_eq_u32 s26, s31
	v_add_u32_e32 v6, 0x380, v6
	v_fmac_f32_e32 v9, v24, v27
	s_waitcnt vmcnt(0)
	v_fmac_f32_e32 v8, v28, v24
	s_cbranch_scc0 .LBB4_24
; %bb.25:
	s_and_b32 s2, s25, 7
	s_cmp_eq_u32 s2, 0
	s_cbranch_scc0 .LBB4_28
	s_branch .LBB4_30
.LBB4_26:
	s_waitcnt lgkmcnt(0)
	v_mov_b32_e32 v1, 0x7fc00000
	s_branch .LBB4_31
.LBB4_27:
	s_mov_b32 s26, 0
	v_mov_b32_e32 v9, 0
	s_and_b32 s2, s25, 7
	s_cmp_eq_u32 s2, 0
	s_cbranch_scc1 .LBB4_30
.LBB4_28:
	s_lshl_b64 s[0:1], s[18:19], 2
	s_mul_i32 s3, s26, 0x70
	s_add_u32 s0, s16, s0
	v_add_u32_e32 v2, s3, v0
	v_mov_b32_e32 v3, 0
	s_addc_u32 s1, s17, s1
	v_lshl_add_u64 v[2:3], v[2:3], 2, s[0:1]
	s_lshl_b32 s0, s26, 3
	s_add_i32 s3, s0, 0
	s_mov_b32 s4, 0x3fb8aa3b
	s_mov_b32 s5, 0xc2ce8ed0
	;; [unrolled: 1-line block ×3, first 2 shown]
	v_mov_b32_e32 v4, 0x7f800000
	s_mov_b64 s[0:1], 0x1c0
.LBB4_29:                               ; =>This Inner Loop Header: Depth=1
	global_load_dword v5, v[2:3], off
	v_mov_b32_e32 v6, s3
	ds_read_b64 v[6:7], v6
	s_add_i32 s3, s3, 8
	s_add_i32 s2, s2, -1
	v_lshl_add_u64 v[2:3], v[2:3], 0, s[0:1]
	s_cmp_lg_u32 s2, 0
	s_waitcnt lgkmcnt(0)
	v_sub_f32_e32 v6, v6, v1
	v_mul_f32_e32 v10, 0x3fb8aa3b, v6
	v_fma_f32 v11, v6, s4, -v10
	v_rndne_f32_e32 v12, v10
	v_fmac_f32_e32 v11, 0x32a5705f, v6
	v_sub_f32_e32 v10, v10, v12
	v_add_f32_e32 v10, v10, v11
	v_cvt_i32_f32_e32 v12, v12
	v_exp_f32_e32 v10, v10
	v_cmp_ngt_f32_e32 vcc, s5, v6
	v_ldexp_f32 v10, v10, v12
	s_nop 0
	v_cndmask_b32_e32 v10, 0, v10, vcc
	v_cmp_nlt_f32_e32 vcc, s6, v6
	s_nop 1
	v_cndmask_b32_e32 v6, v4, v10, vcc
	v_fmac_f32_e32 v9, v6, v7
	s_waitcnt vmcnt(0)
	v_fmac_f32_e32 v8, v5, v6
	s_cbranch_scc1 .LBB4_29
.LBB4_30:
	s_waitcnt lgkmcnt(0)
	v_div_scale_f32 v1, s[0:1], v9, v9, v8
	v_rcp_f32_e32 v2, v1
	v_div_scale_f32 v3, vcc, v8, v9, v8
	v_fma_f32 v4, -v1, v2, 1.0
	v_fmac_f32_e32 v2, v4, v2
	v_mul_f32_e32 v4, v3, v2
	v_fma_f32 v5, -v1, v4, v3
	v_fmac_f32_e32 v4, v5, v2
	v_fma_f32 v1, -v1, v4, v3
	v_div_fmas_f32 v1, v1, v2, v4
	v_div_fixup_f32 v1, v1, v9, v8
.LBB4_31:
	s_mul_i32 s0, s24, 0x70
	s_ashr_i32 s1, s0, 31
	s_lshl_b64 s[0:1], s[0:1], 2
	s_add_u32 s0, s14, s0
	s_addc_u32 s1, s15, s1
	v_lshlrev_b32_e32 v0, 2, v0
	global_store_dword v0, v1, s[0:1]
	s_endpgm
	.section	.rodata,"a",@progbits
	.p2align	6, 0x0
	.amdhsa_kernel _ZL26flash_attn_combine_resultsILi112EEvPKfPK15HIP_vector_typeIfLj2EEPfi
		.amdhsa_group_segment_fixed_size 0
		.amdhsa_private_segment_fixed_size 0
		.amdhsa_kernarg_size 288
		.amdhsa_user_sgpr_count 2
		.amdhsa_user_sgpr_dispatch_ptr 0
		.amdhsa_user_sgpr_queue_ptr 0
		.amdhsa_user_sgpr_kernarg_segment_ptr 1
		.amdhsa_user_sgpr_dispatch_id 0
		.amdhsa_user_sgpr_kernarg_preload_length 0
		.amdhsa_user_sgpr_kernarg_preload_offset 0
		.amdhsa_user_sgpr_private_segment_size 0
		.amdhsa_uses_dynamic_stack 0
		.amdhsa_enable_private_segment 0
		.amdhsa_system_sgpr_workgroup_id_x 1
		.amdhsa_system_sgpr_workgroup_id_y 1
		.amdhsa_system_sgpr_workgroup_id_z 1
		.amdhsa_system_sgpr_workgroup_info 0
		.amdhsa_system_vgpr_workitem_id 0
		.amdhsa_next_free_vgpr 51
		.amdhsa_next_free_sgpr 32
		.amdhsa_accum_offset 52
		.amdhsa_reserve_vcc 1
		.amdhsa_float_round_mode_32 0
		.amdhsa_float_round_mode_16_64 0
		.amdhsa_float_denorm_mode_32 3
		.amdhsa_float_denorm_mode_16_64 3
		.amdhsa_dx10_clamp 1
		.amdhsa_ieee_mode 1
		.amdhsa_fp16_overflow 0
		.amdhsa_tg_split 0
		.amdhsa_exception_fp_ieee_invalid_op 0
		.amdhsa_exception_fp_denorm_src 0
		.amdhsa_exception_fp_ieee_div_zero 0
		.amdhsa_exception_fp_ieee_overflow 0
		.amdhsa_exception_fp_ieee_underflow 0
		.amdhsa_exception_fp_ieee_inexact 0
		.amdhsa_exception_int_div_zero 0
	.end_amdhsa_kernel
	.section	.text._ZL26flash_attn_combine_resultsILi112EEvPKfPK15HIP_vector_typeIfLj2EEPfi,"axG",@progbits,_ZL26flash_attn_combine_resultsILi112EEvPKfPK15HIP_vector_typeIfLj2EEPfi,comdat
.Lfunc_end4:
	.size	_ZL26flash_attn_combine_resultsILi112EEvPKfPK15HIP_vector_typeIfLj2EEPfi, .Lfunc_end4-_ZL26flash_attn_combine_resultsILi112EEvPKfPK15HIP_vector_typeIfLj2EEPfi
                                        ; -- End function
	.section	.AMDGPU.csdata,"",@progbits
; Kernel info:
; codeLenInByte = 2932
; NumSgprs: 38
; NumVgprs: 51
; NumAgprs: 0
; TotalNumVgprs: 51
; ScratchSize: 0
; MemoryBound: 0
; FloatMode: 240
; IeeeMode: 1
; LDSByteSize: 0 bytes/workgroup (compile time only)
; SGPRBlocks: 4
; VGPRBlocks: 6
; NumSGPRsForWavesPerEU: 38
; NumVGPRsForWavesPerEU: 51
; AccumOffset: 52
; Occupancy: 8
; WaveLimiterHint : 1
; COMPUTE_PGM_RSRC2:SCRATCH_EN: 0
; COMPUTE_PGM_RSRC2:USER_SGPR: 2
; COMPUTE_PGM_RSRC2:TRAP_HANDLER: 0
; COMPUTE_PGM_RSRC2:TGID_X_EN: 1
; COMPUTE_PGM_RSRC2:TGID_Y_EN: 1
; COMPUTE_PGM_RSRC2:TGID_Z_EN: 1
; COMPUTE_PGM_RSRC2:TIDIG_COMP_CNT: 0
; COMPUTE_PGM_RSRC3_GFX90A:ACCUM_OFFSET: 12
; COMPUTE_PGM_RSRC3_GFX90A:TG_SPLIT: 0
	.section	.text._ZL15flash_attn_tileILi112ELi112ELi4ELi8ELb0EEvPKcS1_S1_S1_S1_PKiPfP15HIP_vector_typeIfLj2EEffffjfiS5_IjLj3EEiiiiiiiiiiiliiliiiiil,"axG",@progbits,_ZL15flash_attn_tileILi112ELi112ELi4ELi8ELb0EEvPKcS1_S1_S1_S1_PKiPfP15HIP_vector_typeIfLj2EEffffjfiS5_IjLj3EEiiiiiiiiiiiliiliiiiil,comdat
	.globl	_ZL15flash_attn_tileILi112ELi112ELi4ELi8ELb0EEvPKcS1_S1_S1_S1_PKiPfP15HIP_vector_typeIfLj2EEffffjfiS5_IjLj3EEiiiiiiiiiiiliiliiiiil ; -- Begin function _ZL15flash_attn_tileILi112ELi112ELi4ELi8ELb0EEvPKcS1_S1_S1_S1_PKiPfP15HIP_vector_typeIfLj2EEffffjfiS5_IjLj3EEiiiiiiiiiiiliiliiiiil
	.p2align	8
	.type	_ZL15flash_attn_tileILi112ELi112ELi4ELi8ELb0EEvPKcS1_S1_S1_S1_PKiPfP15HIP_vector_typeIfLj2EEffffjfiS5_IjLj3EEiiiiiiiiiiiliiliiiiil,@function
_ZL15flash_attn_tileILi112ELi112ELi4ELi8ELb0EEvPKcS1_S1_S1_S1_PKiPfP15HIP_vector_typeIfLj2EEffffjfiS5_IjLj3EEiiiiiiiiiiiliiliiiiil: ; @_ZL15flash_attn_tileILi112ELi112ELi4ELi8ELb0EEvPKcS1_S1_S1_S1_PKiPfP15HIP_vector_typeIfLj2EEffffjfiS5_IjLj3EEiiiiiiiiiiiliiliiiiil
; %bb.0:
	s_load_dwordx4 s[52:55], s[0:1], 0x5c
	s_load_dwordx2 s[34:35], s[0:1], 0x80
	s_load_dwordx16 s[36:51], s[0:1], 0x0
	s_mov_b64 s[56:57], 0
	s_waitcnt lgkmcnt(0)
	s_ashr_i32 s5, s55, 31
	s_lshr_b32 s5, s5, 29
	s_add_i32 s5, s55, s5
	s_ashr_i32 s5, s5, 3
	v_cvt_f32_u32_e32 v1, s5
	s_sub_i32 s6, 0, s5
	v_rcp_iflag_f32_e32 v1, v1
	s_nop 0
	v_mul_f32_e32 v1, 0x4f7ffffe, v1
	v_cvt_u32_f32_e32 v1, v1
	s_nop 0
	v_readfirstlane_b32 s7, v1
	s_mul_i32 s6, s6, s7
	s_mul_hi_u32 s6, s7, s6
	s_add_i32 s7, s7, s6
	s_mul_hi_u32 s6, s4, s7
	s_mul_i32 s7, s6, s5
	s_sub_i32 s7, s4, s7
	s_add_i32 s8, s6, 1
	s_sub_i32 s9, s7, s5
	s_cmp_ge_u32 s7, s5
	s_cselect_b32 s6, s8, s6
	s_cselect_b32 s7, s9, s7
	s_add_i32 s8, s6, 1
	s_cmp_ge_u32 s7, s5
	s_cselect_b32 s33, s8, s6
	s_abs_i32 s5, s35
	v_cvt_f32_u32_e32 v1, s5
	s_sub_i32 s8, 0, s5
	s_abs_i32 s7, s55
	s_lshl_b32 s6, s4, 3
	v_rcp_iflag_f32_e32 v1, v1
	s_xor_b32 s4, s55, s35
	s_ashr_i32 s4, s4, 31
	v_mul_f32_e32 v1, 0x4f7ffffe, v1
	v_cvt_u32_f32_e32 v1, v1
	s_nop 0
	v_readfirstlane_b32 s9, v1
	s_mul_i32 s8, s8, s9
	s_mul_hi_u32 s8, s9, s8
	s_add_i32 s9, s9, s8
	s_mul_hi_u32 s8, s7, s9
	s_mul_i32 s9, s8, s5
	s_sub_i32 s7, s7, s9
	s_add_i32 s10, s8, 1
	s_sub_i32 s9, s7, s5
	s_cmp_ge_u32 s7, s5
	s_cselect_b32 s8, s10, s8
	s_cselect_b32 s7, s9, s7
	s_add_i32 s9, s8, 1
	s_cmp_ge_u32 s7, s5
	s_cselect_b32 s5, s9, s8
	s_xor_b32 s5, s5, s4
	s_sub_i32 s9, s5, s4
	s_abs_i32 s8, s9
	v_cvt_f32_u32_e32 v1, s8
	s_load_dwordx2 s[4:5], s[0:1], 0xb8
	s_mul_i32 s7, s33, s55
	s_cmp_eq_u64 s[42:43], 0
	v_rcp_iflag_f32_e32 v1, v1
	s_nop 0
	v_mul_f32_e32 v1, 0x4f7ffffe, v1
	v_cvt_u32_f32_e32 v1, v1
	s_nop 0
	v_readfirstlane_b32 s10, v1
	s_cbranch_scc1 .LBB5_2
; %bb.1:
	s_waitcnt lgkmcnt(0)
	s_abs_i32 s4, s4
	v_cvt_f32_u32_e32 v1, s4
	s_sub_i32 s15, 0, s4
	s_abs_i32 s14, s33
	s_ashr_i32 s11, s33, 31
	v_rcp_iflag_f32_e32 v1, v1
	s_load_dwordx2 s[12:13], s[0:1], 0xc8
	v_mul_f32_e32 v1, 0x4f7ffffe, v1
	v_cvt_u32_f32_e32 v1, v1
	s_nop 0
	v_readfirstlane_b32 s16, v1
	s_mul_i32 s15, s15, s16
	s_mul_hi_u32 s15, s16, s15
	s_add_i32 s16, s16, s15
	s_mul_hi_u32 s15, s14, s16
	s_mul_i32 s15, s15, s4
	s_sub_i32 s14, s14, s15
	s_sub_i32 s15, s14, s4
	s_cmp_ge_u32 s14, s4
	s_cselect_b32 s14, s15, s14
	s_sub_i32 s15, s14, s4
	s_cmp_ge_u32 s14, s4
	s_cselect_b32 s4, s15, s14
	s_xor_b32 s4, s4, s11
	s_sub_i32 s4, s4, s11
	s_ashr_i32 s11, s4, 31
	s_waitcnt lgkmcnt(0)
	s_mul_i32 s13, s4, s13
	s_mul_hi_u32 s14, s4, s12
	s_add_i32 s13, s14, s13
	s_mul_i32 s11, s11, s12
	s_add_i32 s13, s13, s11
	s_mul_i32 s4, s4, s12
	s_add_u32 s56, s42, s4
	s_addc_u32 s57, s43, s13
.LBB5_2:
	v_bfe_u32 v5, v0, 10, 10
	v_and_b32_e32 v70, 0x3ff, v0
	v_lshrrev_b32_e32 v0, 1, v5
	v_lshl_add_u32 v69, s2, 2, v0
	v_mul_hi_u32 v0, s52, v69
	v_add_u32_e32 v0, v69, v0
	v_lshrrev_b32_e32 v0, s53, v0
	v_lshlrev_b32_e32 v4, 2, v5
	v_mul_lo_u32 v0, v0, s54
	s_sub_i32 s35, s6, s7
	v_cmp_gt_u32_e64 s[30:31], 28, v70
	v_sub_u32_e32 v6, v69, v0
	v_lshlrev_b32_e32 v68, 2, v70
	v_and_b32_e32 v71, 4, v4
	s_and_saveexec_b64 s[6:7], s[30:31]
	s_cbranch_execz .LBB5_4
; %bb.3:
	s_load_dwordx4 s[12:15], s[0:1], 0x70
	v_or_b32_e32 v20, 1, v4
	v_mul_u32_u24_e32 v21, 0xe0, v5
	s_waitcnt lgkmcnt(0)
	s_mul_i32 s4, s33, s14
	s_ashr_i32 s14, s4, 31
	s_mul_i32 s11, s35, s13
	s_add_u32 s4, s36, s4
	s_addc_u32 s15, s37, s14
	s_ashr_i32 s16, s11, 31
	s_add_u32 s14, s4, s11
	v_mov_b32_e32 v0, s12
	s_addc_u32 s15, s15, s16
	s_ashr_i32 s4, s12, 31
	v_alignbit_b32 v0, s4, v0, 2
	v_mad_u64_u32 v[0:1], s[16:17], v0, v6, 0
	v_mov_b32_e32 v2, v1
	s_lshr_b32 s4, s4, 2
	v_mad_u64_u32 v[2:3], s[16:17], s4, v6, v[2:3]
	v_mov_b32_e32 v1, v2
	v_lshl_add_u64 v[0:1], v[0:1], 2, s[14:15]
	v_lshlrev_b32_e32 v2, 2, v68
	v_mov_b32_e32 v3, 0
	v_lshl_add_u64 v[16:17], v[0:1], 0, v[2:3]
	s_ashr_i32 s4, s13, 31
	v_mov_b32_e32 v0, s13
	s_lshr_b32 s11, s4, 2
	v_alignbit_b32 v7, s4, v0, 2
	v_mul_lo_u32 v2, s11, v71
	v_mad_u64_u32 v[0:1], s[12:13], v7, v71, 0
	v_or_b32_e32 v1, v1, v2
	v_and_b32_e32 v3, 5, v20
	v_lshl_add_u64 v[12:13], v[0:1], 2, v[16:17]
	v_mad_u64_u32 v[0:1], s[12:13], v7, v3, 0
	v_mov_b32_e32 v2, v1
	v_mad_u64_u32 v[2:3], s[12:13], s11, v3, v[2:3]
	v_mov_b32_e32 v1, v2
	v_lshl_add_u64 v[14:15], v[0:1], 2, v[16:17]
	global_load_dwordx4 v[0:3], v[12:13], off
	global_load_dwordx4 v[8:11], v[14:15], off
	v_or_b32_e32 v12, 2, v4
	v_and_b32_e32 v15, 6, v12
	v_mad_u64_u32 v[12:13], s[12:13], v7, v15, 0
	v_mov_b32_e32 v14, v13
	v_mad_u64_u32 v[14:15], s[12:13], s11, v15, v[14:15]
	v_mov_b32_e32 v13, v14
	v_or_b32_e32 v14, 3, v4
	v_and_b32_e32 v15, 7, v14
	v_mad_u64_u32 v[18:19], s[12:13], v7, v15, 0
	v_mov_b32_e32 v14, v19
	v_mad_u64_u32 v[14:15], s[12:13], s11, v15, v[14:15]
	v_mov_b32_e32 v19, v14
	v_lshl_add_u64 v[12:13], v[12:13], 2, v[16:17]
	v_lshl_add_u64 v[16:17], v[18:19], 2, v[16:17]
	global_load_dwordx4 v[12:15], v[12:13], off
	s_load_dword s4, s[0:1], 0x40
	global_load_dwordx4 v[16:19], v[16:17], off
	v_lshlrev_b32_e32 v7, 1, v70
	v_mul_u32_u24_e32 v20, 56, v20
	v_add_lshl_u32 v21, v21, v7, 2
	v_add_lshl_u32 v7, v20, v7, 2
	s_waitcnt vmcnt(3) lgkmcnt(0)
	v_pk_mul_f32 v[0:1], v[0:1], s[4:5] op_sel_hi:[1,0]
	v_pk_mul_f32 v[2:3], v[2:3], s[4:5] op_sel_hi:[1,0]
	s_waitcnt vmcnt(2)
	v_pk_mul_f32 v[8:9], v[8:9], s[4:5] op_sel_hi:[1,0]
	v_pk_mul_f32 v[10:11], v[10:11], s[4:5] op_sel_hi:[1,0]
	v_cvt_f16_f32_e32 v20, v1
	v_cvt_f16_f32_e32 v0, v0
	;; [unrolled: 1-line block ×8, first 2 shown]
	v_pack_b32_f16 v1, v2, v1
	v_pack_b32_f16 v0, v0, v20
	;; [unrolled: 1-line block ×4, first 2 shown]
	s_waitcnt vmcnt(1)
	v_pk_mul_f32 v[12:13], v[12:13], s[4:5] op_sel_hi:[1,0]
	v_pk_mul_f32 v[14:15], v[14:15], s[4:5] op_sel_hi:[1,0]
	s_waitcnt vmcnt(0)
	v_pk_mul_f32 v[16:17], v[16:17], s[4:5] op_sel_hi:[1,0]
	v_pk_mul_f32 v[18:19], v[18:19], s[4:5] op_sel_hi:[1,0]
	v_cvt_f16_f32_e32 v11, v13
	v_cvt_f16_f32_e32 v12, v12
	;; [unrolled: 1-line block ×8, first 2 shown]
	v_pack_b32_f16 v9, v14, v13
	v_pack_b32_f16 v8, v12, v11
	;; [unrolled: 1-line block ×4, first 2 shown]
	ds_write_b64 v21, v[0:1]
	ds_write2_b64 v7, v[2:3], v[8:9] offset1:28
	ds_write_b64 v7, v[10:11] offset:448
.LBB5_4:
	s_or_b64 exec, exec, s[6:7]
	s_cmp_eq_u64 s[46:47], 0
	s_waitcnt lgkmcnt(0)
	s_barrier
	s_cbranch_scc1 .LBB5_6
; %bb.5:
	s_load_dword s4, s[0:1], 0xd0
	s_mov_b32 s7, 0
	s_waitcnt lgkmcnt(0)
	s_mul_i32 s4, s4, s33
	s_add_i32 s6, s4, s2
	s_lshl_b64 s[6:7], s[6:7], 2
	s_add_u32 s6, s46, s6
	s_addc_u32 s7, s47, s7
	s_load_dword s34, s[6:7], 0x0
.LBB5_6:
	s_lshl_b32 s42, s3, 5
	s_waitcnt lgkmcnt(0)
	s_cmp_lt_i32 s42, s34
	v_mbcnt_lo_u32_b32 v7, -1, 0
	s_cbranch_scc1 .LBB5_8
; %bb.7:
	v_mbcnt_hi_u32_b32 v108, -1, v7
	v_and_b32_e32 v0, 0x60, v108
	s_mov_b32 s2, 0
	v_add_u32_e32 v121, 32, v0
	v_xor_b32_e32 v123, 16, v108
	v_xor_b32_e32 v124, 8, v108
	;; [unrolled: 1-line block ×5, first 2 shown]
	s_mov_b64 s[6:7], 0
	s_mov_b32 s4, 0xfeffffff
	s_branch .LBB5_9
.LBB5_8:
	s_mov_b64 s[6:7], -1
                                        ; implicit-def: $sgpr4
                                        ; implicit-def: $sgpr2
                                        ; implicit-def: $vgpr108
                                        ; implicit-def: $vgpr121
                                        ; implicit-def: $vgpr123
                                        ; implicit-def: $vgpr124
                                        ; implicit-def: $vgpr125
                                        ; implicit-def: $vgpr122
                                        ; implicit-def: $vgpr120
.LBB5_9:
	s_andn2_b64 vcc, exec, s[6:7]
	v_mov_b32_e32 v3, s4
	v_mov_b32_e32 v79, s2
	;; [unrolled: 1-line block ×16, first 2 shown]
	s_cbranch_vccnz .LBB5_37
; %bb.10:
	s_load_dwordx2 s[6:7], s[0:1], 0x8c
	s_load_dwordx4 s[12:15], s[0:1], 0x98
	s_sub_i32 s2, 0, s8
	s_mul_i32 s2, s2, s10
	s_mul_hi_u32 s2, s10, s2
	s_waitcnt lgkmcnt(0)
	s_ashr_i32 s46, s6, 2
	s_ashr_i32 s43, s14, 2
	;; [unrolled: 1-line block ×4, first 2 shown]
	s_mul_i32 s6, s33, s13
	s_mul_hi_u32 s13, s33, s12
	s_abs_i32 s4, s35
	s_add_i32 s10, s10, s2
	s_add_i32 s6, s13, s6
	s_mul_i32 s13, s5, s12
	s_mul_hi_u32 s2, s4, s10
	s_ashr_i32 s16, s35, 31
	s_ashr_i32 s9, s9, 31
	s_add_i32 s6, s6, s13
	s_mul_i32 s12, s33, s12
	s_add_u32 s12, s38, s12
	s_mul_i32 s13, s2, s8
	s_addc_u32 s6, s39, s6
	s_sub_i32 s4, s4, s13
	s_xor_b32 s9, s16, s9
	s_add_i32 s13, s2, 1
	s_sub_i32 s16, s4, s8
	s_cmp_ge_u32 s4, s8
	s_cselect_b32 s2, s13, s2
	s_cselect_b32 s4, s16, s4
	s_add_i32 s13, s2, 1
	s_cmp_ge_u32 s4, s8
	s_cselect_b32 s2, s13, s2
	s_load_dwordx2 s[10:11], s[0:1], 0xa8
	s_xor_b32 s2, s2, s9
	s_sub_i32 s2, s2, s9
	s_mul_i32 s4, s2, s7
	s_ashr_i32 s7, s4, 31
	s_add_u32 s47, s12, s4
	s_addc_u32 s52, s6, s7
	s_waitcnt lgkmcnt(0)
	s_mul_i32 s4, s33, s11
	s_mul_hi_u32 s6, s33, s10
	s_add_i32 s4, s6, s4
	s_mul_i32 s5, s5, s10
	v_lshl_add_u32 v0, v5, 5, v70
	s_add_i32 s4, s4, s5
	s_mul_i32 s5, s33, s10
	v_cmp_gt_u32_e32 vcc, 32, v0
	v_lshrrev_b32_e32 v1, 1, v70
	v_lshrrev_b32_e32 v2, 2, v70
	v_mul_lo_u32 v82, s46, v0
	v_and_b32_e32 v0, 4, v68
	s_add_u32 s5, s40, s5
	s_mul_i32 s2, s2, s15
	v_lshl_add_u32 v1, v5, 4, v1
	v_lshl_add_u32 v3, v5, 3, v2
	v_lshlrev_b32_e32 v2, 7, v70
	v_lshlrev_b32_e32 v8, 2, v0
	s_addc_u32 s4, s41, s4
	s_ashr_i32 s6, s2, 31
	v_add_u32_e32 v109, 0x1c00, v2
	v_add_u32_e32 v111, 0x1c60, v2
	v_lshl_or_b32 v2, v1, 7, v8
	v_mad_u64_u32 v[90:91], s[8:9], v6, s14, v[70:71]
	v_mov_b32_e32 v6, 0x2c40
	s_add_u32 s53, s5, s2
	v_mul_u32_u24_e32 v110, 0x380, v5
	v_add_u32_e32 v112, 0x1c40, v2
	v_and_b32_e32 v2, 12, v68
	v_lshl_add_u32 v114, v5, 8, v6
	v_lshrrev_b32_e32 v5, 3, v70
	s_addc_u32 s58, s4, s6
	v_cmp_gt_u32_e64 s[4:5], 32, v1
	v_mul_lo_u32 v84, s46, v1
	v_lshlrev_b32_e32 v9, 2, v2
	v_cmp_gt_u32_e64 s[8:9], 16, v1
	v_add_u32_e32 v4, v4, v5
	v_mul_u32_u24_e32 v5, 0xe0, v1
	v_mul_lo_u32 v92, s43, v1
	v_mul_u32_u24_e32 v1, 0xe0, v3
	s_movk_i32 s14, 0x1c80
	v_and_b32_e32 v96, 28, v68
	v_cmp_gt_u32_e64 s[6:7], 32, v3
	s_movk_i32 s2, 0x1c00
	v_lshl_or_b32 v10, v3, 7, v9
	v_mov_b32_e32 v87, 0
	v_mul_lo_u32 v88, s46, v3
	v_cmp_gt_u32_e64 s[10:11], 16, v3
	v_or_b32_e32 v5, v5, v8
	v_add3_u32 v117, v1, v9, s14
	v_mul_lo_u32 v94, s43, v3
	v_mul_u32_u24_e32 v1, 0xe0, v4
	v_lshlrev_b32_e32 v3, 2, v96
	v_mul_lo_u32 v98, s43, v4
	s_add_u32 s36, s0, 0xd0
	v_ashrrev_i32_e32 v83, 31, v82
	v_ashrrev_i32_e32 v85, 31, v84
	v_add_u32_e32 v113, 0x1c00, v10
	v_ashrrev_i32_e32 v89, 31, v88
	v_lshlrev_b32_e32 v115, 3, v70
	v_cmp_gt_u32_e64 s[12:13], 16, v4
	v_add_u32_e32 v116, 0x1cc0, v5
	v_ashrrev_i32_e32 v93, 31, v92
	v_ashrrev_i32_e32 v95, 31, v94
	v_add3_u32 v118, v1, v3, s2
	v_ashrrev_i32_e32 v99, 31, v98
	s_addc_u32 s37, s1, 0
	v_mov_b32_e32 v10, 0xfeffffff
	v_mbcnt_hi_u32_b32 v108, -1, v7
	s_mov_b32 s2, 0x40051340
	s_mov_b32 s59, 0x3fb8aa3b
	;; [unrolled: 1-line block ×4, first 2 shown]
	v_lshlrev_b32_e32 v86, 2, v0
	v_lshlrev_b32_e32 v100, 2, v2
	v_mov_b32_e32 v119, 0x7f800000
	v_mov_b32_e32 v75, v87
	;; [unrolled: 1-line block ×16, first 2 shown]
.LBB5_11:                               ; =>This Inner Loop Header: Depth=1
	s_mul_hi_i32 s15, s42, s46
	s_mul_i32 s14, s42, s46
	s_lshl_b64 s[14:15], s[14:15], 2
	s_add_u32 s14, s47, s14
	s_addc_u32 s15, s52, s15
	v_lshl_add_u64 v[8:9], v[82:83], 2, s[14:15]
	s_and_saveexec_b64 s[16:17], vcc
	s_cbranch_execnz .LBB5_29
; %bb.12:                               ;   in Loop: Header=BB5_11 Depth=1
	s_or_b64 exec, exec, s[16:17]
	v_lshl_add_u64 v[4:5], v[84:85], 2, s[14:15]
	s_and_saveexec_b64 s[16:17], s[4:5]
	s_cbranch_execnz .LBB5_30
.LBB5_13:                               ;   in Loop: Header=BB5_11 Depth=1
	s_or_b64 exec, exec, s[16:17]
	v_lshl_add_u64 v[6:7], v[88:89], 2, s[14:15]
	s_and_saveexec_b64 s[14:15], s[6:7]
	s_cbranch_execz .LBB5_15
.LBB5_14:                               ;   in Loop: Header=BB5_11 Depth=1
	v_mov_b32_e32 v101, v87
	v_lshl_add_u64 v[0:1], v[6:7], 0, v[100:101]
	global_load_dwordx4 v[0:3], v[0:1], off
	s_waitcnt vmcnt(0)
	ds_write_b128 v113, v[0:3]
.LBB5_15:                               ;   in Loop: Header=BB5_11 Depth=1
	s_or_b64 exec, exec, s[14:15]
	s_waitcnt lgkmcnt(0)
	s_barrier
	ds_read_b128 v[14:17], v109
	ds_read_b128 v[18:21], v110
	ds_read_b128 v[22:25], v110 offset:224
	ds_read_b128 v[26:29], v110 offset:448
	;; [unrolled: 1-line block ×3, first 2 shown]
	v_mov_b32_e32 v0, 0
	s_waitcnt lgkmcnt(3)
	;;#ASMSTART
	v_dot2_f32_f16 v0, v14, v18, v0
	;;#ASMEND
	v_mov_b32_e32 v1, 0
	;;#ASMSTART
	v_dot2_f32_f16 v0, v15, v19, v0
	;;#ASMEND
	v_mov_b32_e32 v2, 0
	;; [unrolled: 4-line block ×3, first 2 shown]
	;;#ASMSTART
	v_dot2_f32_f16 v0, v17, v21, v0
	;;#ASMEND
	s_waitcnt lgkmcnt(2)
	;;#ASMSTART
	v_dot2_f32_f16 v1, v14, v22, v1
	;;#ASMEND
	s_nop 0
	;;#ASMSTART
	v_dot2_f32_f16 v1, v15, v23, v1
	;;#ASMEND
	s_nop 0
	;;#ASMSTART
	v_dot2_f32_f16 v1, v16, v24, v1
	;;#ASMEND
	s_nop 0
	;;#ASMSTART
	v_dot2_f32_f16 v1, v17, v25, v1
	;;#ASMEND
	s_waitcnt lgkmcnt(1)
	;;#ASMSTART
	v_dot2_f32_f16 v2, v14, v26, v2
	;;#ASMEND
	s_nop 0
	;;#ASMSTART
	v_dot2_f32_f16 v2, v15, v27, v2
	;;#ASMEND
	s_nop 0
	;;#ASMSTART
	v_dot2_f32_f16 v2, v16, v28, v2
	;;#ASMEND
	s_nop 0
	;; [unrolled: 16-line block ×3, first 2 shown]
	;;#ASMSTART
	v_dot2_f32_f16 v3, v17, v33, v3
	;;#ASMEND
	ds_read_b128 v[14:17], v109 offset:16
	ds_read_b128 v[18:21], v110 offset:16
	;; [unrolled: 1-line block ×5, first 2 shown]
	s_waitcnt lgkmcnt(3)
	;;#ASMSTART
	v_dot2_f32_f16 v0, v14, v18, v0
	;;#ASMEND
	s_nop 0
	;;#ASMSTART
	v_dot2_f32_f16 v0, v15, v19, v0
	;;#ASMEND
	s_nop 0
	;;#ASMSTART
	v_dot2_f32_f16 v0, v16, v20, v0
	;;#ASMEND
	s_nop 0
	;;#ASMSTART
	v_dot2_f32_f16 v0, v17, v21, v0
	;;#ASMEND
	s_waitcnt lgkmcnt(2)
	;;#ASMSTART
	v_dot2_f32_f16 v1, v14, v22, v1
	;;#ASMEND
	s_nop 0
	;;#ASMSTART
	v_dot2_f32_f16 v1, v15, v23, v1
	;;#ASMEND
	s_nop 0
	;;#ASMSTART
	v_dot2_f32_f16 v1, v16, v24, v1
	;;#ASMEND
	s_nop 0
	;;#ASMSTART
	v_dot2_f32_f16 v1, v17, v25, v1
	;;#ASMEND
	;; [unrolled: 16-line block ×4, first 2 shown]
	ds_read_b128 v[14:17], v109 offset:32
	ds_read_b128 v[18:21], v110 offset:32
	;; [unrolled: 1-line block ×5, first 2 shown]
	s_waitcnt lgkmcnt(3)
	;;#ASMSTART
	v_dot2_f32_f16 v0, v14, v18, v0
	;;#ASMEND
	s_nop 0
	;;#ASMSTART
	v_dot2_f32_f16 v0, v15, v19, v0
	;;#ASMEND
	s_nop 0
	;;#ASMSTART
	v_dot2_f32_f16 v0, v16, v20, v0
	;;#ASMEND
	s_nop 0
	;;#ASMSTART
	v_dot2_f32_f16 v0, v17, v21, v0
	;;#ASMEND
	s_waitcnt lgkmcnt(2)
	;;#ASMSTART
	v_dot2_f32_f16 v1, v14, v22, v1
	;;#ASMEND
	s_nop 0
	;;#ASMSTART
	v_dot2_f32_f16 v1, v15, v23, v1
	;;#ASMEND
	s_nop 0
	;;#ASMSTART
	v_dot2_f32_f16 v1, v16, v24, v1
	;;#ASMEND
	s_nop 0
	;;#ASMSTART
	v_dot2_f32_f16 v1, v17, v25, v1
	;;#ASMEND
	;; [unrolled: 16-line block ×4, first 2 shown]
	ds_read_b128 v[14:17], v109 offset:48
	ds_read_b128 v[18:21], v110 offset:48
	;; [unrolled: 1-line block ×5, first 2 shown]
	s_waitcnt lgkmcnt(3)
	;;#ASMSTART
	v_dot2_f32_f16 v0, v14, v18, v0
	;;#ASMEND
	s_nop 0
	;;#ASMSTART
	v_dot2_f32_f16 v0, v15, v19, v0
	;;#ASMEND
	s_nop 0
	;;#ASMSTART
	v_dot2_f32_f16 v0, v16, v20, v0
	;;#ASMEND
	s_nop 0
	;;#ASMSTART
	v_dot2_f32_f16 v0, v17, v21, v0
	;;#ASMEND
	s_waitcnt lgkmcnt(2)
	;;#ASMSTART
	v_dot2_f32_f16 v1, v14, v22, v1
	;;#ASMEND
	s_nop 0
	;;#ASMSTART
	v_dot2_f32_f16 v1, v15, v23, v1
	;;#ASMEND
	s_nop 0
	;;#ASMSTART
	v_dot2_f32_f16 v1, v16, v24, v1
	;;#ASMEND
	s_nop 0
	;;#ASMSTART
	v_dot2_f32_f16 v1, v17, v25, v1
	;;#ASMEND
	;; [unrolled: 16-line block ×4, first 2 shown]
	ds_read_b128 v[14:17], v109 offset:64
	ds_read_b128 v[18:21], v110 offset:64
	;; [unrolled: 1-line block ×5, first 2 shown]
	s_waitcnt lgkmcnt(3)
	;;#ASMSTART
	v_dot2_f32_f16 v0, v14, v18, v0
	;;#ASMEND
	s_nop 0
	;;#ASMSTART
	v_dot2_f32_f16 v0, v15, v19, v0
	;;#ASMEND
	s_nop 0
	;;#ASMSTART
	v_dot2_f32_f16 v0, v16, v20, v0
	;;#ASMEND
	s_nop 0
	;;#ASMSTART
	v_dot2_f32_f16 v0, v17, v21, v0
	;;#ASMEND
	s_waitcnt lgkmcnt(2)
	;;#ASMSTART
	v_dot2_f32_f16 v1, v14, v22, v1
	;;#ASMEND
	s_nop 0
	;;#ASMSTART
	v_dot2_f32_f16 v1, v15, v23, v1
	;;#ASMEND
	s_nop 0
	;;#ASMSTART
	v_dot2_f32_f16 v1, v16, v24, v1
	;;#ASMEND
	s_nop 0
	;;#ASMSTART
	v_dot2_f32_f16 v1, v17, v25, v1
	;;#ASMEND
	;; [unrolled: 16-line block ×4, first 2 shown]
	ds_read_b128 v[14:17], v109 offset:80
	ds_read_b128 v[18:21], v110 offset:80
	;; [unrolled: 1-line block ×5, first 2 shown]
	s_waitcnt lgkmcnt(3)
	;;#ASMSTART
	v_dot2_f32_f16 v0, v14, v18, v0
	;;#ASMEND
	s_nop 0
	;;#ASMSTART
	v_dot2_f32_f16 v0, v15, v19, v0
	;;#ASMEND
	s_nop 0
	;;#ASMSTART
	v_dot2_f32_f16 v0, v16, v20, v0
	;;#ASMEND
	s_nop 0
	;;#ASMSTART
	v_dot2_f32_f16 v0, v17, v21, v0
	;;#ASMEND
	s_waitcnt lgkmcnt(2)
	;;#ASMSTART
	v_dot2_f32_f16 v1, v14, v22, v1
	;;#ASMEND
	s_nop 0
	;;#ASMSTART
	v_dot2_f32_f16 v1, v15, v23, v1
	;;#ASMEND
	s_nop 0
	;;#ASMSTART
	v_dot2_f32_f16 v1, v16, v24, v1
	;;#ASMEND
	s_nop 0
	;;#ASMSTART
	v_dot2_f32_f16 v1, v17, v25, v1
	;;#ASMEND
	;; [unrolled: 16-line block ×4, first 2 shown]
	ds_read_b128 v[14:17], v109 offset:96
	ds_read_b128 v[18:21], v110 offset:96
	ds_read_b128 v[22:25], v110 offset:320
	ds_read_b128 v[26:29], v110 offset:544
	ds_read_b128 v[30:33], v110 offset:768
	s_waitcnt lgkmcnt(3)
	;;#ASMSTART
	v_dot2_f32_f16 v0, v14, v18, v0
	;;#ASMEND
	s_nop 0
	;;#ASMSTART
	v_dot2_f32_f16 v0, v15, v19, v0
	;;#ASMEND
	s_nop 0
	;;#ASMSTART
	v_dot2_f32_f16 v0, v16, v20, v0
	;;#ASMEND
	s_nop 0
	;;#ASMSTART
	v_dot2_f32_f16 v0, v17, v21, v0
	;;#ASMEND
	s_waitcnt lgkmcnt(2)
	;;#ASMSTART
	v_dot2_f32_f16 v1, v14, v22, v1
	;;#ASMEND
	s_nop 0
	;;#ASMSTART
	v_dot2_f32_f16 v1, v15, v23, v1
	;;#ASMEND
	s_nop 0
	;;#ASMSTART
	v_dot2_f32_f16 v1, v16, v24, v1
	;;#ASMEND
	s_nop 0
	;;#ASMSTART
	v_dot2_f32_f16 v1, v17, v25, v1
	;;#ASMEND
	;; [unrolled: 16-line block ×4, first 2 shown]
	s_barrier
	s_and_saveexec_b64 s[14:15], vcc
	s_cbranch_execnz .LBB5_31
; %bb.16:                               ;   in Loop: Header=BB5_11 Depth=1
	s_or_b64 exec, exec, s[14:15]
	s_and_saveexec_b64 s[14:15], s[4:5]
	s_cbranch_execnz .LBB5_32
.LBB5_17:                               ;   in Loop: Header=BB5_11 Depth=1
	s_or_b64 exec, exec, s[14:15]
	s_and_saveexec_b64 s[14:15], s[6:7]
	s_cbranch_execz .LBB5_19
.LBB5_18:                               ;   in Loop: Header=BB5_11 Depth=1
	v_mov_b32_e32 v101, v87
	v_lshl_add_u64 v[4:5], v[6:7], 0, v[100:101]
	global_load_dwordx4 v[4:7], v[4:5], off offset:112
	s_waitcnt vmcnt(0)
	ds_write_b128 v113, v[4:7]
.LBB5_19:                               ;   in Loop: Header=BB5_11 Depth=1
	s_or_b64 exec, exec, s[14:15]
	s_waitcnt lgkmcnt(0)
	s_barrier
	ds_read_b128 v[4:7], v109
	ds_read_b128 v[14:17], v110 offset:112
	ds_read_b128 v[18:21], v110 offset:336
	;; [unrolled: 1-line block ×4, first 2 shown]
	s_waitcnt lgkmcnt(3)
	;;#ASMSTART
	v_dot2_f32_f16 v0, v4, v14, v0
	;;#ASMEND
	s_nop 0
	;;#ASMSTART
	v_dot2_f32_f16 v0, v5, v15, v0
	;;#ASMEND
	v_xor_b32_e32 v123, 16, v108
	;;#ASMSTART
	v_dot2_f32_f16 v0, v6, v16, v0
	;;#ASMEND
	v_xor_b32_e32 v124, 8, v108
	;;#ASMSTART
	v_dot2_f32_f16 v0, v7, v17, v0
	;;#ASMEND
	s_waitcnt lgkmcnt(2)
	;;#ASMSTART
	v_dot2_f32_f16 v1, v4, v18, v1
	;;#ASMEND
	v_xor_b32_e32 v125, 4, v108
	;;#ASMSTART
	v_dot2_f32_f16 v1, v5, v19, v1
	;;#ASMEND
	v_max_f32_e32 v8, v13, v13
	;;#ASMSTART
	v_dot2_f32_f16 v1, v6, v20, v1
	;;#ASMEND
	v_max_f32_e32 v9, v12, v12
	;;#ASMSTART
	v_dot2_f32_f16 v1, v7, v21, v1
	;;#ASMEND
	s_waitcnt lgkmcnt(1)
	;;#ASMSTART
	v_dot2_f32_f16 v2, v4, v22, v2
	;;#ASMEND
	v_xor_b32_e32 v122, 2, v108
	;;#ASMSTART
	v_dot2_f32_f16 v2, v5, v23, v2
	;;#ASMEND
	v_xor_b32_e32 v120, 1, v108
	;;#ASMSTART
	v_dot2_f32_f16 v2, v6, v24, v2
	;;#ASMEND
	s_nop 0
	;;#ASMSTART
	v_dot2_f32_f16 v2, v7, v25, v2
	;;#ASMEND
	s_waitcnt lgkmcnt(0)
	;;#ASMSTART
	v_dot2_f32_f16 v3, v4, v26, v3
	;;#ASMEND
	s_nop 0
	;;#ASMSTART
	v_dot2_f32_f16 v3, v5, v27, v3
	;;#ASMEND
	s_nop 0
	;; [unrolled: 4-line block ×3, first 2 shown]
	;;#ASMSTART
	v_dot2_f32_f16 v3, v7, v29, v3
	;;#ASMEND
	ds_read_b128 v[4:7], v109 offset:16
	ds_read_b128 v[14:17], v110 offset:128
	;; [unrolled: 1-line block ×5, first 2 shown]
	s_waitcnt lgkmcnt(3)
	;;#ASMSTART
	v_dot2_f32_f16 v0, v4, v14, v0
	;;#ASMEND
	s_nop 0
	;;#ASMSTART
	v_dot2_f32_f16 v0, v5, v15, v0
	;;#ASMEND
	s_nop 0
	;;#ASMSTART
	v_dot2_f32_f16 v0, v6, v16, v0
	;;#ASMEND
	s_nop 0
	;;#ASMSTART
	v_dot2_f32_f16 v0, v7, v17, v0
	;;#ASMEND
	s_waitcnt lgkmcnt(2)
	;;#ASMSTART
	v_dot2_f32_f16 v1, v4, v18, v1
	;;#ASMEND
	s_nop 0
	;;#ASMSTART
	v_dot2_f32_f16 v1, v5, v19, v1
	;;#ASMEND
	s_nop 0
	;;#ASMSTART
	v_dot2_f32_f16 v1, v6, v20, v1
	;;#ASMEND
	s_nop 0
	;;#ASMSTART
	v_dot2_f32_f16 v1, v7, v21, v1
	;;#ASMEND
	;; [unrolled: 16-line block ×4, first 2 shown]
	ds_read_b128 v[4:7], v109 offset:32
	ds_read_b128 v[14:17], v110 offset:144
	;; [unrolled: 1-line block ×5, first 2 shown]
	s_waitcnt lgkmcnt(3)
	;;#ASMSTART
	v_dot2_f32_f16 v0, v4, v14, v0
	;;#ASMEND
	s_nop 0
	;;#ASMSTART
	v_dot2_f32_f16 v0, v5, v15, v0
	;;#ASMEND
	s_nop 0
	;;#ASMSTART
	v_dot2_f32_f16 v0, v6, v16, v0
	;;#ASMEND
	s_nop 0
	;;#ASMSTART
	v_dot2_f32_f16 v0, v7, v17, v0
	;;#ASMEND
	s_waitcnt lgkmcnt(2)
	;;#ASMSTART
	v_dot2_f32_f16 v1, v4, v18, v1
	;;#ASMEND
	s_nop 0
	;;#ASMSTART
	v_dot2_f32_f16 v1, v5, v19, v1
	;;#ASMEND
	s_nop 0
	;;#ASMSTART
	v_dot2_f32_f16 v1, v6, v20, v1
	;;#ASMEND
	s_nop 0
	;;#ASMSTART
	v_dot2_f32_f16 v1, v7, v21, v1
	;;#ASMEND
	;; [unrolled: 16-line block ×4, first 2 shown]
	ds_read_b128 v[4:7], v109 offset:48
	ds_read_b128 v[14:17], v110 offset:160
	;; [unrolled: 1-line block ×5, first 2 shown]
	s_waitcnt lgkmcnt(3)
	;;#ASMSTART
	v_dot2_f32_f16 v0, v4, v14, v0
	;;#ASMEND
	s_nop 0
	;;#ASMSTART
	v_dot2_f32_f16 v0, v5, v15, v0
	;;#ASMEND
	s_nop 0
	;;#ASMSTART
	v_dot2_f32_f16 v0, v6, v16, v0
	;;#ASMEND
	s_nop 0
	;;#ASMSTART
	v_dot2_f32_f16 v0, v7, v17, v0
	;;#ASMEND
	s_waitcnt lgkmcnt(2)
	;;#ASMSTART
	v_dot2_f32_f16 v1, v4, v18, v1
	;;#ASMEND
	s_nop 0
	;;#ASMSTART
	v_dot2_f32_f16 v1, v5, v19, v1
	;;#ASMEND
	s_nop 0
	;;#ASMSTART
	v_dot2_f32_f16 v1, v6, v20, v1
	;;#ASMEND
	s_nop 0
	;;#ASMSTART
	v_dot2_f32_f16 v1, v7, v21, v1
	;;#ASMEND
	;; [unrolled: 16-line block ×4, first 2 shown]
	ds_read_b128 v[4:7], v109 offset:64
	ds_read_b128 v[14:17], v110 offset:176
	;; [unrolled: 1-line block ×5, first 2 shown]
	s_waitcnt lgkmcnt(3)
	;;#ASMSTART
	v_dot2_f32_f16 v0, v4, v14, v0
	;;#ASMEND
	s_nop 0
	;;#ASMSTART
	v_dot2_f32_f16 v0, v5, v15, v0
	;;#ASMEND
	s_nop 0
	;;#ASMSTART
	v_dot2_f32_f16 v0, v6, v16, v0
	;;#ASMEND
	s_nop 0
	;;#ASMSTART
	v_dot2_f32_f16 v0, v7, v17, v0
	;;#ASMEND
	s_waitcnt lgkmcnt(2)
	;;#ASMSTART
	v_dot2_f32_f16 v1, v4, v18, v1
	;;#ASMEND
	s_nop 0
	;;#ASMSTART
	v_dot2_f32_f16 v1, v5, v19, v1
	;;#ASMEND
	s_nop 0
	;;#ASMSTART
	v_dot2_f32_f16 v1, v6, v20, v1
	;;#ASMEND
	s_nop 0
	;;#ASMSTART
	v_dot2_f32_f16 v1, v7, v21, v1
	;;#ASMEND
	;; [unrolled: 16-line block ×4, first 2 shown]
	ds_read_b128 v[4:7], v109 offset:80
	ds_read_b128 v[14:17], v110 offset:192
	;; [unrolled: 1-line block ×5, first 2 shown]
	s_waitcnt lgkmcnt(3)
	;;#ASMSTART
	v_dot2_f32_f16 v0, v4, v14, v0
	;;#ASMEND
	s_nop 0
	;;#ASMSTART
	v_dot2_f32_f16 v0, v5, v15, v0
	;;#ASMEND
	s_nop 0
	;;#ASMSTART
	v_dot2_f32_f16 v0, v6, v16, v0
	;;#ASMEND
	s_nop 0
	;;#ASMSTART
	v_dot2_f32_f16 v0, v7, v17, v0
	;;#ASMEND
	s_waitcnt lgkmcnt(2)
	;;#ASMSTART
	v_dot2_f32_f16 v1, v4, v18, v1
	;;#ASMEND
	s_nop 0
	;;#ASMSTART
	v_dot2_f32_f16 v1, v5, v19, v1
	;;#ASMEND
	s_nop 0
	;;#ASMSTART
	v_dot2_f32_f16 v1, v6, v20, v1
	;;#ASMEND
	s_nop 0
	;;#ASMSTART
	v_dot2_f32_f16 v1, v7, v21, v1
	;;#ASMEND
	;; [unrolled: 16-line block ×4, first 2 shown]
	ds_read_b128 v[4:7], v109 offset:96
	ds_read_b128 v[14:17], v110 offset:208
	;; [unrolled: 1-line block ×5, first 2 shown]
	s_waitcnt lgkmcnt(3)
	;;#ASMSTART
	v_dot2_f32_f16 v0, v4, v14, v0
	;;#ASMEND
	s_nop 0
	;;#ASMSTART
	v_dot2_f32_f16 v0, v5, v15, v0
	;;#ASMEND
	v_max_f32_e32 v14, v11, v11
	;;#ASMSTART
	v_dot2_f32_f16 v0, v6, v16, v0
	;;#ASMEND
	v_max_f32_e32 v15, v10, v10
	;;#ASMSTART
	v_dot2_f32_f16 v0, v7, v17, v0
	;;#ASMEND
	s_waitcnt lgkmcnt(2)
	;;#ASMSTART
	v_dot2_f32_f16 v1, v4, v18, v1
	;;#ASMEND
	s_nop 0
	;;#ASMSTART
	v_dot2_f32_f16 v1, v5, v19, v1
	;;#ASMEND
	s_nop 0
	;; [unrolled: 4-line block ×3, first 2 shown]
	;;#ASMSTART
	v_dot2_f32_f16 v1, v7, v21, v1
	;;#ASMEND
	s_waitcnt lgkmcnt(1)
	;;#ASMSTART
	v_dot2_f32_f16 v2, v4, v22, v2
	;;#ASMEND
	s_nop 0
	;;#ASMSTART
	v_dot2_f32_f16 v2, v5, v23, v2
	;;#ASMEND
	s_nop 0
	;; [unrolled: 4-line block ×3, first 2 shown]
	;;#ASMSTART
	v_dot2_f32_f16 v2, v7, v25, v2
	;;#ASMEND
	s_waitcnt lgkmcnt(0)
	;;#ASMSTART
	v_dot2_f32_f16 v3, v4, v26, v3
	;;#ASMEND
	v_add_u32_e32 v4, s42, v90
	;;#ASMSTART
	v_dot2_f32_f16 v3, v5, v27, v3
	;;#ASMEND
	v_ashrrev_i32_e32 v5, 31, v4
	;;#ASMSTART
	v_dot2_f32_f16 v3, v6, v28, v3
	;;#ASMEND
	v_lshl_add_u64 v[4:5], v[4:5], 1, s[56:57]
	;;#ASMSTART
	v_dot2_f32_f16 v3, v7, v29, v3
	;;#ASMEND
	flat_load_ushort v4, v[4:5]
	v_and_b32_e32 v5, 0x60, v108
	v_add_u32_e32 v121, 32, v5
	v_cmp_lt_i32_e64 s[14:15], v123, v121
	s_waitcnt lgkmcnt(0)
	s_barrier
	v_cndmask_b32_e64 v5, v108, v123, s[14:15]
	v_cmp_lt_i32_e64 s[14:15], v124, v121
	v_lshlrev_b32_e32 v18, 2, v5
	s_nop 0
	v_cndmask_b32_e64 v6, v108, v124, s[14:15]
	v_cmp_lt_i32_e64 s[14:15], v125, v121
	v_lshlrev_b32_e32 v19, 2, v6
	s_waitcnt vmcnt(0)
	v_cvt_f32_f16_e32 v4, v4
	v_cndmask_b32_e64 v7, v108, v125, s[14:15]
	v_lshlrev_b32_e32 v20, 2, v7
	v_cmp_lt_i32_e64 s[14:15], v122, v121
	v_pk_add_f32 v[6:7], v[2:3], v[4:5] op_sel_hi:[1,0]
	v_pk_add_f32 v[4:5], v[0:1], v[4:5] op_sel_hi:[1,0]
	;; [unrolled: 1-line block ×4, first 2 shown]
	v_max_f32_e32 v3, v8, v3
	v_max_f32_e32 v2, v9, v2
	;; [unrolled: 1-line block ×3, first 2 shown]
	ds_bpermute_b32 v8, v18, v3
	v_max_f32_e32 v0, v15, v0
	ds_bpermute_b32 v9, v18, v2
	ds_bpermute_b32 v14, v18, v1
	;; [unrolled: 1-line block ×3, first 2 shown]
	s_waitcnt lgkmcnt(3)
	v_max_f32_e32 v8, v8, v8
	v_max_f32_e32 v3, v3, v8
	s_waitcnt lgkmcnt(2)
	v_max_f32_e32 v9, v9, v9
	s_waitcnt lgkmcnt(1)
	;; [unrolled: 2-line block ×3, first 2 shown]
	v_max_f32_e32 v15, v15, v15
	v_max_f32_e32 v2, v2, v9
	;; [unrolled: 1-line block ×3, first 2 shown]
	ds_bpermute_b32 v8, v19, v3
	v_max_f32_e32 v0, v0, v15
	ds_bpermute_b32 v9, v19, v2
	ds_bpermute_b32 v14, v19, v1
	;; [unrolled: 1-line block ×3, first 2 shown]
	s_waitcnt lgkmcnt(3)
	v_max_f32_e32 v8, v8, v8
	v_max_f32_e32 v3, v3, v8
	s_waitcnt lgkmcnt(2)
	v_max_f32_e32 v9, v9, v9
	s_waitcnt lgkmcnt(1)
	;; [unrolled: 2-line block ×3, first 2 shown]
	v_max_f32_e32 v15, v15, v15
	v_max_f32_e32 v2, v2, v9
	;; [unrolled: 1-line block ×3, first 2 shown]
	ds_bpermute_b32 v8, v20, v3
	v_max_f32_e32 v0, v0, v15
	ds_bpermute_b32 v9, v20, v2
	ds_bpermute_b32 v14, v20, v1
	;; [unrolled: 1-line block ×3, first 2 shown]
	v_cndmask_b32_e64 v16, v108, v122, s[14:15]
	s_waitcnt lgkmcnt(3)
	v_max_f32_e32 v8, v8, v8
	v_lshlrev_b32_e32 v16, 2, v16
	s_waitcnt lgkmcnt(2)
	v_max_f32_e32 v9, v9, v9
	s_waitcnt lgkmcnt(1)
	v_max_f32_e32 v14, v14, v14
	v_max_f32_e32 v3, v3, v8
	s_waitcnt lgkmcnt(0)
	v_max_f32_e32 v15, v15, v15
	v_max_f32_e32 v2, v2, v9
	;; [unrolled: 1-line block ×3, first 2 shown]
	ds_bpermute_b32 v8, v16, v3
	ds_bpermute_b32 v9, v16, v2
	v_max_f32_e32 v0, v0, v15
	ds_bpermute_b32 v15, v16, v1
	ds_bpermute_b32 v14, v16, v0
	v_cmp_lt_i32_e64 s[14:15], v120, v121
	s_waitcnt lgkmcnt(3)
	v_max_f32_e32 v8, v8, v8
	s_waitcnt lgkmcnt(2)
	v_max_f32_e32 v9, v9, v9
	v_cndmask_b32_e64 v17, v108, v120, s[14:15]
	v_max_f32_e32 v3, v3, v8
	s_waitcnt lgkmcnt(1)
	v_max_f32_e32 v8, v15, v15
	v_lshlrev_b32_e32 v17, 2, v17
	v_max_f32_e32 v2, v2, v9
	v_max_f32_e32 v1, v1, v8
	s_waitcnt lgkmcnt(0)
	v_max_f32_e32 v8, v14, v14
	ds_bpermute_b32 v9, v17, v3
	v_max_f32_e32 v0, v0, v8
	ds_bpermute_b32 v8, v17, v2
	ds_bpermute_b32 v15, v17, v1
	;; [unrolled: 1-line block ×3, first 2 shown]
	s_waitcnt lgkmcnt(3)
	v_max_f32_e32 v9, v9, v9
	v_max_f32_e32 v3, v3, v9
	s_waitcnt lgkmcnt(2)
	v_max_f32_e32 v8, v8, v8
	v_max_f32_e32 v2, v2, v8
	;; [unrolled: 3-line block ×3, first 2 shown]
	s_waitcnt lgkmcnt(0)
	v_max_f32_e32 v8, v14, v14
	v_sub_f32_e32 v7, v7, v3
	v_max_f32_e32 v0, v0, v8
	v_mul_f32_e32 v8, 0x3fb8aa3b, v7
	v_fma_f32 v9, v7, s59, -v8
	v_rndne_f32_e32 v14, v8
	v_fmac_f32_e32 v9, 0x32a5705f, v7
	v_sub_f32_e32 v8, v8, v14
	v_add_f32_e32 v8, v8, v9
	v_exp_f32_e32 v8, v8
	v_cvt_i32_f32_e32 v9, v14
	v_sub_f32_e32 v6, v6, v2
	v_cmp_ngt_f32_e64 s[14:15], s60, v7
	v_sub_f32_e32 v5, v5, v1
	v_ldexp_f32 v8, v8, v9
	v_mul_f32_e32 v9, 0x3fb8aa3b, v6
	v_fma_f32 v14, v6, s59, -v9
	v_rndne_f32_e32 v15, v9
	v_fmac_f32_e32 v14, 0x32a5705f, v6
	v_sub_f32_e32 v9, v9, v15
	v_add_f32_e32 v9, v9, v14
	v_exp_f32_e32 v9, v9
	v_cvt_i32_f32_e32 v14, v15
	v_cndmask_b32_e64 v8, 0, v8, s[14:15]
	v_cmp_nlt_f32_e64 s[14:15], s61, v7
	v_sub_f32_e32 v4, v4, v0
	v_ldexp_f32 v7, v9, v14
	v_cndmask_b32_e64 v103, v119, v8, s[14:15]
	v_mul_f32_e32 v8, 0x3fb8aa3b, v5
	v_fma_f32 v9, v5, s59, -v8
	v_rndne_f32_e32 v14, v8
	v_fmac_f32_e32 v9, 0x32a5705f, v5
	v_sub_f32_e32 v8, v8, v14
	v_add_f32_e32 v8, v8, v9
	v_exp_f32_e32 v8, v8
	v_cvt_i32_f32_e32 v9, v14
	v_cmp_ngt_f32_e64 s[14:15], s60, v6
	s_nop 1
	v_cndmask_b32_e64 v7, 0, v7, s[14:15]
	v_cmp_nlt_f32_e64 s[14:15], s61, v6
	v_ldexp_f32 v6, v8, v9
	s_nop 0
	v_cndmask_b32_e64 v102, v119, v7, s[14:15]
	v_mul_f32_e32 v7, 0x3fb8aa3b, v4
	v_fma_f32 v8, v4, s59, -v7
	v_rndne_f32_e32 v9, v7
	v_fmac_f32_e32 v8, 0x32a5705f, v4
	v_sub_f32_e32 v7, v7, v9
	v_add_f32_e32 v7, v7, v8
	v_exp_f32_e32 v7, v7
	v_cvt_i32_f32_e32 v8, v9
	v_cmp_ngt_f32_e64 s[14:15], s60, v5
	s_nop 1
	v_cndmask_b32_e64 v6, 0, v6, s[14:15]
	v_cmp_nlt_f32_e64 s[14:15], s61, v5
	v_ldexp_f32 v5, v7, v8
	s_nop 0
	v_cndmask_b32_e64 v105, v119, v6, s[14:15]
	v_cmp_ngt_f32_e64 s[14:15], s60, v4
	v_cvt_f16_f32_e32 v6, v105
	s_nop 0
	v_cndmask_b32_e64 v5, 0, v5, s[14:15]
	v_cmp_nlt_f32_e64 s[14:15], s61, v4
	v_cvt_f16_f32_e32 v4, v103
	s_nop 0
	v_cndmask_b32_e64 v104, v119, v5, s[14:15]
	v_cvt_f16_f32_e32 v5, v102
	v_cvt_f16_f32_e32 v7, v104
	s_mul_hi_i32 s15, s42, s43
	s_mul_i32 s14, s42, s43
	s_lshl_b64 s[14:15], s[14:15], 2
	s_add_u32 s14, s53, s14
	v_pack_b32_f16 v5, v5, v4
	v_pack_b32_f16 v4, v7, v6
	v_add_u32_e32 v6, v114, v115
	s_addc_u32 s15, s58, s15
	ds_write_b64 v6, v[4:5]
	s_and_saveexec_b64 s[16:17], s[8:9]
	s_cbranch_execnz .LBB5_33
; %bb.20:                               ;   in Loop: Header=BB5_11 Depth=1
	s_or_b64 exec, exec, s[16:17]
	s_and_saveexec_b64 s[16:17], s[10:11]
	s_cbranch_execnz .LBB5_34
.LBB5_21:                               ;   in Loop: Header=BB5_11 Depth=1
	s_or_b64 exec, exec, s[16:17]
	v_lshlrev_b32_e32 v106, 2, v96
	s_and_saveexec_b64 s[16:17], s[12:13]
	s_cbranch_execz .LBB5_23
.LBB5_22:                               ;   in Loop: Header=BB5_11 Depth=1
	v_lshl_add_u64 v[4:5], v[98:99], 2, s[14:15]
	v_mov_b32_e32 v107, v87
	v_lshl_add_u64 v[4:5], v[4:5], 0, v[106:107]
	global_load_dwordx4 v[4:7], v[4:5], off
	s_waitcnt vmcnt(0)
	ds_write_b128 v118, v[4:7]
.LBB5_23:                               ;   in Loop: Header=BB5_11 Depth=1
	s_or_b64 exec, exec, s[16:17]
	v_add_u32_e32 v129, 0x1800, v115
	v_add_u32_e32 v128, 0x1c00, v115
	;; [unrolled: 1-line block ×3, first 2 shown]
	v_sub_f32_e32 v130, v12, v2
	v_sub_f32_e32 v131, v13, v3
	s_waitcnt lgkmcnt(0)
	s_barrier
	ds_read2_b64 v[60:63], v129 offset0:128 offset1:156
	ds_read_b128 v[64:67], v114
	ds_read_b128 v[52:55], v114 offset:16
	ds_read_b128 v[44:47], v114 offset:32
	;; [unrolled: 1-line block ×3, first 2 shown]
	ds_read2_b64 v[56:59], v129 offset0:184 offset1:212
	ds_read2_b64 v[48:51], v128 offset0:112 offset1:140
	;; [unrolled: 1-line block ×5, first 2 shown]
	ds_read_b128 v[36:39], v114 offset:64
	ds_read_b128 v[24:27], v114 offset:80
	ds_read2_b64 v[12:15], v127 offset0:208 offset1:236
	v_add_u32_e32 v126, 0x2800, v115
	v_sub_f32_e32 v132, v10, v0
	v_sub_f32_e32 v133, v11, v1
	ds_read2_b64 v[4:7], v126 offset0:8 offset1:36
	ds_read_b128 v[16:19], v114 offset:96
	ds_read_b128 v[8:11], v114 offset:112
	s_or_b32 s38, s42, 16
	s_mul_hi_i32 s39, s38, s43
	s_mul_i32 s38, s38, s43
	s_lshl_b64 s[38:39], s[38:39], 2
	s_add_u32 s38, s53, s38
	v_cmp_ngt_f32_e64 s[26:27], s60, v133
	v_cmp_nlt_f32_e64 s[28:29], s61, v133
	v_cmp_ngt_f32_e64 s[22:23], s60, v132
	v_cmp_nlt_f32_e64 s[24:25], s61, v132
	;; [unrolled: 2-line block ×4, first 2 shown]
	s_addc_u32 s39, s58, s39
	s_waitcnt lgkmcnt(0)
	s_barrier
	s_and_saveexec_b64 s[40:41], s[8:9]
	s_cbranch_execnz .LBB5_35
; %bb.24:                               ;   in Loop: Header=BB5_11 Depth=1
	s_or_b64 exec, exec, s[40:41]
	s_and_saveexec_b64 s[40:41], s[10:11]
	s_cbranch_execnz .LBB5_36
.LBB5_25:                               ;   in Loop: Header=BB5_11 Depth=1
	s_or_b64 exec, exec, s[40:41]
	s_and_saveexec_b64 s[40:41], s[12:13]
	s_cbranch_execz .LBB5_27
.LBB5_26:                               ;   in Loop: Header=BB5_11 Depth=1
	v_lshl_add_u64 v[134:135], v[98:99], 2, s[38:39]
	v_mov_b32_e32 v107, v87
	v_lshl_add_u64 v[106:107], v[134:135], 0, v[106:107]
	global_load_dwordx4 v[134:137], v[106:107], off
	s_waitcnt vmcnt(0)
	ds_write_b128 v118, v[134:137]
.LBB5_27:                               ;   in Loop: Header=BB5_11 Depth=1
	s_or_b64 exec, exec, s[40:41]
	v_mul_f32_e32 v101, 0x3fb8aa3b, v133
	v_fma_f32 v106, v133, s59, -v101
	v_rndne_f32_e32 v107, v101
	v_fmac_f32_e32 v106, 0x32a5705f, v133
	v_sub_f32_e32 v101, v101, v107
	v_add_f32_e32 v101, v101, v106
	v_cvt_i32_f32_e32 v106, v107
	v_mul_f32_e32 v107, 0x3fb8aa3b, v132
	v_fma_f32 v133, v132, s59, -v107
	v_fmac_f32_e32 v133, 0x32a5705f, v132
	v_rndne_f32_e32 v132, v107
	v_exp_f32_e32 v101, v101
	v_sub_f32_e32 v107, v107, v132
	v_add_f32_e32 v107, v107, v133
	v_exp_f32_e32 v133, v107
	v_cvt_i32_f32_e32 v132, v132
	v_ldexp_f32 v101, v101, v106
	v_cndmask_b32_e64 v101, 0, v101, s[26:27]
	v_cndmask_b32_e64 v107, v119, v101, s[28:29]
	v_ldexp_f32 v101, v133, v132
	v_cndmask_b32_e64 v101, 0, v101, s[22:23]
	v_cndmask_b32_e64 v106, v119, v101, s[24:25]
	v_mul_f32_e32 v101, 0x3fb8aa3b, v131
	v_fma_f32 v132, v131, s59, -v101
	v_fmac_f32_e32 v132, 0x32a5705f, v131
	v_rndne_f32_e32 v131, v101
	v_sub_f32_e32 v101, v101, v131
	v_add_f32_e32 v101, v101, v132
	v_mul_f32_e32 v132, 0x3fb8aa3b, v130
	v_fma_f32 v133, v130, s59, -v132
	v_fmac_f32_e32 v133, 0x32a5705f, v130
	v_rndne_f32_e32 v130, v132
	v_exp_f32_e32 v101, v101
	v_cvt_i32_f32_e32 v131, v131
	v_sub_f32_e32 v132, v132, v130
	v_add_f32_e32 v132, v132, v133
	v_exp_f32_e32 v132, v132
	v_cvt_i32_f32_e32 v130, v130
	v_ldexp_f32 v101, v101, v131
	v_cndmask_b32_e64 v101, 0, v101, s[18:19]
	v_cndmask_b32_e64 v131, v119, v101, s[20:21]
	v_ldexp_f32 v101, v132, v130
	v_cndmask_b32_e64 v101, 0, v101, s[14:15]
	v_cvt_f16_f32_e32 v134, v131
	v_cndmask_b32_e64 v130, v119, v101, s[16:17]
	v_cvt_f16_f32_e32 v101, v106
	v_cvt_f16_f32_e32 v132, v107
	;; [unrolled: 1-line block ×3, first 2 shown]
	v_pk_mul_f16 v73, v134, v73 op_sel_hi:[0,1]
	v_pk_mul_f16 v75, v134, v75 op_sel_hi:[0,1]
	;; [unrolled: 1-line block ×4, first 2 shown]
	v_pk_fma_f16 v97, v101, v97, v134 op_sel_hi:[0,1,1]
	v_pk_mul_f16 v101, v60, v64 op_sel:[0,1]
	v_pk_mul_f16 v74, v132, v74 op_sel_hi:[0,1]
	v_pk_mul_f16 v72, v133, v72 op_sel_hi:[0,1]
	v_pk_fma_f16 v91, v132, v91, v101 op_sel_hi:[0,1,1]
	v_pk_mul_f16 v101, v60, v65 op_sel_hi:[1,0]
	v_pk_fma_f16 v60, v60, v65, v73 op_sel:[0,1,0]
	v_pk_fma_f16 v77, v133, v77, v101 op_sel_hi:[0,1,1]
	v_pk_fma_f16 v73, v61, v64, v76 op_sel_hi:[1,0,1]
	v_pk_fma_f16 v64, v61, v64, v74 op_sel:[0,1,0]
	v_pk_fma_f16 v72, v61, v65, v72 op_sel_hi:[1,0,1]
	v_pk_fma_f16 v61, v61, v65, v75 op_sel:[0,1,0]
	;; [unrolled: 2-line block ×62, first 2 shown]
	s_waitcnt lgkmcnt(0)
	s_barrier
	ds_read2_b64 v[4:7], v129 offset0:128 offset1:156
	ds_read_b128 v[8:11], v114 offset:128
	ds_read_b128 v[12:15], v114 offset:144
	ds_read_b128 v[16:19], v114 offset:160
	ds_read_b128 v[20:23], v114 offset:176
	v_pk_fma_f32 v[78:79], v[78:79], v[130:131], v[102:103]
	v_pk_fma_f32 v[80:81], v[80:81], v[106:107], v[104:105]
	s_waitcnt lgkmcnt(3)
	v_pk_fma_f16 v24, v4, v8, v24 op_sel_hi:[1,0,1]
	v_pk_fma_f16 v25, v4, v8, v25 op_sel:[0,1,0]
	v_pk_fma_f16 v26, v4, v9, v26 op_sel_hi:[1,0,1]
	v_pk_fma_f16 v4, v4, v9, v27 op_sel:[0,1,0]
	;; [unrolled: 2-line block ×5, first 2 shown]
	v_pk_fma_f16 v31, v6, v11, v26 op_sel_hi:[1,0,1]
	ds_read2_b64 v[24:27], v129 offset0:184 offset1:212
	v_pk_fma_f16 v4, v6, v11, v4 op_sel:[0,1,0]
	v_pk_fma_f16 v6, v7, v10, v28 op_sel_hi:[1,0,1]
	v_pk_fma_f16 v8, v7, v10, v8 op_sel:[0,1,0]
	v_pk_fma_f16 v10, v7, v11, v29 op_sel_hi:[1,0,1]
	v_pk_fma_f16 v5, v7, v11, v5 op_sel:[0,1,0]
	s_waitcnt lgkmcnt(0)
	v_pk_fma_f16 v7, v24, v12, v9 op_sel_hi:[1,0,1]
	v_pk_fma_f16 v4, v24, v13, v4 op_sel:[0,1,0]
	v_pk_fma_f16 v9, v24, v12, v30 op_sel:[0,1,0]
	v_pk_fma_f16 v11, v24, v13, v31 op_sel_hi:[1,0,1]
	v_pk_fma_f16 v24, v25, v12, v6 op_sel_hi:[1,0,1]
	v_pk_fma_f16 v8, v25, v12, v8 op_sel:[0,1,0]
	v_pk_fma_f16 v10, v25, v13, v10 op_sel_hi:[1,0,1]
	v_pk_fma_f16 v12, v25, v13, v5 op_sel:[0,1,0]
	;; [unrolled: 2-line block ×3, first 2 shown]
	ds_read2_b64 v[4:7], v128 offset0:112 offset1:140
	v_pk_fma_f16 v9, v26, v14, v9 op_sel:[0,1,0]
	v_pk_fma_f16 v11, v26, v15, v11 op_sel_hi:[1,0,1]
	v_pk_fma_f16 v24, v27, v14, v24 op_sel_hi:[1,0,1]
	v_pk_fma_f16 v8, v27, v14, v8 op_sel:[0,1,0]
	v_pk_fma_f16 v10, v27, v15, v10 op_sel_hi:[1,0,1]
	v_pk_fma_f16 v12, v27, v15, v12 op_sel:[0,1,0]
	s_waitcnt lgkmcnt(0)
	v_pk_fma_f16 v13, v4, v16, v13 op_sel_hi:[1,0,1]
	v_pk_fma_f16 v9, v4, v16, v9 op_sel:[0,1,0]
	v_pk_fma_f16 v11, v4, v17, v11 op_sel_hi:[1,0,1]
	v_pk_fma_f16 v4, v4, v17, v25 op_sel:[0,1,0]
	;; [unrolled: 2-line block ×5, first 2 shown]
	v_pk_fma_f16 v17, v6, v19, v11 op_sel_hi:[1,0,1]
	ds_read2_b64 v[8:11], v127 offset0:40 offset1:68
	v_pk_fma_f16 v4, v6, v19, v4 op_sel:[0,1,0]
	v_pk_fma_f16 v6, v7, v18, v14 op_sel_hi:[1,0,1]
	v_pk_fma_f16 v14, v7, v18, v15 op_sel:[0,1,0]
	v_pk_fma_f16 v15, v7, v19, v16 op_sel_hi:[1,0,1]
	v_pk_fma_f16 v5, v7, v19, v5 op_sel:[0,1,0]
	s_waitcnt lgkmcnt(0)
	v_pk_fma_f16 v7, v8, v20, v12 op_sel_hi:[1,0,1]
	v_pk_fma_f16 v12, v8, v20, v13 op_sel:[0,1,0]
	v_pk_fma_f16 v13, v8, v21, v17 op_sel_hi:[1,0,1]
	v_pk_fma_f16 v4, v8, v21, v4 op_sel:[0,1,0]
	;; [unrolled: 2-line block ×6, first 2 shown]
	v_pk_fma_f16 v21, v11, v22, v6 op_sel_hi:[1,0,1]
	ds_read2_b64 v[4:7], v127 offset0:96 offset1:124
	ds_read_b128 v[12:15], v114 offset:192
	v_pk_fma_f16 v22, v11, v22, v8 op_sel:[0,1,0]
	v_pk_fma_f16 v16, v11, v23, v16 op_sel_hi:[1,0,1]
	v_pk_fma_f16 v23, v11, v23, v9 op_sel:[0,1,0]
	ds_read_b128 v[8:11], v114 offset:208
	s_waitcnt lgkmcnt(1)
	v_pk_fma_f16 v17, v4, v12, v17 op_sel_hi:[1,0,1]
	v_pk_fma_f16 v18, v4, v12, v18 op_sel:[0,1,0]
	v_pk_fma_f16 v19, v4, v13, v19 op_sel_hi:[1,0,1]
	v_pk_fma_f16 v4, v4, v13, v20 op_sel:[0,1,0]
	;; [unrolled: 2-line block ×5, first 2 shown]
	v_pk_fma_f16 v23, v6, v15, v19 op_sel_hi:[1,0,1]
	ds_read2_b64 v[16:19], v127 offset0:152 offset1:180
	v_pk_fma_f16 v4, v6, v15, v4 op_sel:[0,1,0]
	v_pk_fma_f16 v6, v7, v14, v20 op_sel_hi:[1,0,1]
	v_pk_fma_f16 v12, v7, v14, v12 op_sel:[0,1,0]
	v_pk_fma_f16 v14, v7, v15, v21 op_sel_hi:[1,0,1]
	v_pk_fma_f16 v5, v7, v15, v5 op_sel:[0,1,0]
	s_waitcnt lgkmcnt(0)
	v_pk_fma_f16 v7, v16, v8, v13 op_sel_hi:[1,0,1]
	v_pk_fma_f16 v13, v16, v8, v22 op_sel:[0,1,0]
	v_pk_fma_f16 v15, v16, v9, v23 op_sel_hi:[1,0,1]
	v_pk_fma_f16 v4, v16, v9, v4 op_sel:[0,1,0]
	;; [unrolled: 2-line block ×6, first 2 shown]
	v_pk_fma_f16 v22, v19, v10, v6 op_sel_hi:[1,0,1]
	ds_read2_b64 v[4:7], v127 offset0:208 offset1:236
	ds_read_b128 v[12:15], v114 offset:224
	v_pk_fma_f16 v23, v19, v10, v8 op_sel:[0,1,0]
	v_pk_fma_f16 v16, v19, v11, v16 op_sel_hi:[1,0,1]
	v_pk_fma_f16 v19, v19, v11, v9 op_sel:[0,1,0]
	ds_read_b128 v[8:11], v114 offset:240
	s_waitcnt lgkmcnt(1)
	v_pk_fma_f16 v17, v4, v12, v17 op_sel_hi:[1,0,1]
	v_pk_fma_f16 v20, v4, v12, v20 op_sel:[0,1,0]
	v_pk_fma_f16 v21, v4, v13, v21 op_sel_hi:[1,0,1]
	v_pk_fma_f16 v4, v4, v13, v18 op_sel:[0,1,0]
	;; [unrolled: 2-line block ×4, first 2 shown]
	v_pk_fma_f16 v13, v6, v14, v17 op_sel_hi:[1,0,1]
	ds_read2_b64 v[16:19], v126 offset0:8 offset1:36
	s_waitcnt lgkmcnt(0)
	s_barrier
	s_load_dword s14, s[36:37], 0x4
	v_pk_fma_f16 v20, v6, v14, v20 op_sel:[0,1,0]
	v_pk_fma_f16 v21, v6, v15, v21 op_sel_hi:[1,0,1]
	v_pk_fma_f16 v4, v6, v15, v4 op_sel:[0,1,0]
	v_pk_fma_f16 v6, v7, v14, v22 op_sel_hi:[1,0,1]
	;; [unrolled: 2-line block ×3, first 2 shown]
	v_pk_fma_f16 v5, v7, v15, v5 op_sel:[0,1,0]
	s_waitcnt lgkmcnt(0)
	s_lshl_b32 s14, s14, 5
	v_pk_fma_f16 v7, v16, v8, v13 op_sel_hi:[1,0,1]
	v_pk_fma_f16 v13, v16, v8, v20 op_sel:[0,1,0]
	v_pk_fma_f16 v15, v16, v9, v21 op_sel_hi:[1,0,1]
	v_pk_fma_f16 v4, v16, v9, v4 op_sel:[0,1,0]
	;; [unrolled: 2-line block ×4, first 2 shown]
	s_add_i32 s42, s14, s42
	v_pk_fma_f16 v97, v18, v10, v7 op_sel_hi:[1,0,1]
	v_pk_fma_f16 v91, v18, v10, v13 op_sel:[0,1,0]
	v_pk_fma_f16 v77, v18, v11, v15 op_sel_hi:[1,0,1]
	v_pk_fma_f16 v73, v18, v11, v4 op_sel:[0,1,0]
	;; [unrolled: 2-line block ×3, first 2 shown]
	v_pk_fma_f16 v72, v19, v11, v12 op_sel_hi:[1,0,1]
	s_cmp_ge_i32 s42, s34
	v_pk_fma_f16 v75, v19, v11, v5 op_sel:[0,1,0]
	s_cbranch_scc1 .LBB5_37
; %bb.28:                               ;   in Loop: Header=BB5_11 Depth=1
	v_mov_b32_e32 v10, v0
	v_mov_b32_e32 v11, v1
	;; [unrolled: 1-line block ×4, first 2 shown]
	s_branch .LBB5_11
.LBB5_29:                               ;   in Loop: Header=BB5_11 Depth=1
	global_load_dwordx4 v[0:3], v[8:9], off offset:96
	s_waitcnt vmcnt(0)
	ds_write_b128 v111, v[0:3]
	s_or_b64 exec, exec, s[16:17]
	v_lshl_add_u64 v[4:5], v[84:85], 2, s[14:15]
	s_and_saveexec_b64 s[16:17], s[4:5]
	s_cbranch_execz .LBB5_13
.LBB5_30:                               ;   in Loop: Header=BB5_11 Depth=1
	v_lshl_add_u64 v[0:1], v[4:5], 0, v[86:87]
	global_load_dwordx4 v[0:3], v[0:1], off offset:64
	s_waitcnt vmcnt(0)
	ds_write_b128 v112, v[0:3]
	s_or_b64 exec, exec, s[16:17]
	v_lshl_add_u64 v[6:7], v[88:89], 2, s[14:15]
	s_and_saveexec_b64 s[14:15], s[6:7]
	s_cbranch_execnz .LBB5_14
	s_branch .LBB5_15
.LBB5_31:                               ;   in Loop: Header=BB5_11 Depth=1
	global_load_dwordx4 v[14:17], v[8:9], off offset:208
	s_waitcnt vmcnt(0)
	ds_write_b128 v111, v[14:17]
	s_or_b64 exec, exec, s[14:15]
	s_and_saveexec_b64 s[14:15], s[4:5]
	s_cbranch_execz .LBB5_17
.LBB5_32:                               ;   in Loop: Header=BB5_11 Depth=1
	v_lshl_add_u64 v[4:5], v[4:5], 0, v[86:87]
	global_load_dwordx4 v[14:17], v[4:5], off offset:176
	s_waitcnt vmcnt(0)
	ds_write_b128 v112, v[14:17]
	s_or_b64 exec, exec, s[14:15]
	s_and_saveexec_b64 s[14:15], s[6:7]
	s_cbranch_execnz .LBB5_18
	s_branch .LBB5_19
.LBB5_33:                               ;   in Loop: Header=BB5_11 Depth=1
	v_lshl_add_u64 v[4:5], v[92:93], 2, s[14:15]
	v_lshl_add_u64 v[4:5], v[4:5], 0, v[86:87]
	global_load_dwordx4 v[4:7], v[4:5], off offset:192
	s_waitcnt vmcnt(0)
	ds_write_b128 v116, v[4:7]
	s_or_b64 exec, exec, s[16:17]
	s_and_saveexec_b64 s[16:17], s[10:11]
	s_cbranch_execz .LBB5_21
.LBB5_34:                               ;   in Loop: Header=BB5_11 Depth=1
	v_lshl_add_u64 v[4:5], v[94:95], 2, s[14:15]
	v_mov_b32_e32 v101, v87
	v_lshl_add_u64 v[4:5], v[4:5], 0, v[100:101]
	global_load_dwordx4 v[4:7], v[4:5], off offset:128
	s_waitcnt vmcnt(0)
	ds_write_b128 v117, v[4:7]
	s_or_b64 exec, exec, s[16:17]
	v_lshlrev_b32_e32 v106, 2, v96
	s_and_saveexec_b64 s[16:17], s[12:13]
	s_cbranch_execnz .LBB5_22
	s_branch .LBB5_23
.LBB5_35:                               ;   in Loop: Header=BB5_11 Depth=1
	v_lshl_add_u64 v[134:135], v[92:93], 2, s[38:39]
	v_lshl_add_u64 v[134:135], v[134:135], 0, v[86:87]
	global_load_dwordx4 v[134:137], v[134:135], off offset:192
	s_waitcnt vmcnt(0)
	ds_write_b128 v116, v[134:137]
	s_or_b64 exec, exec, s[40:41]
	s_and_saveexec_b64 s[40:41], s[10:11]
	s_cbranch_execz .LBB5_25
.LBB5_36:                               ;   in Loop: Header=BB5_11 Depth=1
	v_lshl_add_u64 v[134:135], v[94:95], 2, s[38:39]
	v_mov_b32_e32 v101, v87
	v_lshl_add_u64 v[134:135], v[134:135], 0, v[100:101]
	global_load_dwordx4 v[134:137], v[134:135], off offset:128
	s_waitcnt vmcnt(0)
	ds_write_b128 v117, v[134:137]
	s_or_b64 exec, exec, s[40:41]
	s_and_saveexec_b64 s[40:41], s[12:13]
	s_cbranch_execnz .LBB5_26
	s_branch .LBB5_27
.LBB5_37:
	v_cmp_lt_i32_e32 vcc, v123, v121
	s_cmp_lg_u64 s[44:45], 0
	s_cselect_b64 s[4:5], -1, 0
	v_cndmask_b32_e32 v4, v108, v123, vcc
	v_cmp_lt_i32_e32 vcc, v124, v121
	v_lshlrev_b32_e32 v7, 2, v4
	ds_bpermute_b32 v5, v7, v81
	v_cndmask_b32_e32 v4, v108, v124, vcc
	v_cmp_lt_i32_e32 vcc, v125, v121
	v_lshlrev_b32_e32 v11, 2, v4
	ds_bpermute_b32 v6, v7, v78
	v_cndmask_b32_e32 v4, v108, v125, vcc
	v_lshlrev_b32_e32 v12, 2, v4
	ds_bpermute_b32 v4, v7, v80
	ds_bpermute_b32 v7, v7, v79
	v_cmp_lt_i32_e32 vcc, v122, v121
	s_cmp_eq_u32 s3, 0
	s_cselect_b64 s[6:7], -1, 0
	s_waitcnt lgkmcnt(1)
	v_pk_add_f32 v[4:5], v[80:81], v[4:5]
	s_waitcnt lgkmcnt(0)
	v_pk_add_f32 v[6:7], v[78:79], v[6:7]
	ds_bpermute_b32 v8, v11, v4
	ds_bpermute_b32 v9, v11, v5
	;; [unrolled: 1-line block ×4, first 2 shown]
	v_cndmask_b32_e32 v13, v108, v122, vcc
	v_lshlrev_b32_e32 v13, 2, v13
	s_waitcnt lgkmcnt(2)
	v_pk_add_f32 v[4:5], v[4:5], v[8:9]
	ds_bpermute_b32 v8, v12, v4
	s_waitcnt lgkmcnt(1)
	v_pk_add_f32 v[6:7], v[6:7], v[10:11]
	ds_bpermute_b32 v9, v12, v5
	ds_bpermute_b32 v10, v12, v6
	;; [unrolled: 1-line block ×3, first 2 shown]
	v_cmp_lt_i32_e32 vcc, v120, v121
	s_and_b64 s[4:5], s[6:7], s[4:5]
	s_waitcnt lgkmcnt(2)
	v_pk_add_f32 v[4:5], v[4:5], v[8:9]
	ds_bpermute_b32 v8, v13, v4
	s_waitcnt lgkmcnt(1)
	v_pk_add_f32 v[6:7], v[6:7], v[10:11]
	ds_bpermute_b32 v9, v13, v5
	ds_bpermute_b32 v10, v13, v6
	;; [unrolled: 1-line block ×3, first 2 shown]
	v_cndmask_b32_e32 v12, v108, v120, vcc
	v_lshlrev_b32_e32 v13, 2, v12
	s_waitcnt lgkmcnt(2)
	v_pk_add_f32 v[4:5], v[4:5], v[8:9]
	ds_bpermute_b32 v8, v13, v4
	s_waitcnt lgkmcnt(1)
	v_pk_add_f32 v[10:11], v[6:7], v[10:11]
	ds_bpermute_b32 v9, v13, v5
	ds_bpermute_b32 v12, v13, v10
	;; [unrolled: 1-line block ×3, first 2 shown]
	s_and_b64 vcc, exec, s[4:5]
	s_waitcnt lgkmcnt(2)
	v_pk_add_f32 v[6:7], v[4:5], v[8:9]
	s_waitcnt lgkmcnt(0)
	v_pk_add_f32 v[4:5], v[10:11], v[12:13]
	s_cbranch_vccz .LBB5_39
; %bb.38:
	v_add_u32_e32 v8, s35, v71
	v_ashrrev_i32_e32 v9, 31, v8
	v_lshl_add_u64 v[8:9], v[8:9], 2, s[44:45]
	global_load_dwordx4 v[8:11], v[8:9], off
	v_max_f32_e32 v12, v1, v1
	v_max_f32_e32 v14, v0, v0
	;; [unrolled: 1-line block ×4, first 2 shown]
	s_mov_b32 s5, 0x3fb8aa3b
	s_mov_b32 s2, 0xc2ce8ed0
	;; [unrolled: 1-line block ×3, first 2 shown]
	v_mov_b32_e32 v16, 0x7f800000
	s_waitcnt vmcnt(0)
	v_max_f32_e32 v13, v9, v9
	v_max_f32_e32 v18, v8, v8
	;; [unrolled: 1-line block ×6, first 2 shown]
	v_pk_add_f32 v[0:1], v[0:1], v[12:13] neg_lo:[0,1] neg_hi:[0,1]
	v_max_f32_e32 v15, v15, v19
	v_max_f32_e32 v14, v17, v20
	v_mul_f32_e32 v17, 0x3fb8aa3b, v1
	v_pk_add_f32 v[2:3], v[2:3], v[14:15] neg_lo:[0,1] neg_hi:[0,1]
	v_mul_f32_e32 v18, 0x3fb8aa3b, v0
	v_fma_f32 v23, v1, s5, -v17
	v_rndne_f32_e32 v24, v17
	v_mul_f32_e32 v19, 0x3fb8aa3b, v3
	v_fma_f32 v25, v0, s5, -v18
	v_rndne_f32_e32 v26, v18
	v_fmac_f32_e32 v23, 0x32a5705f, v1
	v_sub_f32_e32 v17, v17, v24
	v_mul_f32_e32 v20, 0x3fb8aa3b, v2
	v_fma_f32 v27, v3, s5, -v19
	v_rndne_f32_e32 v28, v19
	v_fmac_f32_e32 v25, 0x32a5705f, v0
	v_sub_f32_e32 v18, v18, v26
	v_add_f32_e32 v17, v17, v23
	v_fma_f32 v29, v2, s5, -v20
	v_rndne_f32_e32 v30, v20
	v_cvt_i32_f32_e32 v24, v24
	v_fmac_f32_e32 v27, 0x32a5705f, v3
	v_sub_f32_e32 v19, v19, v28
	v_add_f32_e32 v18, v18, v25
	v_exp_f32_e32 v17, v17
	v_cvt_i32_f32_e32 v26, v26
	v_fmac_f32_e32 v29, 0x32a5705f, v2
	v_sub_f32_e32 v20, v20, v30
	v_add_f32_e32 v19, v19, v27
	v_exp_f32_e32 v18, v18
	v_cvt_i32_f32_e32 v28, v28
	v_add_f32_e32 v20, v20, v29
	v_exp_f32_e32 v19, v19
	v_cvt_i32_f32_e32 v30, v30
	v_exp_f32_e32 v20, v20
	v_ldexp_f32 v17, v17, v24
	v_cmp_ngt_f32_e32 vcc, s2, v1
	v_ldexp_f32 v18, v18, v26
	v_ldexp_f32 v19, v19, v28
	v_cndmask_b32_e32 v17, 0, v17, vcc
	v_cmp_ngt_f32_e32 vcc, s2, v0
	v_ldexp_f32 v20, v20, v30
	v_pk_add_f32 v[10:11], v[10:11], v[14:15] neg_lo:[0,1] neg_hi:[0,1]
	v_cndmask_b32_e32 v18, 0, v18, vcc
	v_cmp_ngt_f32_e32 vcc, s2, v3
	v_mul_f32_e32 v21, 0x3fb8aa3b, v11
	v_mul_f32_e32 v22, 0x3fb8aa3b, v10
	v_cndmask_b32_e32 v19, 0, v19, vcc
	v_cmp_ngt_f32_e32 vcc, s2, v2
	v_fma_f32 v31, v11, s5, -v21
	v_rndne_f32_e32 v32, v21
	v_cndmask_b32_e32 v20, 0, v20, vcc
	v_cmp_nlt_f32_e32 vcc, s4, v1
	v_fma_f32 v33, v10, s5, -v22
	v_rndne_f32_e32 v34, v22
	v_cndmask_b32_e32 v1, v16, v17, vcc
	v_cmp_nlt_f32_e32 vcc, s4, v0
	v_fmac_f32_e32 v31, 0x32a5705f, v11
	v_sub_f32_e32 v21, v21, v32
	v_cndmask_b32_e32 v0, v16, v18, vcc
	v_cvt_f16_f32_e32 v17, v0
	v_cvt_f16_f32_e32 v18, v1
	v_cmp_nlt_f32_e32 vcc, s4, v3
	v_fmac_f32_e32 v33, 0x32a5705f, v10
	v_sub_f32_e32 v22, v22, v34
	v_add_f32_e32 v21, v21, v31
	v_cndmask_b32_e32 v3, v16, v19, vcc
	v_cmp_nlt_f32_e32 vcc, s4, v2
	v_cvt_i32_f32_e32 v32, v32
	v_exp_f32_e32 v21, v21
	v_cndmask_b32_e32 v2, v16, v20, vcc
	v_pk_mul_f16 v97, v17, v97 op_sel_hi:[0,1]
	v_pk_mul_f16 v76, v17, v76 op_sel_hi:[0,1]
	v_add_f32_e32 v17, v22, v33
	v_cvt_f16_f32_e32 v19, v2
	v_pk_mul_f16 v91, v18, v91 op_sel_hi:[0,1]
	v_pk_mul_f16 v74, v18, v74 op_sel_hi:[0,1]
	v_exp_f32_e32 v17, v17
	v_cvt_i32_f32_e32 v18, v34
	v_cvt_f16_f32_e32 v20, v3
	v_pk_add_f32 v[8:9], v[8:9], v[12:13] neg_lo:[0,1] neg_hi:[0,1]
	v_ldexp_f32 v21, v21, v32
	v_cmp_ngt_f32_e32 vcc, s2, v11
	v_pk_mul_f16 v77, v19, v77 op_sel_hi:[0,1]
	v_pk_mul_f16 v72, v19, v72 op_sel_hi:[0,1]
	v_cndmask_b32_e32 v19, 0, v21, vcc
	v_cmp_nlt_f32_e32 vcc, s4, v11
	v_ldexp_f32 v17, v17, v18
	v_mul_f32_e32 v18, 0x3fb8aa3b, v9
	v_pk_mul_f16 v73, v20, v73 op_sel_hi:[0,1]
	v_pk_mul_f16 v75, v20, v75 op_sel_hi:[0,1]
	v_cndmask_b32_e32 v11, v16, v19, vcc
	v_fma_f32 v19, v9, s5, -v18
	v_rndne_f32_e32 v20, v18
	v_fmac_f32_e32 v19, 0x32a5705f, v9
	v_sub_f32_e32 v18, v18, v20
	v_add_f32_e32 v18, v18, v19
	v_exp_f32_e32 v18, v18
	v_cvt_i32_f32_e32 v19, v20
	v_cmp_ngt_f32_e32 vcc, s2, v10
	s_nop 1
	v_cndmask_b32_e32 v17, 0, v17, vcc
	v_cmp_nlt_f32_e32 vcc, s4, v10
	s_nop 1
	v_cndmask_b32_e32 v10, v16, v17, vcc
	v_ldexp_f32 v17, v18, v19
	v_mul_f32_e32 v18, 0x3fb8aa3b, v8
	v_fma_f32 v19, v8, s5, -v18
	v_rndne_f32_e32 v20, v18
	v_fmac_f32_e32 v19, 0x32a5705f, v8
	v_sub_f32_e32 v18, v18, v20
	v_add_f32_e32 v18, v18, v19
	v_exp_f32_e32 v18, v18
	v_cvt_i32_f32_e32 v19, v20
	v_cmp_ngt_f32_e32 vcc, s2, v9
	v_pk_fma_f32 v[4:5], v[4:5], v[2:3], v[10:11]
	s_nop 0
	v_cndmask_b32_e32 v17, 0, v17, vcc
	v_cmp_nlt_f32_e32 vcc, s4, v9
	s_nop 1
	v_cndmask_b32_e32 v9, v16, v17, vcc
	v_ldexp_f32 v17, v18, v19
	v_cmp_ngt_f32_e32 vcc, s2, v8
	s_nop 1
	v_cndmask_b32_e32 v17, 0, v17, vcc
	v_cmp_nlt_f32_e32 vcc, s4, v8
	s_nop 1
	v_cndmask_b32_e32 v8, v16, v17, vcc
	v_pk_fma_f32 v[6:7], v[6:7], v[0:1], v[8:9]
	v_mov_b64_e32 v[0:1], v[12:13]
	v_mov_b64_e32 v[2:3], v[14:15]
.LBB5_39:
	v_cmp_gt_i32_e32 vcc, s54, v69
	s_and_saveexec_b64 s[4:5], vcc
	s_cbranch_execz .LBB5_56
; %bb.40:
	s_load_dword s2, s[0:1], 0xd4
	v_mov_b32_e32 v10, 1.0
	s_waitcnt lgkmcnt(0)
	s_cmp_lg_u32 s2, 1
	s_cselect_b64 s[0:1], -1, 0
	s_cmp_eq_u32 s2, 1
	s_cselect_b64 s[6:7], -1, 0
	s_and_b64 vcc, exec, s[0:1]
	s_cbranch_vccnz .LBB5_42
; %bb.41:
	v_div_scale_f32 v8, s[4:5], v6, v6, 1.0
	v_rcp_f32_e32 v9, v8
	v_div_scale_f32 v10, vcc, 1.0, v6, 1.0
	v_fma_f32 v11, -v8, v9, 1.0
	v_fmac_f32_e32 v9, v11, v9
	v_mul_f32_e32 v11, v10, v9
	v_fma_f32 v12, -v8, v11, v10
	v_fmac_f32_e32 v11, v12, v9
	v_fma_f32 v8, -v8, v11, v10
	v_div_fmas_f32 v8, v8, v9, v11
	v_div_fixup_f32 v10, v8, v6, 1.0
.LBB5_42:
	s_mul_i32 s33, s33, s54
	v_add_u32_e32 v8, s33, v69
	v_mul_lo_u32 v8, v8, s55
	v_add3_u32 v8, s35, v71, v8
	v_mul_lo_u32 v11, s2, v8
	v_add_u32_e32 v8, s3, v11
	s_and_saveexec_b64 s[4:5], s[30:31]
	s_cbranch_execz .LBB5_44
; %bb.43:
	v_cvt_f32_f16_sdwa v15, v97 dst_sel:DWORD dst_unused:UNUSED_PAD src0_sel:WORD_1
	v_cvt_f32_f16_e32 v14, v97
	v_cvt_f32_f16_sdwa v17, v76 dst_sel:DWORD dst_unused:UNUSED_PAD src0_sel:WORD_1
	v_cvt_f32_f16_e32 v16, v76
	s_movk_i32 s8, 0x70
	v_mad_u64_u32 v[12:13], s[8:9], v8, s8, v[68:69]
	v_mov_b32_e32 v13, 0
	v_lshl_add_u64 v[18:19], v[12:13], 2, s[48:49]
	v_pk_mul_f32 v[12:13], v[10:11], v[14:15] op_sel_hi:[0,1]
	v_pk_mul_f32 v[14:15], v[10:11], v[16:17] op_sel_hi:[0,1]
	global_store_dwordx4 v[18:19], v[12:15], off
.LBB5_44:
	s_or_b64 exec, exec, s[4:5]
	v_cmp_eq_u32_e32 vcc, 0, v70
	s_and_b64 s[4:5], vcc, s[0:1]
	s_and_saveexec_b64 s[0:1], s[4:5]
	s_cbranch_execz .LBB5_46
; %bb.45:
	v_ashrrev_i32_e32 v9, 31, v8
	v_lshl_add_u64 v[8:9], v[8:9], 3, s[50:51]
	v_mov_b32_e32 v12, v0
	v_mov_b32_e32 v13, v6
	global_store_dwordx2 v[8:9], v[12:13], off
.LBB5_46:
	s_or_b64 exec, exec, s[0:1]
	v_cndmask_b32_e64 v0, 0, 1, s[6:7]
	v_cmp_ne_u32_e64 s[0:1], 1, v0
	s_andn2_b64 vcc, exec, s[6:7]
	v_mov_b32_e32 v0, 1.0
	s_cbranch_vccz .LBB5_57
; %bb.47:
	v_add_u32_e32 v10, s2, v11
	v_add_u32_e32 v8, s3, v10
	s_and_saveexec_b64 s[6:7], s[30:31]
	s_cbranch_execnz .LBB5_58
.LBB5_48:
	s_or_b64 exec, exec, s[6:7]
	s_and_saveexec_b64 s[6:7], s[4:5]
	s_cbranch_execnz .LBB5_59
.LBB5_49:
	s_or_b64 exec, exec, s[6:7]
	s_and_b64 vcc, exec, s[0:1]
	v_mov_b32_e32 v6, 1.0
	s_cbranch_vccz .LBB5_60
.LBB5_50:
	v_add_u32_e32 v7, s2, v10
	v_add_u32_e32 v0, s3, v7
	s_and_saveexec_b64 s[6:7], s[30:31]
	s_cbranch_execnz .LBB5_61
.LBB5_51:
	s_or_b64 exec, exec, s[6:7]
	s_and_saveexec_b64 s[6:7], s[4:5]
	s_cbranch_execnz .LBB5_62
.LBB5_52:
	s_or_b64 exec, exec, s[6:7]
	s_and_b64 vcc, exec, s[0:1]
	v_mov_b32_e32 v2, 1.0
	s_cbranch_vccz .LBB5_63
.LBB5_53:
	s_add_i32 s3, s3, s2
	v_add_u32_e32 v0, s3, v7
	s_and_saveexec_b64 s[0:1], s[30:31]
	s_cbranch_execnz .LBB5_64
.LBB5_54:
	s_or_b64 exec, exec, s[0:1]
	s_and_b64 exec, exec, s[4:5]
	s_cbranch_execz .LBB5_56
.LBB5_55:
	v_ashrrev_i32_e32 v1, 31, v0
	v_lshl_add_u64 v[0:1], v[0:1], 3, s[50:51]
	v_mov_b32_e32 v4, v3
	global_store_dwordx2 v[0:1], v[4:5], off
.LBB5_56:
	s_endpgm
.LBB5_57:
	v_div_scale_f32 v0, s[6:7], v7, v7, 1.0
	v_rcp_f32_e32 v6, v0
	v_div_scale_f32 v8, vcc, 1.0, v7, 1.0
	v_fma_f32 v9, -v0, v6, 1.0
	v_fmac_f32_e32 v6, v9, v6
	v_mul_f32_e32 v9, v8, v6
	v_fma_f32 v10, -v0, v9, v8
	v_fmac_f32_e32 v9, v10, v6
	v_fma_f32 v0, -v0, v9, v8
	v_div_fmas_f32 v0, v0, v6, v9
	v_div_fixup_f32 v0, v0, v7, 1.0
	v_add_u32_e32 v10, s2, v11
	v_add_u32_e32 v8, s3, v10
	s_and_saveexec_b64 s[6:7], s[30:31]
	s_cbranch_execz .LBB5_48
.LBB5_58:
	v_cvt_f32_f16_sdwa v15, v91 dst_sel:DWORD dst_unused:UNUSED_PAD src0_sel:WORD_1
	v_cvt_f32_f16_e32 v14, v91
	v_cvt_f32_f16_sdwa v17, v74 dst_sel:DWORD dst_unused:UNUSED_PAD src0_sel:WORD_1
	v_cvt_f32_f16_e32 v16, v74
	s_movk_i32 s8, 0x70
	v_mad_u64_u32 v[12:13], s[8:9], v8, s8, v[68:69]
	v_mov_b32_e32 v13, 0
	v_lshl_add_u64 v[18:19], v[12:13], 2, s[48:49]
	v_pk_mul_f32 v[12:13], v[0:1], v[14:15] op_sel_hi:[0,1]
	v_pk_mul_f32 v[14:15], v[0:1], v[16:17] op_sel_hi:[0,1]
	global_store_dwordx4 v[18:19], v[12:15], off
	s_or_b64 exec, exec, s[6:7]
	s_and_saveexec_b64 s[6:7], s[4:5]
	s_cbranch_execz .LBB5_49
.LBB5_59:
	v_ashrrev_i32_e32 v9, 31, v8
	v_lshl_add_u64 v[8:9], v[8:9], 3, s[50:51]
	v_mov_b32_e32 v6, v1
	global_store_dwordx2 v[8:9], v[6:7], off
	s_or_b64 exec, exec, s[6:7]
	s_and_b64 vcc, exec, s[0:1]
	v_mov_b32_e32 v6, 1.0
	s_cbranch_vccnz .LBB5_50
.LBB5_60:
	v_div_scale_f32 v0, s[6:7], v4, v4, 1.0
	v_rcp_f32_e32 v1, v0
	v_div_scale_f32 v6, vcc, 1.0, v4, 1.0
	v_fma_f32 v7, -v0, v1, 1.0
	v_fmac_f32_e32 v1, v7, v1
	v_mul_f32_e32 v7, v6, v1
	v_fma_f32 v8, -v0, v7, v6
	v_fmac_f32_e32 v7, v8, v1
	v_fma_f32 v0, -v0, v7, v6
	v_div_fmas_f32 v0, v0, v1, v7
	v_div_fixup_f32 v6, v0, v4, 1.0
	v_add_u32_e32 v7, s2, v10
	v_add_u32_e32 v0, s3, v7
	s_and_saveexec_b64 s[6:7], s[30:31]
	s_cbranch_execz .LBB5_51
.LBB5_61:
	v_cvt_f32_f16_sdwa v11, v77 dst_sel:DWORD dst_unused:UNUSED_PAD src0_sel:WORD_1
	v_cvt_f32_f16_e32 v10, v77
	v_cvt_f32_f16_sdwa v13, v72 dst_sel:DWORD dst_unused:UNUSED_PAD src0_sel:WORD_1
	v_cvt_f32_f16_e32 v12, v72
	s_movk_i32 s8, 0x70
	v_mad_u64_u32 v[8:9], s[8:9], v0, s8, v[68:69]
	v_mov_b32_e32 v9, 0
	v_lshl_add_u64 v[14:15], v[8:9], 2, s[48:49]
	v_pk_mul_f32 v[8:9], v[6:7], v[10:11] op_sel_hi:[0,1]
	v_pk_mul_f32 v[10:11], v[6:7], v[12:13] op_sel_hi:[0,1]
	global_store_dwordx4 v[14:15], v[8:11], off
	s_or_b64 exec, exec, s[6:7]
	s_and_saveexec_b64 s[6:7], s[4:5]
	s_cbranch_execz .LBB5_52
.LBB5_62:
	v_ashrrev_i32_e32 v1, 31, v0
	v_lshl_add_u64 v[0:1], v[0:1], 3, s[50:51]
	v_mov_b32_e32 v8, v2
	v_mov_b32_e32 v9, v4
	global_store_dwordx2 v[0:1], v[8:9], off
	s_or_b64 exec, exec, s[6:7]
	s_and_b64 vcc, exec, s[0:1]
	v_mov_b32_e32 v2, 1.0
	s_cbranch_vccnz .LBB5_53
.LBB5_63:
	v_div_scale_f32 v0, s[0:1], v5, v5, 1.0
	v_rcp_f32_e32 v1, v0
	v_div_scale_f32 v2, vcc, 1.0, v5, 1.0
	v_fma_f32 v4, -v0, v1, 1.0
	v_fmac_f32_e32 v1, v4, v1
	v_mul_f32_e32 v4, v2, v1
	v_fma_f32 v6, -v0, v4, v2
	v_fmac_f32_e32 v4, v6, v1
	v_fma_f32 v0, -v0, v4, v2
	v_div_fmas_f32 v0, v0, v1, v4
	v_div_fixup_f32 v2, v0, v5, 1.0
	s_add_i32 s3, s3, s2
	v_add_u32_e32 v0, s3, v7
	s_and_saveexec_b64 s[0:1], s[30:31]
	s_cbranch_execz .LBB5_54
.LBB5_64:
	v_cvt_f32_f16_sdwa v9, v73 dst_sel:DWORD dst_unused:UNUSED_PAD src0_sel:WORD_1
	v_cvt_f32_f16_e32 v8, v73
	v_cvt_f32_f16_sdwa v11, v75 dst_sel:DWORD dst_unused:UNUSED_PAD src0_sel:WORD_1
	v_cvt_f32_f16_e32 v10, v75
	s_movk_i32 s2, 0x70
	v_mad_u64_u32 v[6:7], s[2:3], v0, s2, v[68:69]
	v_mov_b32_e32 v7, 0
	v_lshl_add_u64 v[12:13], v[6:7], 2, s[48:49]
	v_pk_mul_f32 v[6:7], v[2:3], v[8:9] op_sel_hi:[0,1]
	v_pk_mul_f32 v[8:9], v[2:3], v[10:11] op_sel_hi:[0,1]
	global_store_dwordx4 v[12:13], v[6:9], off
	s_or_b64 exec, exec, s[0:1]
	s_and_b64 exec, exec, s[4:5]
	s_cbranch_execnz .LBB5_55
	s_branch .LBB5_56
	.section	.rodata,"a",@progbits
	.p2align	6, 0x0
	.amdhsa_kernel _ZL15flash_attn_tileILi112ELi112ELi4ELi8ELb0EEvPKcS1_S1_S1_S1_PKiPfP15HIP_vector_typeIfLj2EEffffjfiS5_IjLj3EEiiiiiiiiiiiliiliiiiil
		.amdhsa_group_segment_fixed_size 13376
		.amdhsa_private_segment_fixed_size 0
		.amdhsa_kernarg_size 464
		.amdhsa_user_sgpr_count 2
		.amdhsa_user_sgpr_dispatch_ptr 0
		.amdhsa_user_sgpr_queue_ptr 0
		.amdhsa_user_sgpr_kernarg_segment_ptr 1
		.amdhsa_user_sgpr_dispatch_id 0
		.amdhsa_user_sgpr_kernarg_preload_length 0
		.amdhsa_user_sgpr_kernarg_preload_offset 0
		.amdhsa_user_sgpr_private_segment_size 0
		.amdhsa_uses_dynamic_stack 0
		.amdhsa_enable_private_segment 0
		.amdhsa_system_sgpr_workgroup_id_x 1
		.amdhsa_system_sgpr_workgroup_id_y 1
		.amdhsa_system_sgpr_workgroup_id_z 1
		.amdhsa_system_sgpr_workgroup_info 0
		.amdhsa_system_vgpr_workitem_id 1
		.amdhsa_next_free_vgpr 138
		.amdhsa_next_free_sgpr 62
		.amdhsa_accum_offset 140
		.amdhsa_reserve_vcc 1
		.amdhsa_float_round_mode_32 0
		.amdhsa_float_round_mode_16_64 0
		.amdhsa_float_denorm_mode_32 3
		.amdhsa_float_denorm_mode_16_64 3
		.amdhsa_dx10_clamp 1
		.amdhsa_ieee_mode 1
		.amdhsa_fp16_overflow 0
		.amdhsa_tg_split 0
		.amdhsa_exception_fp_ieee_invalid_op 0
		.amdhsa_exception_fp_denorm_src 0
		.amdhsa_exception_fp_ieee_div_zero 0
		.amdhsa_exception_fp_ieee_overflow 0
		.amdhsa_exception_fp_ieee_underflow 0
		.amdhsa_exception_fp_ieee_inexact 0
		.amdhsa_exception_int_div_zero 0
	.end_amdhsa_kernel
	.section	.text._ZL15flash_attn_tileILi112ELi112ELi4ELi8ELb0EEvPKcS1_S1_S1_S1_PKiPfP15HIP_vector_typeIfLj2EEffffjfiS5_IjLj3EEiiiiiiiiiiiliiliiiiil,"axG",@progbits,_ZL15flash_attn_tileILi112ELi112ELi4ELi8ELb0EEvPKcS1_S1_S1_S1_PKiPfP15HIP_vector_typeIfLj2EEffffjfiS5_IjLj3EEiiiiiiiiiiiliiliiiiil,comdat
.Lfunc_end5:
	.size	_ZL15flash_attn_tileILi112ELi112ELi4ELi8ELb0EEvPKcS1_S1_S1_S1_PKiPfP15HIP_vector_typeIfLj2EEffffjfiS5_IjLj3EEiiiiiiiiiiiliiliiiiil, .Lfunc_end5-_ZL15flash_attn_tileILi112ELi112ELi4ELi8ELb0EEvPKcS1_S1_S1_S1_PKiPfP15HIP_vector_typeIfLj2EEffffjfiS5_IjLj3EEiiiiiiiiiiiliiliiiiil
                                        ; -- End function
	.section	.AMDGPU.csdata,"",@progbits
; Kernel info:
; codeLenInByte = 12252
; NumSgprs: 68
; NumVgprs: 138
; NumAgprs: 0
; TotalNumVgprs: 138
; ScratchSize: 0
; MemoryBound: 0
; FloatMode: 240
; IeeeMode: 1
; LDSByteSize: 13376 bytes/workgroup (compile time only)
; SGPRBlocks: 8
; VGPRBlocks: 17
; NumSGPRsForWavesPerEU: 68
; NumVGPRsForWavesPerEU: 138
; AccumOffset: 140
; Occupancy: 3
; WaveLimiterHint : 1
; COMPUTE_PGM_RSRC2:SCRATCH_EN: 0
; COMPUTE_PGM_RSRC2:USER_SGPR: 2
; COMPUTE_PGM_RSRC2:TRAP_HANDLER: 0
; COMPUTE_PGM_RSRC2:TGID_X_EN: 1
; COMPUTE_PGM_RSRC2:TGID_Y_EN: 1
; COMPUTE_PGM_RSRC2:TGID_Z_EN: 1
; COMPUTE_PGM_RSRC2:TIDIG_COMP_CNT: 1
; COMPUTE_PGM_RSRC3_GFX90A:ACCUM_OFFSET: 34
; COMPUTE_PGM_RSRC3_GFX90A:TG_SPLIT: 0
	.section	.text._ZL25flash_attn_mask_to_KV_maxILi4EEvPK7__half2Piiii,"axG",@progbits,_ZL25flash_attn_mask_to_KV_maxILi4EEvPK7__half2Piiii,comdat
	.globl	_ZL25flash_attn_mask_to_KV_maxILi4EEvPK7__half2Piiii ; -- Begin function _ZL25flash_attn_mask_to_KV_maxILi4EEvPK7__half2Piiii
	.p2align	8
	.type	_ZL25flash_attn_mask_to_KV_maxILi4EEvPK7__half2Piiii,@function
_ZL25flash_attn_mask_to_KV_maxILi4EEvPK7__half2Piiii: ; @_ZL25flash_attn_mask_to_KV_maxILi4EEvPK7__half2Piiii
; %bb.0:
	s_load_dwordx4 s[4:7], s[0:1], 0x0
	v_cmp_gt_u32_e32 vcc, 32, v0
	s_and_saveexec_b64 s[8:9], vcc
	s_cbranch_execz .LBB6_2
; %bb.1:
	v_lshlrev_b32_e32 v1, 2, v0
	v_mov_b32_e32 v2, 1
	ds_write_b32 v1, v2
.LBB6_2:
	s_or_b64 exec, exec, s[8:9]
	s_load_dwordx4 s[8:11], s[0:1], 0x10
	s_load_dword s26, s[0:1], 0x20
	v_and_b32_e32 v2, 31, v0
	v_lshlrev_b32_e32 v6, 2, v2
	v_lshrrev_b32_e32 v1, 3, v0
	s_waitcnt lgkmcnt(0)
	s_mul_i32 s1, s2, s9
	s_mul_i32 s0, s3, s10
	s_lshl_b32 s1, s1, 2
	s_add_i32 s0, s0, s1
	s_ashr_i32 s1, s0, 31
	s_lshl_b64 s[0:1], s[0:1], 2
	s_add_u32 s10, s4, s0
	s_addc_u32 s11, s5, s1
	v_cmp_eq_u32_e64 s[0:1], 0, v2
	v_mbcnt_lo_u32_b32 v2, -1, 0
	v_mbcnt_hi_u32_b32 v7, -1, v2
	v_and_b32_e32 v2, 0x60, v7
	s_lshl_b32 s8, s8, 8
	s_mov_b64 s[12:13], 0
	v_mov_b32_e32 v3, 0
	s_movk_i32 s27, 0x204
	s_movk_i32 s28, 0x7fff
	;; [unrolled: 1-line block ×3, first 2 shown]
	v_add_u32_e32 v8, 32, v2
	v_xor_b32_e32 v9, 16, v7
	v_xor_b32_e32 v10, 8, v7
	;; [unrolled: 1-line block ×5, first 2 shown]
	s_barrier
	s_waitcnt lgkmcnt(0)
                                        ; implicit-def: $sgpr4_sgpr5
	s_branch .LBB6_5
.LBB6_3:                                ;   in Loop: Header=BB6_5 Depth=1
	s_or_b64 exec, exec, s[14:15]
	s_waitcnt lgkmcnt(0)
	s_barrier
	ds_read_b32 v16, v6
	s_waitcnt lgkmcnt(0)
	s_barrier
	ds_bpermute_b32 v2, v2, v16
	v_cmp_ne_u32_e32 vcc, 0, v16
	s_waitcnt lgkmcnt(0)
	v_cmp_ne_u32_e64 s[4:5], 0, v2
	s_and_b64 s[4:5], vcc, s[4:5]
	s_nop 0
	v_cndmask_b32_e64 v2, 0, 1, s[4:5]
	ds_bpermute_b32 v2, v4, v2
	s_waitcnt lgkmcnt(0)
	v_cmp_ne_u32_e32 vcc, 0, v2
	s_and_b64 s[4:5], vcc, s[4:5]
	v_cndmask_b32_e64 v2, 0, 1, s[4:5]
	ds_bpermute_b32 v2, v5, v2
	s_waitcnt lgkmcnt(0)
	v_cmp_ne_u32_e32 vcc, 0, v2
	s_and_b64 s[4:5], vcc, s[4:5]
	;; [unrolled: 5-line block ×3, first 2 shown]
	v_cndmask_b32_e64 v2, 0, 1, s[4:5]
	ds_bpermute_b32 v2, v15, v2
	s_xor_b64 s[4:5], s[4:5], -1
	s_waitcnt lgkmcnt(0)
	v_cmp_eq_u32_e32 vcc, 0, v2
	s_or_b64 s[4:5], vcc, s[4:5]
.LBB6_4:                                ;   in Loop: Header=BB6_5 Depth=1
	s_and_b64 s[14:15], exec, s[4:5]
	s_or_b64 s[12:13], s[14:15], s[12:13]
	v_mov_b32_e32 v2, s8
	s_mov_b32 s8, s30
	s_andn2_b64 exec, exec, s[12:13]
	s_cbranch_execz .LBB6_20
.LBB6_5:                                ; =>This Inner Loop Header: Depth=1
	s_add_i32 s30, s8, 0xffffff00
	s_or_b64 s[4:5], s[4:5], exec
	s_cmp_lt_i32 s30, 0
	s_cbranch_scc1 .LBB6_4
; %bb.6:                                ;   in Loop: Header=BB6_5 Depth=1
	s_lshr_b32 s4, s30, 1
	v_add_u32_e32 v2, s4, v0
	v_lshl_add_u64 v[4:5], v[2:3], 2, s[10:11]
	global_load_dword v4, v[4:5], off
	s_mov_b64 s[14:15], 0
	s_waitcnt vmcnt(0)
	v_cmp_class_f16_e64 s[4:5], v4, s27
	v_and_b32_sdwa v4, s28, v4 dst_sel:DWORD dst_unused:UNUSED_PAD src0_sel:DWORD src1_sel:WORD_1
	v_cmp_eq_f16_e32 vcc, s29, v4
	s_and_b64 s[16:17], s[4:5], vcc
	s_and_saveexec_b64 s[4:5], s[16:17]
	s_cbranch_execz .LBB6_18
; %bb.7:                                ;   in Loop: Header=BB6_5 Depth=1
	v_add_u32_e32 v4, s9, v2
	v_ashrrev_i32_e32 v5, 31, v4
	v_lshl_add_u64 v[14:15], v[4:5], 2, s[10:11]
	global_load_dword v2, v[14:15], off
	s_mov_b64 s[16:17], 0
	s_waitcnt vmcnt(0)
	v_cmp_class_f16_e64 s[18:19], v2, s27
	s_and_saveexec_b64 s[14:15], s[18:19]
	s_cbranch_execz .LBB6_17
; %bb.8:                                ;   in Loop: Header=BB6_5 Depth=1
	v_cmp_class_f16_sdwa s[20:21], v2, s27 src0_sel:WORD_1 src1_sel:DWORD
	s_mov_b64 s[18:19], 0
	s_and_saveexec_b64 s[16:17], s[20:21]
	s_cbranch_execz .LBB6_16
; %bb.9:                                ;   in Loop: Header=BB6_5 Depth=1
	v_add_u32_e32 v4, s9, v4
	v_ashrrev_i32_e32 v5, 31, v4
	v_lshl_add_u64 v[14:15], v[4:5], 2, s[10:11]
	global_load_dword v2, v[14:15], off
	s_mov_b64 s[20:21], 0
	s_waitcnt vmcnt(0)
	v_cmp_class_f16_e64 s[22:23], v2, s27
	s_and_saveexec_b64 s[18:19], s[22:23]
	s_cbranch_execz .LBB6_15
; %bb.10:                               ;   in Loop: Header=BB6_5 Depth=1
	v_cmp_class_f16_sdwa s[24:25], v2, s27 src0_sel:WORD_1 src1_sel:DWORD
	s_mov_b64 s[22:23], 0
	s_and_saveexec_b64 s[20:21], s[24:25]
	s_cbranch_execz .LBB6_14
; %bb.11:                               ;   in Loop: Header=BB6_5 Depth=1
	v_add_u32_e32 v4, s9, v4
	v_ashrrev_i32_e32 v5, 31, v4
	v_lshl_add_u64 v[4:5], v[4:5], 2, s[10:11]
	global_load_dword v2, v[4:5], off
	s_waitcnt vmcnt(0)
	v_cmp_class_f16_e64 s[34:35], v2, s27
	s_and_saveexec_b64 s[24:25], s[34:35]
; %bb.12:                               ;   in Loop: Header=BB6_5 Depth=1
	v_cmp_class_f16_sdwa s[22:23], v2, s27 src0_sel:WORD_1 src1_sel:DWORD
	s_and_b64 s[22:23], s[22:23], exec
; %bb.13:                               ;   in Loop: Header=BB6_5 Depth=1
	s_or_b64 exec, exec, s[24:25]
	s_and_b64 s[22:23], s[22:23], exec
.LBB6_14:                               ;   in Loop: Header=BB6_5 Depth=1
	s_or_b64 exec, exec, s[20:21]
	s_and_b64 s[20:21], s[22:23], exec
.LBB6_15:                               ;   in Loop: Header=BB6_5 Depth=1
	s_or_b64 exec, exec, s[18:19]
	s_and_b64 s[18:19], s[20:21], exec
.LBB6_16:                               ;   in Loop: Header=BB6_5 Depth=1
	s_or_b64 exec, exec, s[16:17]
	s_and_b64 s[16:17], s[18:19], exec
.LBB6_17:                               ;   in Loop: Header=BB6_5 Depth=1
	s_or_b64 exec, exec, s[14:15]
	s_and_b64 s[14:15], s[16:17], exec
.LBB6_18:                               ;   in Loop: Header=BB6_5 Depth=1
	s_or_b64 exec, exec, s[4:5]
	v_cmp_lt_i32_e32 vcc, v9, v8
	v_cndmask_b32_e64 v4, 0, 1, s[14:15]
	s_nop 0
	v_cndmask_b32_e32 v2, v7, v9, vcc
	v_lshlrev_b32_e32 v2, 2, v2
	ds_bpermute_b32 v4, v2, v4
	s_waitcnt lgkmcnt(0)
	v_cmp_ne_u32_e32 vcc, 0, v4
	s_and_b64 s[4:5], s[14:15], vcc
	v_cmp_lt_i32_e32 vcc, v10, v8
	v_cndmask_b32_e64 v5, 0, 1, s[4:5]
	s_nop 0
	v_cndmask_b32_e32 v4, v7, v10, vcc
	v_lshlrev_b32_e32 v4, 2, v4
	ds_bpermute_b32 v5, v4, v5
	s_waitcnt lgkmcnt(0)
	v_cmp_ne_u32_e32 vcc, 0, v5
	s_and_b64 s[4:5], vcc, s[4:5]
	v_cmp_lt_i32_e32 vcc, v11, v8
	v_cndmask_b32_e64 v14, 0, 1, s[4:5]
	s_nop 0
	v_cndmask_b32_e32 v5, v7, v11, vcc
	v_lshlrev_b32_e32 v5, 2, v5
	ds_bpermute_b32 v14, v5, v14
	s_waitcnt lgkmcnt(0)
	v_cmp_ne_u32_e32 vcc, 0, v14
	s_and_b64 s[4:5], vcc, s[4:5]
	;; [unrolled: 9-line block ×3, first 2 shown]
	v_cmp_lt_i32_e32 vcc, v13, v8
	v_cndmask_b32_e64 v16, 0, 1, s[4:5]
	s_nop 0
	v_cndmask_b32_e32 v15, v7, v13, vcc
	v_lshlrev_b32_e32 v15, 2, v15
	ds_bpermute_b32 v16, v15, v16
	s_and_saveexec_b64 s[14:15], s[0:1]
	s_cbranch_execz .LBB6_3
; %bb.19:                               ;   in Loop: Header=BB6_5 Depth=1
	s_waitcnt lgkmcnt(0)
	v_cmp_ne_u32_e32 vcc, 0, v16
	s_and_b64 s[4:5], vcc, s[4:5]
	v_cndmask_b32_e64 v16, 0, 1, s[4:5]
	ds_write_b32 v1, v16
	s_branch .LBB6_3
.LBB6_20:
	s_or_b64 exec, exec, s[12:13]
	v_cmp_eq_u32_e32 vcc, 0, v0
	s_and_saveexec_b64 s[0:1], vcc
	s_cbranch_execz .LBB6_22
; %bb.21:
	s_mul_i32 s0, s26, s3
	s_add_i32 s0, s0, s2
	s_ashr_i32 s1, s0, 31
	s_lshl_b64 s[0:1], s[0:1], 2
	s_add_u32 s0, s6, s0
	s_addc_u32 s1, s7, s1
	v_mov_b32_e32 v0, 0
	global_store_dword v0, v2, s[0:1]
.LBB6_22:
	s_endpgm
	.section	.rodata,"a",@progbits
	.p2align	6, 0x0
	.amdhsa_kernel _ZL25flash_attn_mask_to_KV_maxILi4EEvPK7__half2Piiii
		.amdhsa_group_segment_fixed_size 128
		.amdhsa_private_segment_fixed_size 0
		.amdhsa_kernarg_size 288
		.amdhsa_user_sgpr_count 2
		.amdhsa_user_sgpr_dispatch_ptr 0
		.amdhsa_user_sgpr_queue_ptr 0
		.amdhsa_user_sgpr_kernarg_segment_ptr 1
		.amdhsa_user_sgpr_dispatch_id 0
		.amdhsa_user_sgpr_kernarg_preload_length 0
		.amdhsa_user_sgpr_kernarg_preload_offset 0
		.amdhsa_user_sgpr_private_segment_size 0
		.amdhsa_uses_dynamic_stack 0
		.amdhsa_enable_private_segment 0
		.amdhsa_system_sgpr_workgroup_id_x 1
		.amdhsa_system_sgpr_workgroup_id_y 1
		.amdhsa_system_sgpr_workgroup_id_z 0
		.amdhsa_system_sgpr_workgroup_info 0
		.amdhsa_system_vgpr_workitem_id 0
		.amdhsa_next_free_vgpr 17
		.amdhsa_next_free_sgpr 36
		.amdhsa_accum_offset 20
		.amdhsa_reserve_vcc 1
		.amdhsa_float_round_mode_32 0
		.amdhsa_float_round_mode_16_64 0
		.amdhsa_float_denorm_mode_32 3
		.amdhsa_float_denorm_mode_16_64 3
		.amdhsa_dx10_clamp 1
		.amdhsa_ieee_mode 1
		.amdhsa_fp16_overflow 0
		.amdhsa_tg_split 0
		.amdhsa_exception_fp_ieee_invalid_op 0
		.amdhsa_exception_fp_denorm_src 0
		.amdhsa_exception_fp_ieee_div_zero 0
		.amdhsa_exception_fp_ieee_overflow 0
		.amdhsa_exception_fp_ieee_underflow 0
		.amdhsa_exception_fp_ieee_inexact 0
		.amdhsa_exception_int_div_zero 0
	.end_amdhsa_kernel
	.section	.text._ZL25flash_attn_mask_to_KV_maxILi4EEvPK7__half2Piiii,"axG",@progbits,_ZL25flash_attn_mask_to_KV_maxILi4EEvPK7__half2Piiii,comdat
.Lfunc_end6:
	.size	_ZL25flash_attn_mask_to_KV_maxILi4EEvPK7__half2Piiii, .Lfunc_end6-_ZL25flash_attn_mask_to_KV_maxILi4EEvPK7__half2Piiii
                                        ; -- End function
	.section	.AMDGPU.csdata,"",@progbits
; Kernel info:
; codeLenInByte = 1016
; NumSgprs: 42
; NumVgprs: 17
; NumAgprs: 0
; TotalNumVgprs: 17
; ScratchSize: 0
; MemoryBound: 0
; FloatMode: 240
; IeeeMode: 1
; LDSByteSize: 128 bytes/workgroup (compile time only)
; SGPRBlocks: 5
; VGPRBlocks: 2
; NumSGPRsForWavesPerEU: 42
; NumVGPRsForWavesPerEU: 17
; AccumOffset: 20
; Occupancy: 8
; WaveLimiterHint : 0
; COMPUTE_PGM_RSRC2:SCRATCH_EN: 0
; COMPUTE_PGM_RSRC2:USER_SGPR: 2
; COMPUTE_PGM_RSRC2:TRAP_HANDLER: 0
; COMPUTE_PGM_RSRC2:TGID_X_EN: 1
; COMPUTE_PGM_RSRC2:TGID_Y_EN: 1
; COMPUTE_PGM_RSRC2:TGID_Z_EN: 0
; COMPUTE_PGM_RSRC2:TIDIG_COMP_CNT: 0
; COMPUTE_PGM_RSRC3_GFX90A:ACCUM_OFFSET: 4
; COMPUTE_PGM_RSRC3_GFX90A:TG_SPLIT: 0
	.section	.text._ZL33flash_attn_stream_k_fixup_uniformILi112ELi4ELi8EEvPfPK15HIP_vector_typeIfLj2EEiiiiiiS1_IjLj3EES5_S5_,"axG",@progbits,_ZL33flash_attn_stream_k_fixup_uniformILi112ELi4ELi8EEvPfPK15HIP_vector_typeIfLj2EEiiiiiiS1_IjLj3EES5_S5_,comdat
	.globl	_ZL33flash_attn_stream_k_fixup_uniformILi112ELi4ELi8EEvPfPK15HIP_vector_typeIfLj2EEiiiiiiS1_IjLj3EES5_S5_ ; -- Begin function _ZL33flash_attn_stream_k_fixup_uniformILi112ELi4ELi8EEvPfPK15HIP_vector_typeIfLj2EEiiiiiiS1_IjLj3EES5_S5_
	.p2align	8
	.type	_ZL33flash_attn_stream_k_fixup_uniformILi112ELi4ELi8EEvPfPK15HIP_vector_typeIfLj2EEiiiiiiS1_IjLj3EES5_S5_,@function
_ZL33flash_attn_stream_k_fixup_uniformILi112ELi4ELi8EEvPfPK15HIP_vector_typeIfLj2EEiiiiiiS1_IjLj3EES5_S5_: ; @_ZL33flash_attn_stream_k_fixup_uniformILi112ELi4ELi8EEvPfPK15HIP_vector_typeIfLj2EEiiiiiiS1_IjLj3EES5_S5_
; %bb.0:
	s_load_dwordx8 s[8:15], s[0:1], 0x1c
	s_load_dwordx2 s[6:7], s[0:1], 0x10
	s_load_dwordx4 s[16:19], s[0:1], 0x3c
	s_waitcnt lgkmcnt(0)
	s_mul_hi_u32 s5, s11, s2
	s_add_i32 s5, s2, s5
	s_lshr_b32 s5, s5, s12
	s_mul_i32 s11, s5, s13
	s_sub_i32 s12, s2, s11
	s_mul_hi_u32 s11, s12, s14
	s_add_i32 s11, s12, s11
	s_lshr_b32 s11, s11, s15
	s_mul_i32 s13, s11, s16
	s_sub_i32 s12, s12, s13
	;; [unrolled: 5-line block ×3, first 2 shown]
	s_lshl_b32 s12, s16, 2
	s_lshl_b32 s17, s13, 3
	s_add_i32 s12, s12, s3
	s_cmp_lt_i32 s12, s6
	s_cselect_b64 s[12:13], -1, 0
	s_add_i32 s17, s17, s4
	s_cmp_lt_i32 s17, s9
	s_cselect_b64 s[14:15], -1, 0
	s_and_b64 s[12:13], s[12:13], s[14:15]
	s_andn2_b64 vcc, exec, s[12:13]
	s_cbranch_vccnz .LBB7_6
; %bb.1:
	s_load_dwordx4 s[12:15], s[0:1], 0x0
	s_mul_i32 s0, s5, s6
	s_mul_i32 s11, s11, s9
	s_add_i32 s0, s0, s3
	s_mul_i32 s0, s0, s7
	s_add_i32 s5, s17, s11
	;; [unrolled: 2-line block ×3, first 2 shown]
	s_mulk_i32 s1, 0x1c0
	s_mulk_i32 s0, 0x70
	s_add_i32 s0, s0, s1
	v_add_u32_e32 v4, s0, v0
	s_waitcnt lgkmcnt(0)
	v_mov_b32_e32 v2, s12
	v_mov_b32_e32 v3, s13
	v_ashrrev_i32_e32 v5, 31, v4
	v_lshl_add_u64 v[2:3], v[4:5], 2, v[2:3]
	global_load_dword v7, v[2:3], off
	s_mul_i32 s5, s2, s10
	s_lshl_b32 s11, s3, 3
	s_add_i32 s9, s5, s10
	s_add_i32 s0, s11, s4
	s_lshl_b32 s1, s9, 5
	s_add_i32 s0, s0, s1
	s_sub_i32 s0, s0, 32
	s_ashr_i32 s1, s0, 31
	s_lshl_b64 s[0:1], s[0:1], 3
	s_add_u32 s0, s14, s0
	s_addc_u32 s1, s15, s1
	s_load_dword s12, s[0:1], 0x4
	s_add_i32 s6, s9, -2
	s_cmp_lt_i32 s6, s5
	s_cbranch_scc1 .LBB7_4
; %bb.2:
	s_lshl_b32 s6, s8, 7
	s_ashr_i32 s7, s6, 31
	s_lshl_b64 s[6:7], s[6:7], 2
	s_add_u32 s6, s14, s6
	s_addc_u32 s7, s15, s7
	s_add_i32 s2, s2, 1
	s_load_dword s0, s[0:1], 0x0
	s_mul_i32 s1, s10, s2
	s_lshl_b32 s2, s1, 5
	s_add_i32 s2, s4, s2
	s_mulk_i32 s3, 0x380
	s_mulk_i32 s4, 0x70
	s_lshl_b32 s8, s8, 5
	s_mulk_i32 s1, 0xe00
	s_add_i32 s3, s4, s3
	s_add_i32 s2, s2, s8
	;; [unrolled: 1-line block ×4, first 2 shown]
	v_add_u32_e32 v0, s3, v0
	s_add_i32 s9, s9, -1
	s_sub_i32 s2, s2, 64
	v_add_u32_e32 v0, 0xffffe400, v0
	s_waitcnt lgkmcnt(0)
	v_mov_b32_e32 v6, s12
	v_mov_b32_e32 v5, s0
	s_mov_b32 s4, 0x3fb8aa3b
	s_mov_b32 s8, 0xc2ce8ed0
	;; [unrolled: 1-line block ×3, first 2 shown]
	v_mov_b32_e32 v4, 0x7f800000
	s_mov_b32 s11, 0xc1a00000
.LBB7_3:                                ; =>This Inner Loop Header: Depth=1
	v_ashrrev_i32_e32 v1, 31, v0
	v_lshl_add_u64 v[8:9], v[0:1], 2, s[6:7]
	global_load_dword v1, v[8:9], off
	s_ashr_i32 s3, s2, 31
	s_lshl_b64 s[0:1], s[2:3], 3
	s_add_u32 s0, s14, s0
	s_addc_u32 s1, s15, s1
	s_load_dwordx2 s[12:13], s[0:1], 0x0
	s_waitcnt vmcnt(1)
	v_mov_b32_e32 v8, v7
	v_max_f32_e32 v7, v5, v5
	v_mov_b32_e32 v9, v6
	s_add_i32 s9, s9, -1
	s_waitcnt lgkmcnt(0)
	v_max_f32_e64 v6, s12, s12
	v_max_f32_e32 v6, v7, v6
	v_sub_f32_e32 v10, s12, v6
	v_sub_f32_e32 v7, v5, v6
	v_mul_f32_e32 v11, 0x3fb8aa3b, v10
	v_mov_b32_e32 v5, v6
	v_mul_f32_e32 v6, 0x3fb8aa3b, v7
	v_fma_f32 v14, v10, s4, -v11
	v_rndne_f32_e32 v15, v11
	v_fma_f32 v12, v7, s4, -v6
	v_rndne_f32_e32 v13, v6
	v_fmac_f32_e32 v14, 0x32a5705f, v10
	v_sub_f32_e32 v11, v11, v15
	v_fmac_f32_e32 v12, 0x32a5705f, v7
	v_sub_f32_e32 v6, v6, v13
	v_add_f32_e32 v11, v11, v14
	v_cvt_i32_f32_e32 v15, v15
	v_add_f32_e32 v6, v6, v12
	v_exp_f32_e32 v11, v11
	v_cvt_i32_f32_e32 v13, v13
	v_exp_f32_e32 v6, v6
	v_cmp_ngt_f32_e32 vcc, s8, v10
	v_ldexp_f32 v11, v11, v15
	v_cmp_ngt_f32_e64 s[0:1], s8, v7
	v_ldexp_f32 v6, v6, v13
	v_cndmask_b32_e32 v11, 0, v11, vcc
	v_cmp_nlt_f32_e32 vcc, s10, v10
	v_cndmask_b32_e64 v6, 0, v6, s[0:1]
	v_cmp_nlt_f32_e64 s[0:1], s10, v7
	v_cndmask_b32_e32 v11, v4, v11, vcc
	v_cmp_le_f32_e32 vcc, s11, v10
	v_cndmask_b32_e64 v6, v4, v6, s[0:1]
	v_cmp_le_f32_e64 s[0:1], s11, v7
	v_cndmask_b32_e32 v7, 0, v11, vcc
	s_sub_i32 s2, s2, 32
	v_cndmask_b32_e64 v10, 0, v6, s[0:1]
	v_mul_f32_e32 v6, s13, v7
	v_add_u32_e32 v0, 0xfffff200, v0
	s_cmp_le_i32 s9, s5
	v_fmac_f32_e32 v6, v9, v10
	s_waitcnt vmcnt(0)
	v_mul_f32_e32 v7, v1, v7
	v_fmac_f32_e32 v7, v8, v10
	s_cbranch_scc0 .LBB7_3
	s_branch .LBB7_5
.LBB7_4:
	s_waitcnt lgkmcnt(0)
	v_mov_b32_e32 v6, s12
.LBB7_5:
	s_waitcnt vmcnt(0)
	v_div_scale_f32 v0, s[0:1], v6, v6, v7
	v_rcp_f32_e32 v1, v0
	v_div_scale_f32 v4, vcc, v7, v6, v7
	v_fma_f32 v5, -v0, v1, 1.0
	v_fmac_f32_e32 v1, v5, v1
	v_mul_f32_e32 v5, v4, v1
	v_fma_f32 v8, -v0, v5, v4
	v_fmac_f32_e32 v5, v8, v1
	v_fma_f32 v0, -v0, v5, v4
	v_div_fmas_f32 v0, v0, v1, v5
	v_div_fixup_f32 v0, v0, v6, v7
	global_store_dword v[2:3], v0, off
.LBB7_6:
	s_endpgm
	.section	.rodata,"a",@progbits
	.p2align	6, 0x0
	.amdhsa_kernel _ZL33flash_attn_stream_k_fixup_uniformILi112ELi4ELi8EEvPfPK15HIP_vector_typeIfLj2EEiiiiiiS1_IjLj3EES5_S5_
		.amdhsa_group_segment_fixed_size 0
		.amdhsa_private_segment_fixed_size 0
		.amdhsa_kernarg_size 76
		.amdhsa_user_sgpr_count 2
		.amdhsa_user_sgpr_dispatch_ptr 0
		.amdhsa_user_sgpr_queue_ptr 0
		.amdhsa_user_sgpr_kernarg_segment_ptr 1
		.amdhsa_user_sgpr_dispatch_id 0
		.amdhsa_user_sgpr_kernarg_preload_length 0
		.amdhsa_user_sgpr_kernarg_preload_offset 0
		.amdhsa_user_sgpr_private_segment_size 0
		.amdhsa_uses_dynamic_stack 0
		.amdhsa_enable_private_segment 0
		.amdhsa_system_sgpr_workgroup_id_x 1
		.amdhsa_system_sgpr_workgroup_id_y 1
		.amdhsa_system_sgpr_workgroup_id_z 1
		.amdhsa_system_sgpr_workgroup_info 0
		.amdhsa_system_vgpr_workitem_id 0
		.amdhsa_next_free_vgpr 16
		.amdhsa_next_free_sgpr 20
		.amdhsa_accum_offset 16
		.amdhsa_reserve_vcc 1
		.amdhsa_float_round_mode_32 0
		.amdhsa_float_round_mode_16_64 0
		.amdhsa_float_denorm_mode_32 3
		.amdhsa_float_denorm_mode_16_64 3
		.amdhsa_dx10_clamp 1
		.amdhsa_ieee_mode 1
		.amdhsa_fp16_overflow 0
		.amdhsa_tg_split 0
		.amdhsa_exception_fp_ieee_invalid_op 0
		.amdhsa_exception_fp_denorm_src 0
		.amdhsa_exception_fp_ieee_div_zero 0
		.amdhsa_exception_fp_ieee_overflow 0
		.amdhsa_exception_fp_ieee_underflow 0
		.amdhsa_exception_fp_ieee_inexact 0
		.amdhsa_exception_int_div_zero 0
	.end_amdhsa_kernel
	.section	.text._ZL33flash_attn_stream_k_fixup_uniformILi112ELi4ELi8EEvPfPK15HIP_vector_typeIfLj2EEiiiiiiS1_IjLj3EES5_S5_,"axG",@progbits,_ZL33flash_attn_stream_k_fixup_uniformILi112ELi4ELi8EEvPfPK15HIP_vector_typeIfLj2EEiiiiiiS1_IjLj3EES5_S5_,comdat
.Lfunc_end7:
	.size	_ZL33flash_attn_stream_k_fixup_uniformILi112ELi4ELi8EEvPfPK15HIP_vector_typeIfLj2EEiiiiiiS1_IjLj3EES5_S5_, .Lfunc_end7-_ZL33flash_attn_stream_k_fixup_uniformILi112ELi4ELi8EEvPfPK15HIP_vector_typeIfLj2EEiiiiiiS1_IjLj3EES5_S5_
                                        ; -- End function
	.section	.AMDGPU.csdata,"",@progbits
; Kernel info:
; codeLenInByte = 836
; NumSgprs: 26
; NumVgprs: 16
; NumAgprs: 0
; TotalNumVgprs: 16
; ScratchSize: 0
; MemoryBound: 0
; FloatMode: 240
; IeeeMode: 1
; LDSByteSize: 0 bytes/workgroup (compile time only)
; SGPRBlocks: 3
; VGPRBlocks: 1
; NumSGPRsForWavesPerEU: 26
; NumVGPRsForWavesPerEU: 16
; AccumOffset: 16
; Occupancy: 8
; WaveLimiterHint : 0
; COMPUTE_PGM_RSRC2:SCRATCH_EN: 0
; COMPUTE_PGM_RSRC2:USER_SGPR: 2
; COMPUTE_PGM_RSRC2:TRAP_HANDLER: 0
; COMPUTE_PGM_RSRC2:TGID_X_EN: 1
; COMPUTE_PGM_RSRC2:TGID_Y_EN: 1
; COMPUTE_PGM_RSRC2:TGID_Z_EN: 1
; COMPUTE_PGM_RSRC2:TIDIG_COMP_CNT: 0
; COMPUTE_PGM_RSRC3_GFX90A:ACCUM_OFFSET: 3
; COMPUTE_PGM_RSRC3_GFX90A:TG_SPLIT: 0
	.section	.text._ZL33flash_attn_stream_k_fixup_generalILi112ELi4ELi8EEvPfPK15HIP_vector_typeIfLj2EEiiiiS1_IjLj3EES5_S5_S5_,"axG",@progbits,_ZL33flash_attn_stream_k_fixup_generalILi112ELi4ELi8EEvPfPK15HIP_vector_typeIfLj2EEiiiiS1_IjLj3EES5_S5_S5_,comdat
	.globl	_ZL33flash_attn_stream_k_fixup_generalILi112ELi4ELi8EEvPfPK15HIP_vector_typeIfLj2EEiiiiS1_IjLj3EES5_S5_S5_ ; -- Begin function _ZL33flash_attn_stream_k_fixup_generalILi112ELi4ELi8EEvPfPK15HIP_vector_typeIfLj2EEiiiiS1_IjLj3EES5_S5_S5_
	.p2align	8
	.type	_ZL33flash_attn_stream_k_fixup_generalILi112ELi4ELi8EEvPfPK15HIP_vector_typeIfLj2EEiiiiS1_IjLj3EES5_S5_S5_,@function
_ZL33flash_attn_stream_k_fixup_generalILi112ELi4ELi8EEvPfPK15HIP_vector_typeIfLj2EEiiiiS1_IjLj3EES5_S5_S5_: ; @_ZL33flash_attn_stream_k_fixup_generalILi112ELi4ELi8EEvPfPK15HIP_vector_typeIfLj2EEiiiiS1_IjLj3EES5_S5_S5_
; %bb.0:
	s_load_dwordx4 s[12:15], s[0:1], 0x10
	s_load_dword s22, s[0:1], 0x50
	s_mov_b32 s8, 0
	s_waitcnt lgkmcnt(0)
	s_mul_hi_i32 s9, s15, s2
	s_cmp_lg_u64 s[8:9], 0
	s_mul_i32 s5, s15, s2
	s_cbranch_scc0 .LBB8_21
; %bb.1:
	v_cvt_f32_u32_e32 v1, s22
	v_cvt_f32_ubyte0_e32 v2, 0
	s_sub_u32 s8, 0, s22
	s_subb_u32 s10, 0, 0
	v_fmamk_f32 v1, v2, 0x4f800000, v1
	v_rcp_f32_e32 v1, v1
	s_nop 0
	v_mul_f32_e32 v1, 0x5f7ffffc, v1
	v_mul_f32_e32 v2, 0x2f800000, v1
	v_trunc_f32_e32 v2, v2
	v_fmamk_f32 v1, v2, 0xcf800000, v1
	v_cvt_u32_f32_e32 v2, v2
	v_cvt_u32_f32_e32 v1, v1
	v_readfirstlane_b32 s11, v2
	v_readfirstlane_b32 s16, v1
	s_mul_i32 s17, s8, s11
	s_mul_hi_u32 s19, s8, s16
	s_mul_i32 s18, s10, s16
	s_add_i32 s17, s19, s17
	s_add_i32 s17, s17, s18
	s_mul_i32 s20, s8, s16
	s_mul_hi_u32 s18, s16, s17
	s_mul_i32 s19, s16, s17
	s_mul_hi_u32 s16, s16, s20
	s_add_u32 s16, s16, s19
	s_addc_u32 s18, 0, s18
	s_mul_hi_u32 s21, s11, s20
	s_mul_i32 s20, s11, s20
	s_add_u32 s16, s16, s20
	s_mul_hi_u32 s19, s11, s17
	s_addc_u32 s16, s18, s21
	s_addc_u32 s18, s19, 0
	s_mul_i32 s17, s11, s17
	s_add_u32 s16, s16, s17
	s_addc_u32 s17, 0, s18
	v_add_co_u32_e32 v1, vcc, s16, v1
	s_cmp_lg_u64 vcc, 0
	s_addc_u32 s11, s11, s17
	v_readfirstlane_b32 s17, v1
	s_mul_i32 s16, s8, s11
	s_mul_hi_u32 s18, s8, s17
	s_add_i32 s16, s18, s16
	s_mul_i32 s10, s10, s17
	s_add_i32 s16, s16, s10
	s_mul_i32 s8, s8, s17
	s_mul_hi_u32 s18, s11, s8
	s_mul_i32 s19, s11, s8
	s_mul_i32 s21, s17, s16
	s_mul_hi_u32 s8, s17, s8
	s_mul_hi_u32 s20, s17, s16
	s_add_u32 s8, s8, s21
	s_addc_u32 s17, 0, s20
	s_add_u32 s8, s8, s19
	s_mul_hi_u32 s10, s11, s16
	s_addc_u32 s8, s17, s18
	s_addc_u32 s10, s10, 0
	s_mul_i32 s16, s11, s16
	s_add_u32 s8, s8, s16
	s_addc_u32 s10, 0, s10
	v_add_co_u32_e32 v1, vcc, s8, v1
	s_cmp_lg_u64 vcc, 0
	s_addc_u32 s16, s11, s10
	s_ashr_i32 s10, s9, 31
	s_add_u32 s8, s5, s10
	s_mov_b32 s11, s10
	s_addc_u32 s9, s9, s10
	s_xor_b64 s[8:9], s[8:9], s[10:11]
	v_readfirstlane_b32 s19, v1
	s_mul_i32 s18, s8, s16
	s_mul_hi_u32 s20, s8, s19
	s_mul_hi_u32 s17, s8, s16
	s_add_u32 s18, s20, s18
	s_addc_u32 s17, 0, s17
	s_mul_hi_u32 s21, s9, s19
	s_mul_i32 s19, s9, s19
	s_add_u32 s18, s18, s19
	s_mul_hi_u32 s20, s9, s16
	s_addc_u32 s17, s17, s21
	s_addc_u32 s18, s20, 0
	s_mul_i32 s16, s9, s16
	s_add_u32 s16, s17, s16
	s_addc_u32 s17, 0, s18
	s_add_u32 s18, s16, 1
	s_addc_u32 s19, s17, 0
	s_add_u32 s20, s16, 2
	s_mul_i32 s23, s22, s17
	s_mul_hi_u32 s24, s22, s16
	s_addc_u32 s21, s17, 0
	s_add_i32 s24, s24, s23
	s_mul_i32 s23, s22, s16
	v_mov_b32_e32 v1, s23
	v_sub_co_u32_e32 v1, vcc, s8, v1
	s_cmp_lg_u64 vcc, 0
	s_subb_u32 s8, s9, s24
	v_subrev_co_u32_e32 v2, vcc, s22, v1
	s_cmp_lg_u64 vcc, 0
	s_subb_u32 s9, s8, 0
	v_readfirstlane_b32 s23, v2
	s_cmp_ge_u32 s23, s22
	s_cselect_b32 s23, -1, 0
	s_cmp_eq_u32 s9, 0
	s_cselect_b32 s9, s23, -1
	s_cmp_lg_u32 s9, 0
	s_cselect_b32 s9, s21, s19
	v_readfirstlane_b32 s19, v1
	s_cselect_b32 s18, s20, s18
	s_cmp_ge_u32 s19, s22
	s_cselect_b32 s19, -1, 0
	s_cmp_eq_u32 s8, 0
	s_cselect_b32 s8, s19, -1
	s_cmp_lg_u32 s8, 0
	s_cselect_b32 s9, s9, s17
	s_cselect_b32 s8, s18, s16
	s_xor_b64 s[8:9], s[8:9], s[10:11]
	s_sub_u32 s20, s8, s10
	s_load_dwordx4 s[16:19], s[0:1], 0x44
	s_cbranch_execnz .LBB8_3
.LBB8_2:
	v_cvt_f32_u32_e32 v1, s22
	s_sub_i32 s6, 0, s22
	v_rcp_iflag_f32_e32 v1, v1
	s_nop 0
	v_mul_f32_e32 v1, 0x4f7ffffe, v1
	v_cvt_u32_f32_e32 v1, v1
	s_nop 0
	v_readfirstlane_b32 s7, v1
	s_mul_i32 s6, s6, s7
	s_mul_hi_u32 s6, s7, s6
	s_add_i32 s7, s7, s6
	s_mul_hi_u32 s6, s5, s7
	s_mul_i32 s8, s6, s22
	s_sub_i32 s5, s5, s8
	s_add_i32 s7, s6, 1
	s_sub_i32 s8, s5, s22
	s_cmp_ge_u32 s5, s22
	s_cselect_b32 s6, s7, s6
	s_cselect_b32 s5, s8, s5
	s_add_i32 s7, s6, 1
	s_cmp_ge_u32 s5, s22
	s_cselect_b32 s20, s7, s6
.LBB8_3:
	s_add_i32 s5, s2, 1
	s_mul_hi_i32 s9, s15, s5
	s_mov_b32 s8, 0
	s_cmp_lg_u64 s[8:9], 0
	s_mul_i32 s5, s15, s5
	s_cbranch_scc0 .LBB8_22
; %bb.4:
	v_cvt_f32_u32_e32 v1, s22
	v_cvt_f32_ubyte0_e32 v2, 0
	s_sub_u32 s8, 0, s22
	s_subb_u32 s10, 0, 0
	v_fmamk_f32 v1, v2, 0x4f800000, v1
	v_rcp_f32_e32 v1, v1
	s_nop 0
	v_mul_f32_e32 v1, 0x5f7ffffc, v1
	v_mul_f32_e32 v2, 0x2f800000, v1
	v_trunc_f32_e32 v2, v2
	v_fmamk_f32 v1, v2, 0xcf800000, v1
	v_cvt_u32_f32_e32 v2, v2
	v_cvt_u32_f32_e32 v1, v1
	v_readfirstlane_b32 s11, v2
	s_waitcnt lgkmcnt(0)
	v_readfirstlane_b32 s19, v1
	s_mul_i32 s21, s8, s11
	s_mul_hi_u32 s24, s8, s19
	s_mul_i32 s23, s10, s19
	s_add_i32 s21, s24, s21
	s_add_i32 s21, s21, s23
	s_mul_i32 s25, s8, s19
	s_mul_hi_u32 s23, s19, s21
	s_mul_i32 s24, s19, s21
	s_mul_hi_u32 s19, s19, s25
	s_add_u32 s19, s19, s24
	s_addc_u32 s23, 0, s23
	s_mul_hi_u32 s26, s11, s25
	s_mul_i32 s25, s11, s25
	s_add_u32 s19, s19, s25
	s_mul_hi_u32 s24, s11, s21
	s_addc_u32 s19, s23, s26
	s_addc_u32 s23, s24, 0
	s_mul_i32 s21, s11, s21
	s_add_u32 s19, s19, s21
	s_addc_u32 s21, 0, s23
	v_add_co_u32_e32 v1, vcc, s19, v1
	s_cmp_lg_u64 vcc, 0
	s_addc_u32 s11, s11, s21
	v_readfirstlane_b32 s21, v1
	s_mul_i32 s19, s8, s11
	s_mul_hi_u32 s23, s8, s21
	s_add_i32 s19, s23, s19
	s_mul_i32 s10, s10, s21
	s_add_i32 s19, s19, s10
	s_mul_i32 s8, s8, s21
	s_mul_hi_u32 s23, s11, s8
	s_mul_i32 s24, s11, s8
	s_mul_i32 s26, s21, s19
	s_mul_hi_u32 s8, s21, s8
	s_mul_hi_u32 s25, s21, s19
	s_add_u32 s8, s8, s26
	s_addc_u32 s21, 0, s25
	s_add_u32 s8, s8, s24
	s_mul_hi_u32 s10, s11, s19
	s_addc_u32 s8, s21, s23
	s_addc_u32 s10, s10, 0
	s_mul_i32 s19, s11, s19
	s_add_u32 s8, s8, s19
	s_addc_u32 s10, 0, s10
	v_add_co_u32_e32 v1, vcc, s8, v1
	s_cmp_lg_u64 vcc, 0
	s_addc_u32 s19, s11, s10
	s_ashr_i32 s10, s9, 31
	s_add_u32 s8, s5, s10
	s_mov_b32 s11, s10
	s_addc_u32 s9, s9, s10
	s_xor_b64 s[8:9], s[8:9], s[10:11]
	v_readfirstlane_b32 s23, v1
	s_mul_i32 s21, s8, s19
	s_mul_hi_u32 s24, s8, s23
	s_mul_hi_u32 s11, s8, s19
	s_add_u32 s21, s24, s21
	s_addc_u32 s11, 0, s11
	s_mul_hi_u32 s25, s9, s23
	s_mul_i32 s23, s9, s23
	s_add_u32 s21, s21, s23
	s_mul_hi_u32 s24, s9, s19
	s_addc_u32 s11, s11, s25
	s_addc_u32 s21, s24, 0
	s_mul_i32 s19, s9, s19
	s_add_u32 s11, s11, s19
	s_addc_u32 s19, 0, s21
	s_mul_i32 s19, s22, s19
	s_mul_hi_u32 s24, s22, s11
	s_add_i32 s24, s24, s19
	s_mul_i32 s19, s22, s11
	v_mov_b32_e32 v1, s19
	s_add_u32 s21, s11, 1
	s_add_u32 s23, s11, 2
	v_sub_co_u32_e32 v1, vcc, s8, v1
	s_cmp_lg_u64 vcc, 0
	s_subb_u32 s8, s9, s24
	v_subrev_co_u32_e32 v2, vcc, s22, v1
	s_cmp_lg_u64 vcc, 0
	s_subb_u32 s9, s8, 0
	v_cmp_le_u32_e32 vcc, s22, v2
	s_cmp_eq_u32 s9, 0
	v_mov_b32_e32 v3, s21
	v_cndmask_b32_e64 v2, 0, -1, vcc
	s_cselect_b64 vcc, -1, 0
	v_cndmask_b32_e32 v2, -1, v2, vcc
	v_mov_b32_e32 v4, s23
	v_cmp_ne_u32_e32 vcc, 0, v2
	s_cmp_eq_u32 s8, 0
	s_nop 0
	v_cndmask_b32_e32 v2, v3, v4, vcc
	v_cmp_le_u32_e32 vcc, s22, v1
	v_mov_b32_e32 v3, s11
	s_nop 0
	v_cndmask_b32_e64 v1, 0, -1, vcc
	s_cselect_b64 vcc, -1, 0
	v_cndmask_b32_e32 v1, -1, v1, vcc
	v_cmp_ne_u32_e32 vcc, 0, v1
	s_nop 1
	v_cndmask_b32_e32 v1, v3, v2, vcc
	v_xor_b32_e32 v1, s10, v1
	v_subrev_co_u32_e32 v2, vcc, s10, v1
	s_cbranch_execnz .LBB8_6
.LBB8_5:
	v_cvt_f32_u32_e32 v1, s22
	s_sub_i32 s6, 0, s22
	s_mov_b32 s7, 0
	v_rcp_iflag_f32_e32 v1, v1
	s_nop 0
	v_mul_f32_e32 v1, 0x4f7ffffe, v1
	v_cvt_u32_f32_e32 v1, v1
	s_nop 0
	v_readfirstlane_b32 s8, v1
	s_mul_i32 s6, s6, s8
	s_mul_hi_u32 s6, s8, s6
	s_add_i32 s8, s8, s6
	s_mul_hi_u32 s6, s5, s8
	s_mul_i32 s9, s6, s22
	s_sub_i32 s5, s5, s9
	s_add_i32 s8, s6, 1
	s_sub_i32 s9, s5, s22
	s_cmp_ge_u32 s5, s22
	s_cselect_b32 s6, s8, s6
	s_cselect_b32 s5, s9, s5
	s_add_i32 s8, s6, 1
	s_cmp_ge_u32 s5, s22
	s_cselect_b32 s6, s8, s6
	v_mov_b64_e32 v[2:3], s[6:7]
.LBB8_6:
	s_waitcnt lgkmcnt(0)
	s_mul_hi_u32 s5, s20, s16
	s_add_i32 s5, s5, s20
	v_mul_hi_u32 v1, v2, s16
	s_lshr_b32 s19, s5, s17
	v_add_u32_e32 v1, v1, v2
	s_mul_i32 s5, s19, s18
	v_lshrrev_b32_e32 v1, s17, v1
	s_cmp_eq_u32 s5, s20
	v_cmp_eq_u32_e64 s[6:7], s19, v1
	v_mul_lo_u32 v1, v1, s18
	v_cmp_eq_u32_e32 vcc, s20, v2
	s_cselect_b64 s[10:11], -1, 0
	v_cmp_ne_u32_e64 s[8:9], v1, v2
	s_and_b64 s[6:7], s[6:7], s[8:9]
	s_or_b64 s[8:9], vcc, s[10:11]
	s_or_b64 s[6:7], s[8:9], s[6:7]
	s_and_b64 vcc, exec, s[6:7]
	s_cbranch_vccnz .LBB8_24
; %bb.7:
	s_load_dwordx8 s[24:31], s[0:1], 0x20
	s_load_dword s5, s[0:1], 0x40
	s_waitcnt lgkmcnt(0)
	s_mul_hi_u32 s6, s20, s24
	s_add_i32 s6, s6, s20
	s_lshr_b32 s7, s6, s25
	s_mul_i32 s6, s7, s26
	s_sub_i32 s6, s20, s6
	s_mul_hi_u32 s8, s6, s27
	s_add_i32 s8, s6, s8
	s_lshr_b32 s23, s8, s28
	s_mul_i32 s8, s23, s29
	s_sub_i32 s6, s6, s8
	;; [unrolled: 5-line block ×3, first 2 shown]
	s_mul_hi_u32 s6, s5, s16
	s_add_i32 s5, s5, s6
	s_lshr_b32 s24, s5, s17
	s_lshl_b32 s5, s24, 2
	s_lshl_b32 s25, s8, 3
	s_add_i32 s5, s5, s3
	s_cmp_lt_i32 s5, s12
	s_cselect_b64 s[8:9], -1, 0
	s_add_i32 s25, s25, s4
	s_cmp_lt_i32 s25, s14
	s_cselect_b64 s[10:11], -1, 0
	s_and_b64 s[8:9], s[8:9], s[10:11]
	s_andn2_b64 vcc, exec, s[8:9]
	s_mov_b32 s6, 0
	s_cbranch_vccnz .LBB8_24
; %bb.8:
	s_load_dwordx4 s[8:11], s[0:1], 0x0
	s_lshl_b32 s21, s3, 3
	s_lshl_b32 s0, s22, 7
	s_mov_b32 s1, s6
	s_add_i32 s21, s21, s4
	s_lshl_b64 s[0:1], s[0:1], 2
	s_waitcnt lgkmcnt(0)
	s_add_u32 s4, s10, s0
	s_mul_i32 s0, s7, s12
	s_addc_u32 s5, s11, s1
	s_mul_i32 s23, s23, s14
	s_add_i32 s0, s0, s3
	s_mul_i32 s0, s0, s13
	s_add_i32 s3, s25, s23
	;; [unrolled: 2-line block ×3, first 2 shown]
	s_mulk_i32 s1, 0x1c0
	s_mulk_i32 s0, 0x70
	s_add_i32 s1, s1, s0
	v_add_u32_e32 v4, s1, v0
	v_mov_b32_e32 v2, s8
	v_mov_b32_e32 v3, s9
	v_ashrrev_i32_e32 v5, 31, v4
	v_lshl_add_u64 v[2:3], v[4:5], 2, v[2:3]
	global_load_dword v5, v[2:3], off
	s_lshl_b32 s0, s2, 5
	s_add_i32 s0, s21, s0
	s_ashr_i32 s1, s0, 31
	s_lshl_b64 s[0:1], s[0:1], 3
	s_add_u32 s0, s10, s0
	s_addc_u32 s1, s11, s1
	s_add_i32 s12, s2, -1
	s_mul_i32 s2, s21, 0x70
	v_add_u32_e32 v4, s2, v0
	v_cvt_f32_u32_e32 v0, s22
	v_cvt_f32_ubyte0_e32 v1, 0
	s_load_dwordx2 s[0:1], s[0:1], 0x0
	v_mov_b32_e32 v8, s20
	v_fmac_f32_e32 v0, 0x4f800000, v1
	v_rcp_f32_e32 v0, v0
	v_cvt_f32_u32_e32 v1, s22
	s_waitcnt lgkmcnt(0)
	v_mov_b32_e32 v6, s1
	v_mov_b32_e32 v7, s0
	v_mul_f32_e32 v0, 0x5f7ffffc, v0
	v_rcp_iflag_f32_e32 v1, v1
	v_mul_f32_e32 v9, 0x2f800000, v0
	v_trunc_f32_e32 v10, v9
	v_fmac_f32_e32 v0, 0xcf800000, v10
	v_cvt_u32_f32_e32 v9, v0
	v_mul_f32_e32 v0, 0x4f7ffffe, v1
	v_cvt_u32_f32_e32 v10, v10
	v_cvt_u32_f32_e32 v11, v0
	s_mov_b32 s8, 0x3fb8aa3b
	s_mov_b32 s9, 0xc2ce8ed0
	;; [unrolled: 1-line block ×4, first 2 shown]
	v_mov_b32_e32 v12, 0x7f800000
	s_mul_hi_i32 s7, s12, s15
	s_cmp_lg_u64 s[6:7], 0
	s_mul_i32 s2, s12, s15
	s_cbranch_scc0 .LBB8_15
.LBB8_9:
	s_sub_u32 s0, 0, s22
	v_readfirstlane_b32 s3, v9
	v_readfirstlane_b32 s24, v10
	s_subb_u32 s1, 0, 0
	s_mul_hi_u32 s23, s0, s3
	s_mul_i32 s25, s0, s24
	s_mul_i32 s20, s1, s3
	s_add_i32 s23, s23, s25
	s_add_i32 s23, s23, s20
	s_mul_i32 s26, s0, s3
	s_mul_hi_u32 s20, s3, s23
	s_mul_i32 s25, s3, s23
	s_mul_hi_u32 s3, s3, s26
	s_add_u32 s3, s3, s25
	s_addc_u32 s20, 0, s20
	s_mul_hi_u32 s27, s24, s26
	s_mul_i32 s26, s24, s26
	s_add_u32 s3, s3, s26
	s_mul_hi_u32 s25, s24, s23
	s_addc_u32 s3, s20, s27
	s_addc_u32 s20, s25, 0
	s_mul_i32 s23, s24, s23
	s_add_u32 s3, s3, s23
	s_addc_u32 s20, 0, s20
	v_add_co_u32_e32 v0, vcc, s3, v9
	s_cmp_lg_u64 vcc, 0
	s_addc_u32 s3, s24, s20
	v_readfirstlane_b32 s23, v0
	s_mul_i32 s20, s0, s3
	s_mul_hi_u32 s24, s0, s23
	s_add_i32 s20, s24, s20
	s_mul_i32 s1, s1, s23
	s_add_i32 s20, s20, s1
	s_mul_i32 s0, s0, s23
	s_mul_hi_u32 s24, s3, s0
	s_mul_i32 s25, s3, s0
	s_mul_i32 s27, s23, s20
	s_mul_hi_u32 s0, s23, s0
	s_mul_hi_u32 s26, s23, s20
	s_add_u32 s0, s0, s27
	s_addc_u32 s23, 0, s26
	s_add_u32 s0, s0, s25
	s_mul_hi_u32 s1, s3, s20
	s_addc_u32 s0, s23, s24
	s_addc_u32 s1, s1, 0
	s_mul_i32 s20, s3, s20
	s_add_u32 s0, s0, s20
	s_addc_u32 s1, 0, s1
	v_add_co_u32_e32 v0, vcc, s0, v0
	s_cmp_lg_u64 vcc, 0
	s_addc_u32 s3, s3, s1
	s_ashr_i32 s0, s7, 31
	s_add_u32 s24, s2, s0
	s_mov_b32 s1, s0
	s_addc_u32 s25, s7, s0
	s_xor_b64 s[24:25], s[24:25], s[0:1]
	v_readfirstlane_b32 s20, v0
	s_mul_i32 s7, s24, s3
	s_mul_hi_u32 s23, s24, s20
	s_mul_hi_u32 s1, s24, s3
	s_add_u32 s7, s23, s7
	s_addc_u32 s1, 0, s1
	s_mul_hi_u32 s26, s25, s20
	s_mul_i32 s20, s25, s20
	s_add_u32 s7, s7, s20
	s_mul_hi_u32 s23, s25, s3
	s_addc_u32 s1, s1, s26
	s_addc_u32 s7, s23, 0
	s_mul_i32 s3, s25, s3
	s_add_u32 s1, s1, s3
	s_addc_u32 s3, 0, s7
	s_mul_i32 s3, s22, s3
	s_mul_hi_u32 s23, s22, s1
	s_add_i32 s23, s23, s3
	s_mul_i32 s3, s22, s1
	v_mov_b32_e32 v0, s3
	s_add_u32 s7, s1, 1
	s_add_u32 s20, s1, 2
	v_sub_co_u32_e32 v0, vcc, s24, v0
	s_cmp_lg_u64 vcc, 0
	s_subb_u32 s3, s25, s23
	v_subrev_co_u32_e32 v1, vcc, s22, v0
	s_cmp_lg_u64 vcc, 0
	s_subb_u32 s23, s3, 0
	v_cmp_le_u32_e32 vcc, s22, v1
	s_cmp_eq_u32 s23, 0
	v_mov_b32_e32 v13, s7
	v_cndmask_b32_e64 v1, 0, -1, vcc
	s_cselect_b64 vcc, -1, 0
	v_cndmask_b32_e32 v1, -1, v1, vcc
	v_mov_b32_e32 v14, s20
	v_cmp_ne_u32_e32 vcc, 0, v1
	s_cmp_eq_u32 s3, 0
	s_nop 0
	v_cndmask_b32_e32 v1, v13, v14, vcc
	v_cmp_le_u32_e32 vcc, s22, v0
	v_mov_b32_e32 v13, s1
	s_nop 0
	v_cndmask_b32_e64 v0, 0, -1, vcc
	s_cselect_b64 vcc, -1, 0
	v_cndmask_b32_e32 v0, -1, v0, vcc
	v_cmp_ne_u32_e32 vcc, 0, v0
	s_nop 1
	v_cndmask_b32_e32 v0, v13, v1, vcc
	v_xor_b32_e32 v0, s0, v0
	v_subrev_co_u32_e32 v0, vcc, s0, v0
	s_cbranch_execnz .LBB8_11
.LBB8_10:
	s_sub_i32 s0, 0, s22
	v_mul_lo_u32 v0, s0, v11
	v_mul_hi_u32 v0, v11, v0
	v_add_u32_e32 v0, v11, v0
	v_mul_hi_u32 v0, s2, v0
	v_mul_lo_u32 v13, v0, s22
	v_sub_u32_e32 v13, s2, v13
	v_add_u32_e32 v1, 1, v0
	v_subrev_u32_e32 v14, s22, v13
	v_cmp_le_u32_e32 vcc, s22, v13
	s_nop 1
	v_cndmask_b32_e32 v13, v13, v14, vcc
	v_cndmask_b32_e32 v0, v0, v1, vcc
	v_add_u32_e32 v1, 1, v0
	v_cmp_le_u32_e32 vcc, s22, v13
	s_nop 1
	v_cndmask_b32_e32 v0, v0, v1, vcc
.LBB8_11:
	v_cmp_ne_u32_e32 vcc, v8, v0
	s_cbranch_vccz .LBB8_14
; %bb.12:
	s_add_i32 s0, s12, s22
	s_lshl_b32 s0, s0, 5
	v_mul_hi_u32 v1, v0, s16
	s_add_i32 s0, s0, s21
	s_mov_b32 s1, s6
	v_add_u32_e32 v1, v1, v0
	s_lshl_b64 s[0:1], s[0:1], 3
	v_lshrrev_b32_e32 v1, s17, v1
	s_add_u32 s2, s10, s0
	v_mul_lo_u32 v13, v1, s18
	s_addc_u32 s3, s11, s1
	v_cmp_eq_u32_e32 vcc, v13, v0
	v_cmp_gt_u32_e64 s[0:1], s19, v1
	s_or_b64 s[0:1], s[0:1], vcc
	s_and_b64 vcc, exec, s[0:1]
	s_cbranch_vccnz .LBB8_16
; %bb.13:
	s_add_i32 s7, s12, -1
	s_mov_b64 s[0:1], 0
	s_branch .LBB8_17
.LBB8_14:
                                        ; implicit-def: $sgpr0_sgpr1
                                        ; implicit-def: $vgpr14
                                        ; implicit-def: $vgpr1
                                        ; implicit-def: $vgpr13
                                        ; implicit-def: $sgpr7
                                        ; implicit-def: $vgpr0
	s_branch .LBB8_18
.LBB8_15:
                                        ; implicit-def: $vgpr0_vgpr1
	s_branch .LBB8_10
.LBB8_16:
	s_mov_b64 s[0:1], -1
	s_mov_b32 s7, s12
	v_mov_b32_e32 v0, v8
.LBB8_17:
	s_mul_i32 s20, s12, 0xe00
	v_add_u32_e32 v14, s20, v4
	v_ashrrev_i32_e32 v15, 31, v14
	v_lshl_add_u64 v[14:15], v[14:15], 2, s[4:5]
	global_load_dword v14, v[14:15], off
	s_load_dwordx2 s[2:3], s[2:3], 0x0
	v_max_f32_e32 v1, v7, v7
	s_waitcnt lgkmcnt(0)
	v_max_f32_e64 v13, s2, s2
	v_max_f32_e32 v1, v1, v13
	v_sub_f32_e32 v13, v7, v1
	v_sub_f32_e32 v15, s2, v1
	v_mul_f32_e32 v16, 0x3fb8aa3b, v13
	v_mul_f32_e32 v17, 0x3fb8aa3b, v15
	v_fma_f32 v18, v13, s8, -v16
	v_rndne_f32_e32 v19, v16
	v_fma_f32 v20, v15, s8, -v17
	v_rndne_f32_e32 v21, v17
	v_fmac_f32_e32 v18, 0x32a5705f, v13
	v_sub_f32_e32 v16, v16, v19
	v_fmac_f32_e32 v20, 0x32a5705f, v15
	v_sub_f32_e32 v17, v17, v21
	v_add_f32_e32 v16, v16, v18
	v_cvt_i32_f32_e32 v19, v19
	v_add_f32_e32 v17, v17, v20
	v_exp_f32_e32 v16, v16
	v_cvt_i32_f32_e32 v21, v21
	v_exp_f32_e32 v17, v17
	v_cmp_ngt_f32_e32 vcc, s9, v13
	v_ldexp_f32 v16, v16, v19
	v_ldexp_f32 v17, v17, v21
	v_cndmask_b32_e32 v16, 0, v16, vcc
	v_cmp_ngt_f32_e32 vcc, s9, v15
	s_nop 1
	v_cndmask_b32_e32 v17, 0, v17, vcc
	v_cmp_nlt_f32_e32 vcc, s13, v13
	s_nop 1
	v_cndmask_b32_e32 v16, v12, v16, vcc
	v_cmp_nlt_f32_e32 vcc, s13, v15
	s_nop 1
	v_cndmask_b32_e32 v17, v12, v17, vcc
	v_cmp_le_f32_e32 vcc, s14, v13
	s_nop 1
	v_cndmask_b32_e32 v16, 0, v16, vcc
	v_cmp_le_f32_e32 vcc, s14, v15
	s_nop 1
	v_cndmask_b32_e32 v15, 0, v17, vcc
	v_mul_f32_e32 v13, s3, v15
	v_fmac_f32_e32 v13, v6, v16
	s_waitcnt vmcnt(0)
	v_mul_f32_e32 v14, v14, v15
	v_fmac_f32_e32 v14, v5, v16
	s_cbranch_execnz .LBB8_19
.LBB8_18:
	s_add_i32 s7, s12, -1
	s_mov_b64 s[0:1], 0
	v_mov_b32_e32 v0, v8
	v_mov_b32_e32 v13, v6
	;; [unrolled: 1-line block ×3, first 2 shown]
	s_waitcnt vmcnt(0)
	v_mov_b32_e32 v14, v5
.LBB8_19:
	s_andn2_b64 vcc, exec, s[0:1]
	s_cbranch_vccz .LBB8_23
; %bb.20:
	v_mov_b32_e32 v8, v0
	s_mov_b32 s12, s7
	v_mov_b32_e32 v6, v13
	v_mov_b32_e32 v7, v1
	s_waitcnt vmcnt(0)
	v_mov_b32_e32 v5, v14
	s_mul_hi_i32 s7, s12, s15
	s_cmp_lg_u64 s[6:7], 0
	s_mul_i32 s2, s12, s15
	s_cbranch_scc1 .LBB8_9
	s_branch .LBB8_15
.LBB8_21:
                                        ; implicit-def: $sgpr20_sgpr21
	s_load_dwordx4 s[16:19], s[0:1], 0x44
	s_branch .LBB8_2
.LBB8_22:
                                        ; implicit-def: $vgpr2_vgpr3
	s_branch .LBB8_5
.LBB8_23:
	v_div_scale_f32 v0, s[0:1], v13, v13, v14
	v_rcp_f32_e32 v1, v0
	v_div_scale_f32 v4, vcc, v14, v13, v14
	s_waitcnt vmcnt(0)
	v_fma_f32 v5, -v0, v1, 1.0
	v_fmac_f32_e32 v1, v5, v1
	v_mul_f32_e32 v5, v4, v1
	v_fma_f32 v6, -v0, v5, v4
	v_fmac_f32_e32 v5, v6, v1
	v_fma_f32 v0, -v0, v5, v4
	v_div_fmas_f32 v0, v0, v1, v5
	v_div_fixup_f32 v0, v0, v13, v14
	global_store_dword v[2:3], v0, off
.LBB8_24:
	s_endpgm
	.section	.rodata,"a",@progbits
	.p2align	6, 0x0
	.amdhsa_kernel _ZL33flash_attn_stream_k_fixup_generalILi112ELi4ELi8EEvPfPK15HIP_vector_typeIfLj2EEiiiiS1_IjLj3EES5_S5_S5_
		.amdhsa_group_segment_fixed_size 0
		.amdhsa_private_segment_fixed_size 0
		.amdhsa_kernarg_size 336
		.amdhsa_user_sgpr_count 2
		.amdhsa_user_sgpr_dispatch_ptr 0
		.amdhsa_user_sgpr_queue_ptr 0
		.amdhsa_user_sgpr_kernarg_segment_ptr 1
		.amdhsa_user_sgpr_dispatch_id 0
		.amdhsa_user_sgpr_kernarg_preload_length 0
		.amdhsa_user_sgpr_kernarg_preload_offset 0
		.amdhsa_user_sgpr_private_segment_size 0
		.amdhsa_uses_dynamic_stack 0
		.amdhsa_enable_private_segment 0
		.amdhsa_system_sgpr_workgroup_id_x 1
		.amdhsa_system_sgpr_workgroup_id_y 1
		.amdhsa_system_sgpr_workgroup_id_z 1
		.amdhsa_system_sgpr_workgroup_info 0
		.amdhsa_system_vgpr_workitem_id 0
		.amdhsa_next_free_vgpr 22
		.amdhsa_next_free_sgpr 32
		.amdhsa_accum_offset 24
		.amdhsa_reserve_vcc 1
		.amdhsa_float_round_mode_32 0
		.amdhsa_float_round_mode_16_64 0
		.amdhsa_float_denorm_mode_32 3
		.amdhsa_float_denorm_mode_16_64 3
		.amdhsa_dx10_clamp 1
		.amdhsa_ieee_mode 1
		.amdhsa_fp16_overflow 0
		.amdhsa_tg_split 0
		.amdhsa_exception_fp_ieee_invalid_op 0
		.amdhsa_exception_fp_denorm_src 0
		.amdhsa_exception_fp_ieee_div_zero 0
		.amdhsa_exception_fp_ieee_overflow 0
		.amdhsa_exception_fp_ieee_underflow 0
		.amdhsa_exception_fp_ieee_inexact 0
		.amdhsa_exception_int_div_zero 0
	.end_amdhsa_kernel
	.section	.text._ZL33flash_attn_stream_k_fixup_generalILi112ELi4ELi8EEvPfPK15HIP_vector_typeIfLj2EEiiiiS1_IjLj3EES5_S5_S5_,"axG",@progbits,_ZL33flash_attn_stream_k_fixup_generalILi112ELi4ELi8EEvPfPK15HIP_vector_typeIfLj2EEiiiiS1_IjLj3EES5_S5_S5_,comdat
.Lfunc_end8:
	.size	_ZL33flash_attn_stream_k_fixup_generalILi112ELi4ELi8EEvPfPK15HIP_vector_typeIfLj2EEiiiiS1_IjLj3EES5_S5_S5_, .Lfunc_end8-_ZL33flash_attn_stream_k_fixup_generalILi112ELi4ELi8EEvPfPK15HIP_vector_typeIfLj2EEiiiiS1_IjLj3EES5_S5_S5_
                                        ; -- End function
	.section	.AMDGPU.csdata,"",@progbits
; Kernel info:
; codeLenInByte = 2868
; NumSgprs: 38
; NumVgprs: 22
; NumAgprs: 0
; TotalNumVgprs: 22
; ScratchSize: 0
; MemoryBound: 0
; FloatMode: 240
; IeeeMode: 1
; LDSByteSize: 0 bytes/workgroup (compile time only)
; SGPRBlocks: 4
; VGPRBlocks: 2
; NumSGPRsForWavesPerEU: 38
; NumVGPRsForWavesPerEU: 22
; AccumOffset: 24
; Occupancy: 8
; WaveLimiterHint : 0
; COMPUTE_PGM_RSRC2:SCRATCH_EN: 0
; COMPUTE_PGM_RSRC2:USER_SGPR: 2
; COMPUTE_PGM_RSRC2:TRAP_HANDLER: 0
; COMPUTE_PGM_RSRC2:TGID_X_EN: 1
; COMPUTE_PGM_RSRC2:TGID_Y_EN: 1
; COMPUTE_PGM_RSRC2:TGID_Z_EN: 1
; COMPUTE_PGM_RSRC2:TIDIG_COMP_CNT: 0
; COMPUTE_PGM_RSRC3_GFX90A:ACCUM_OFFSET: 5
; COMPUTE_PGM_RSRC3_GFX90A:TG_SPLIT: 0
	.section	.text._ZL15flash_attn_tileILi112ELi112ELi2ELi8ELb0EEvPKcS1_S1_S1_S1_PKiPfP15HIP_vector_typeIfLj2EEffffjfiS5_IjLj3EEiiiiiiiiiiiliiliiiiil,"axG",@progbits,_ZL15flash_attn_tileILi112ELi112ELi2ELi8ELb0EEvPKcS1_S1_S1_S1_PKiPfP15HIP_vector_typeIfLj2EEffffjfiS5_IjLj3EEiiiiiiiiiiiliiliiiiil,comdat
	.globl	_ZL15flash_attn_tileILi112ELi112ELi2ELi8ELb0EEvPKcS1_S1_S1_S1_PKiPfP15HIP_vector_typeIfLj2EEffffjfiS5_IjLj3EEiiiiiiiiiiiliiliiiiil ; -- Begin function _ZL15flash_attn_tileILi112ELi112ELi2ELi8ELb0EEvPKcS1_S1_S1_S1_PKiPfP15HIP_vector_typeIfLj2EEffffjfiS5_IjLj3EEiiiiiiiiiiiliiliiiiil
	.p2align	8
	.type	_ZL15flash_attn_tileILi112ELi112ELi2ELi8ELb0EEvPKcS1_S1_S1_S1_PKiPfP15HIP_vector_typeIfLj2EEffffjfiS5_IjLj3EEiiiiiiiiiiiliiliiiiil,@function
_ZL15flash_attn_tileILi112ELi112ELi2ELi8ELb0EEvPKcS1_S1_S1_S1_PKiPfP15HIP_vector_typeIfLj2EEffffjfiS5_IjLj3EEiiiiiiiiiiiliiliiiiil: ; @_ZL15flash_attn_tileILi112ELi112ELi2ELi8ELb0EEvPKcS1_S1_S1_S1_PKiPfP15HIP_vector_typeIfLj2EEffffjfiS5_IjLj3EEiiiiiiiiiiiliiliiiiil
; %bb.0:
	s_load_dwordx4 s[36:39], s[0:1], 0x5c
	s_load_dwordx2 s[34:35], s[0:1], 0x80
	s_load_dwordx16 s[16:31], s[0:1], 0x0
	s_mov_b64 s[40:41], 0
	s_waitcnt lgkmcnt(0)
	s_ashr_i32 s5, s39, 31
	s_lshr_b32 s5, s5, 29
	s_add_i32 s5, s39, s5
	s_ashr_i32 s5, s5, 3
	v_cvt_f32_u32_e32 v1, s5
	s_sub_i32 s6, 0, s5
	v_rcp_iflag_f32_e32 v1, v1
	s_nop 0
	v_mul_f32_e32 v1, 0x4f7ffffe, v1
	v_cvt_u32_f32_e32 v1, v1
	s_nop 0
	v_readfirstlane_b32 s7, v1
	s_mul_i32 s6, s6, s7
	s_mul_hi_u32 s6, s7, s6
	s_add_i32 s7, s7, s6
	s_mul_hi_u32 s6, s4, s7
	s_mul_i32 s7, s6, s5
	s_sub_i32 s7, s4, s7
	s_add_i32 s8, s6, 1
	s_sub_i32 s9, s7, s5
	s_cmp_ge_u32 s7, s5
	s_cselect_b32 s6, s8, s6
	s_cselect_b32 s7, s9, s7
	s_add_i32 s8, s6, 1
	s_cmp_ge_u32 s7, s5
	s_cselect_b32 s33, s8, s6
	s_abs_i32 s5, s35
	v_cvt_f32_u32_e32 v1, s5
	s_sub_i32 s8, 0, s5
	s_abs_i32 s7, s39
	s_lshl_b32 s6, s4, 3
	v_rcp_iflag_f32_e32 v1, v1
	s_xor_b32 s4, s39, s35
	s_ashr_i32 s4, s4, 31
	v_mul_f32_e32 v1, 0x4f7ffffe, v1
	v_cvt_u32_f32_e32 v1, v1
	s_nop 0
	v_readfirstlane_b32 s9, v1
	s_mul_i32 s8, s8, s9
	s_mul_hi_u32 s8, s9, s8
	s_add_i32 s9, s9, s8
	s_mul_hi_u32 s8, s7, s9
	s_mul_i32 s9, s8, s5
	s_sub_i32 s7, s7, s9
	s_add_i32 s10, s8, 1
	s_sub_i32 s9, s7, s5
	s_cmp_ge_u32 s7, s5
	s_cselect_b32 s8, s10, s8
	s_cselect_b32 s7, s9, s7
	s_add_i32 s9, s8, 1
	s_cmp_ge_u32 s7, s5
	s_cselect_b32 s5, s9, s8
	s_xor_b32 s5, s5, s4
	s_sub_i32 s11, s5, s4
	s_abs_i32 s10, s11
	v_cvt_f32_u32_e32 v1, s10
	s_load_dwordx2 s[4:5], s[0:1], 0xb8
	s_mul_i32 s7, s33, s39
	s_cmp_eq_u64 s[22:23], 0
	v_rcp_iflag_f32_e32 v1, v1
	s_nop 0
	v_mul_f32_e32 v1, 0x4f7ffffe, v1
	v_cvt_u32_f32_e32 v1, v1
	s_nop 0
	v_readfirstlane_b32 s12, v1
	s_cbranch_scc1 .LBB9_2
; %bb.1:
	s_waitcnt lgkmcnt(0)
	s_abs_i32 s4, s4
	v_cvt_f32_u32_e32 v1, s4
	s_sub_i32 s15, 0, s4
	s_abs_i32 s14, s33
	s_ashr_i32 s13, s33, 31
	v_rcp_iflag_f32_e32 v1, v1
	s_load_dwordx2 s[8:9], s[0:1], 0xc8
	v_mul_f32_e32 v1, 0x4f7ffffe, v1
	v_cvt_u32_f32_e32 v1, v1
	s_nop 0
	v_readfirstlane_b32 s35, v1
	s_mul_i32 s15, s15, s35
	s_mul_hi_u32 s15, s35, s15
	s_add_i32 s35, s35, s15
	s_mul_hi_u32 s15, s14, s35
	s_mul_i32 s15, s15, s4
	s_sub_i32 s14, s14, s15
	s_sub_i32 s15, s14, s4
	s_cmp_ge_u32 s14, s4
	s_cselect_b32 s14, s15, s14
	s_sub_i32 s15, s14, s4
	s_cmp_ge_u32 s14, s4
	s_cselect_b32 s4, s15, s14
	s_xor_b32 s4, s4, s13
	s_sub_i32 s4, s4, s13
	s_ashr_i32 s13, s4, 31
	s_waitcnt lgkmcnt(0)
	s_mul_i32 s9, s4, s9
	s_mul_hi_u32 s14, s4, s8
	s_add_i32 s9, s14, s9
	s_mul_i32 s13, s13, s8
	s_add_i32 s9, s9, s13
	s_mul_i32 s4, s4, s8
	s_add_u32 s40, s22, s4
	s_addc_u32 s41, s23, s9
.LBB9_2:
	v_bfe_u32 v1, v0, 10, 10
	v_and_b32_e32 v50, 0x3ff, v0
	v_lshrrev_b32_e32 v0, 2, v1
	v_lshl_add_u32 v49, s2, 1, v0
	v_mul_hi_u32 v0, s36, v49
	v_add_u32_e32 v0, v49, v0
	v_lshrrev_b32_e32 v0, s37, v0
	v_lshlrev_b32_e32 v3, 1, v1
	v_mul_lo_u32 v0, v0, s38
	s_sub_i32 s35, s6, s7
	v_cmp_gt_u32_e64 s[22:23], 28, v50
	v_sub_u32_e32 v2, v49, v0
	v_lshlrev_b32_e32 v48, 2, v50
	v_lshlrev_b32_e32 v0, 1, v50
	v_and_b32_e32 v51, 6, v3
	s_and_saveexec_b64 s[6:7], s[22:23]
	s_cbranch_execz .LBB9_4
; %bb.3:
	s_load_dwordx4 s[44:47], s[0:1], 0x70
	v_or_b32_e32 v3, 1, v3
	v_mul_u32_u24_e32 v12, 0x70, v1
	v_add_lshl_u32 v12, v12, v0, 2
	s_waitcnt lgkmcnt(0)
	s_mul_i32 s4, s33, s46
	s_ashr_i32 s9, s4, 31
	s_mul_i32 s8, s35, s45
	s_add_u32 s4, s16, s4
	s_addc_u32 s9, s17, s9
	s_ashr_i32 s13, s8, 31
	s_add_u32 s8, s4, s8
	v_mov_b32_e32 v4, s44
	s_addc_u32 s9, s9, s13
	s_ashr_i32 s4, s44, 31
	v_alignbit_b32 v4, s4, v4, 2
	v_mad_u64_u32 v[4:5], s[14:15], v4, v2, 0
	v_mov_b32_e32 v6, v5
	s_lshr_b32 s4, s4, 2
	v_mad_u64_u32 v[6:7], s[14:15], s4, v2, v[6:7]
	v_mov_b32_e32 v5, v6
	v_lshl_add_u64 v[4:5], v[4:5], 2, s[8:9]
	v_lshlrev_b32_e32 v6, 2, v48
	v_mov_b32_e32 v7, 0
	v_lshl_add_u64 v[8:9], v[4:5], 0, v[6:7]
	s_ashr_i32 s4, s45, 31
	v_mov_b32_e32 v4, s45
	v_alignbit_b32 v10, s4, v4, 2
	v_mad_u64_u32 v[4:5], s[8:9], v10, v51, 0
	v_mov_b32_e32 v6, v5
	s_lshr_b32 s4, s4, 2
	v_mad_u64_u32 v[6:7], s[8:9], s4, v51, v[6:7]
	v_and_b32_e32 v7, 7, v3
	v_mad_u64_u32 v[10:11], s[8:9], v10, v7, 0
	v_mov_b32_e32 v5, v6
	v_mov_b32_e32 v6, v11
	v_mad_u64_u32 v[6:7], s[8:9], s4, v7, v[6:7]
	v_lshl_add_u64 v[4:5], v[4:5], 2, v[8:9]
	v_mov_b32_e32 v11, v6
	global_load_dwordx4 v[4:7], v[4:5], off
	v_lshl_add_u64 v[8:9], v[10:11], 2, v[8:9]
	global_load_dwordx4 v[8:11], v[8:9], off
	s_load_dword s4, s[0:1], 0x40
	v_mul_u32_u24_e32 v3, 56, v3
	v_add_lshl_u32 v3, v3, v0, 2
	s_waitcnt vmcnt(1) lgkmcnt(0)
	v_pk_mul_f32 v[4:5], v[4:5], s[4:5] op_sel_hi:[1,0]
	v_pk_mul_f32 v[6:7], v[6:7], s[4:5] op_sel_hi:[1,0]
	s_waitcnt vmcnt(0)
	v_pk_mul_f32 v[8:9], v[8:9], s[4:5] op_sel_hi:[1,0]
	v_pk_mul_f32 v[10:11], v[10:11], s[4:5] op_sel_hi:[1,0]
	v_cvt_f16_f32_e32 v13, v5
	v_cvt_f16_f32_e32 v4, v4
	;; [unrolled: 1-line block ×8, first 2 shown]
	v_pack_b32_f16 v5, v6, v5
	v_pack_b32_f16 v4, v4, v13
	;; [unrolled: 1-line block ×4, first 2 shown]
	ds_write_b64 v12, v[4:5] offset:4160
	ds_write_b64 v3, v[6:7] offset:4160
.LBB9_4:
	s_or_b64 exec, exec, s[6:7]
	s_cmp_eq_u64 s[26:27], 0
	s_waitcnt lgkmcnt(0)
	s_barrier
	s_cbranch_scc1 .LBB9_6
; %bb.5:
	s_load_dword s4, s[0:1], 0xd0
	s_mov_b32 s7, 0
	s_waitcnt lgkmcnt(0)
	s_mul_i32 s4, s4, s33
	s_add_i32 s6, s4, s2
	s_lshl_b64 s[6:7], s[6:7], 2
	s_add_u32 s6, s26, s6
	s_addc_u32 s7, s27, s7
	s_load_dword s34, s[6:7], 0x0
.LBB9_6:
	s_lshl_b32 s44, s3, 5
	s_waitcnt lgkmcnt(0)
	s_cmp_lt_i32 s44, s34
	v_mbcnt_lo_u32_b32 v3, -1, 0
	s_cbranch_scc1 .LBB9_8
; %bb.7:
	v_mbcnt_hi_u32_b32 v63, -1, v3
	v_and_b32_e32 v4, 0x60, v63
	s_mov_b32 s6, 0xfeffffff
	s_mov_b32 s2, 0
	v_add_u32_e32 v102, 32, v4
	v_xor_b32_e32 v104, 16, v63
	v_xor_b32_e32 v103, 8, v63
	;; [unrolled: 1-line block ×5, first 2 shown]
	s_mov_b32 s7, s6
	s_mov_b64 s[8:9], 0
	s_branch .LBB9_9
.LBB9_8:
	s_mov_b64 s[8:9], -1
                                        ; implicit-def: $sgpr2
                                        ; implicit-def: $sgpr6_sgpr7
                                        ; implicit-def: $vgpr63
                                        ; implicit-def: $vgpr102
                                        ; implicit-def: $vgpr104
                                        ; implicit-def: $vgpr103
                                        ; implicit-def: $vgpr101
                                        ; implicit-def: $vgpr100
                                        ; implicit-def: $vgpr99
.LBB9_9:
	s_andn2_b64 vcc, exec, s[8:9]
	v_mov_b32_e32 v55, s2
	v_mov_b32_e32 v53, s2
	v_mov_b64_e32 v[80:81], s[6:7]
	v_mov_b32_e32 v69, s2
	v_mov_b32_e32 v54, s2
	;; [unrolled: 1-line block ×4, first 2 shown]
	s_cbranch_vccnz .LBB9_37
; %bb.10:
	s_sub_i32 s2, 0, s10
	s_mul_i32 s2, s2, s12
	s_mul_hi_u32 s2, s12, s2
	s_add_i32 s2, s12, s2
	s_load_dwordx2 s[6:7], s[0:1], 0x8c
	s_load_dwordx4 s[12:15], s[0:1], 0x98
	s_abs_i32 s4, s35
	s_mul_hi_u32 s2, s4, s2
	s_ashr_i32 s16, s35, 31
	s_waitcnt lgkmcnt(0)
	s_ashr_i32 s46, s6, 2
	s_ashr_i32 s45, s14, 2
	;; [unrolled: 1-line block ×4, first 2 shown]
	s_mul_i32 s6, s33, s13
	s_mul_hi_u32 s13, s33, s12
	s_add_i32 s6, s13, s6
	s_mul_i32 s13, s5, s12
	s_ashr_i32 s11, s11, 31
	s_add_i32 s6, s6, s13
	s_mul_i32 s12, s33, s12
	s_add_u32 s12, s18, s12
	s_mul_i32 s13, s2, s10
	s_addc_u32 s6, s19, s6
	s_sub_i32 s4, s4, s13
	s_xor_b32 s11, s16, s11
	s_add_i32 s13, s2, 1
	s_sub_i32 s16, s4, s10
	s_cmp_ge_u32 s4, s10
	s_cselect_b32 s2, s13, s2
	s_cselect_b32 s4, s16, s4
	s_add_i32 s13, s2, 1
	s_cmp_ge_u32 s4, s10
	s_cselect_b32 s2, s13, s2
	s_load_dwordx2 s[8:9], s[0:1], 0xa8
	s_xor_b32 s2, s2, s11
	s_sub_i32 s2, s2, s11
	s_mul_i32 s4, s2, s7
	s_ashr_i32 s7, s4, 31
	s_add_u32 s47, s12, s4
	s_addc_u32 s48, s6, s7
	s_waitcnt lgkmcnt(0)
	s_mul_i32 s4, s33, s9
	s_mul_hi_u32 s6, s33, s8
	s_add_i32 s4, s6, s4
	s_mul_i32 s5, s5, s8
	s_add_i32 s4, s4, s5
	s_mul_i32 s5, s33, s8
	v_lshrrev_b32_e32 v5, 1, v50
	v_mad_u64_u32 v[68:69], s[8:9], v2, s14, v[50:51]
	v_mov_b32_e32 v2, 0x1e40
	v_lshl_add_u32 v5, v1, 4, v5
	v_and_b32_e32 v58, 4, v48
	v_lshl_add_u32 v92, v1, 7, v2
	s_add_u32 s5, s20, s5
	s_mul_i32 s2, s2, s15
	v_lshl_add_u32 v4, v1, 5, v50
	v_lshrrev_b32_e32 v6, 2, v50
	v_lshlrev_b32_e32 v7, 2, v58
	v_lshl_add_u32 v93, v0, 1, v92
	v_lshlrev_b32_e32 v94, 2, v0
	v_mul_u32_u24_e32 v0, 0xe0, v5
	s_addc_u32 s4, s21, s4
	s_ashr_i32 s6, s2, 31
	v_cmp_gt_u32_e32 vcc, 32, v4
	v_lshl_add_u32 v6, v1, 3, v6
	v_mul_lo_u32 v56, s46, v4
	v_lshlrev_b32_e32 v4, 7, v5
	v_and_b32_e32 v62, 12, v48
	v_or_b32_e32 v0, v0, v7
	s_add_u32 s49, s5, s2
	v_or3_b32 v90, v4, v7, 64
	v_lshlrev_b32_e32 v4, 2, v62
	v_lshrrev_b32_e32 v2, 3, v50
	v_add_u32_e32 v95, 0xc0, v0
	v_mul_u32_u24_e32 v0, 0xe0, v6
	s_movk_i32 s14, 0x80
	v_and_b32_e32 v74, 28, v48
	s_addc_u32 s50, s4, s6
	v_mul_u32_u24_e32 v88, 0x1c0, v1
	v_lshl_add_u32 v1, v1, 2, v2
	s_movk_i32 s2, 0xe0
	v_add3_u32 v96, v0, v4, s14
	v_lshlrev_b32_e32 v0, 2, v74
	v_lshlrev_b32_e32 v75, 7, v50
	v_mul_lo_u32 v60, s46, v5
	v_mov_b32_e32 v65, 0
	v_mul_lo_u32 v66, s46, v6
	v_mul_lo_u32 v70, s45, v5
	;; [unrolled: 1-line block ×3, first 2 shown]
	v_mad_u32_u24 v97, v1, s2, v0
	v_mul_lo_u32 v76, s45, v1
	s_add_u32 s26, s0, 0xd0
	v_mov_b32_e32 v0, 0xfeffffff
	v_cmp_gt_u32_e64 s[4:5], 32, v5
	v_cmp_gt_u32_e64 s[6:7], 32, v6
	v_or_b32_e32 v89, 0x60, v75
	v_ashrrev_i32_e32 v57, 31, v56
	v_ashrrev_i32_e32 v61, 31, v60
	v_lshl_or_b32 v91, v6, 7, v4
	v_ashrrev_i32_e32 v67, 31, v66
	v_cmp_gt_u32_e64 s[8:9], 16, v5
	v_cmp_gt_u32_e64 s[10:11], 16, v6
	;; [unrolled: 1-line block ×3, first 2 shown]
	v_ashrrev_i32_e32 v71, 31, v70
	v_ashrrev_i32_e32 v73, 31, v72
	;; [unrolled: 1-line block ×3, first 2 shown]
	s_addc_u32 s27, s1, 0
	v_mbcnt_hi_u32_b32 v63, -1, v3
	s_mov_b32 s2, 0x40051340
	s_mov_b32 s51, 0x3fb8aa3b
	;; [unrolled: 1-line block ×4, first 2 shown]
	v_mov_b32_e32 v98, 0x7f800000
	v_mov_b32_e32 v59, 0
	;; [unrolled: 1-line block ×8, first 2 shown]
.LBB9_11:                               ; =>This Inner Loop Header: Depth=1
	s_mul_hi_i32 s15, s44, s46
	s_mul_i32 s14, s44, s46
	s_lshl_b64 s[14:15], s[14:15], 2
	s_add_u32 s14, s47, s14
	s_addc_u32 s15, s48, s15
	v_lshl_add_u64 v[6:7], v[56:57], 2, s[14:15]
	s_and_saveexec_b64 s[16:17], vcc
	s_cbranch_execz .LBB9_13
; %bb.12:                               ;   in Loop: Header=BB9_11 Depth=1
	global_load_dwordx4 v[2:5], v[6:7], off offset:96
	s_waitcnt vmcnt(0)
	ds_write_b128 v89, v[2:5]
.LBB9_13:                               ;   in Loop: Header=BB9_11 Depth=1
	s_or_b64 exec, exec, s[16:17]
	v_lshl_add_u64 v[4:5], v[60:61], 2, s[14:15]
	v_lshlrev_b32_e32 v64, 2, v58
	s_and_saveexec_b64 s[16:17], s[4:5]
	s_cbranch_execz .LBB9_15
; %bb.14:                               ;   in Loop: Header=BB9_11 Depth=1
	v_lshl_add_u64 v[2:3], v[4:5], 0, v[64:65]
	global_load_dwordx4 v[8:11], v[2:3], off offset:64
	s_waitcnt vmcnt(0)
	ds_write_b128 v90, v[8:11]
.LBB9_15:                               ;   in Loop: Header=BB9_11 Depth=1
	s_or_b64 exec, exec, s[16:17]
	v_lshl_add_u64 v[8:9], v[66:67], 2, s[14:15]
	v_lshlrev_b32_e32 v78, 2, v62
	s_and_saveexec_b64 s[14:15], s[6:7]
	s_cbranch_execz .LBB9_17
; %bb.16:                               ;   in Loop: Header=BB9_11 Depth=1
	v_mov_b32_e32 v79, v65
	v_lshl_add_u64 v[2:3], v[8:9], 0, v[78:79]
	global_load_dwordx4 v[10:13], v[2:3], off
	s_waitcnt vmcnt(0)
	ds_write_b128 v91, v[10:13]
.LBB9_17:                               ;   in Loop: Header=BB9_11 Depth=1
	s_or_b64 exec, exec, s[14:15]
	s_waitcnt lgkmcnt(0)
	s_barrier
	ds_read_b128 v[10:13], v75
	ds_read_b128 v[14:17], v88 offset:4160
	ds_read_b128 v[18:21], v88 offset:4384
	v_mov_b32_e32 v2, 0
	s_waitcnt lgkmcnt(1)
	;;#ASMSTART
	v_dot2_f32_f16 v2, v10, v14, v2
	;;#ASMEND
	s_nop 0
	;;#ASMSTART
	v_dot2_f32_f16 v2, v11, v15, v2
	;;#ASMEND
	v_mov_b32_e32 v3, 0
	;;#ASMSTART
	v_dot2_f32_f16 v2, v12, v16, v2
	;;#ASMEND
	s_nop 0
	;;#ASMSTART
	v_dot2_f32_f16 v2, v13, v17, v2
	;;#ASMEND
	s_waitcnt lgkmcnt(0)
	;;#ASMSTART
	v_dot2_f32_f16 v3, v10, v18, v3
	;;#ASMEND
	s_nop 0
	;;#ASMSTART
	v_dot2_f32_f16 v3, v11, v19, v3
	;;#ASMEND
	s_nop 0
	;;#ASMSTART
	v_dot2_f32_f16 v3, v12, v20, v3
	;;#ASMEND
	s_nop 0
	;;#ASMSTART
	v_dot2_f32_f16 v3, v13, v21, v3
	;;#ASMEND
	ds_read_b128 v[10:13], v75 offset:16
	ds_read_b128 v[14:17], v88 offset:4176
	ds_read_b128 v[18:21], v88 offset:4400
	s_waitcnt lgkmcnt(1)
	;;#ASMSTART
	v_dot2_f32_f16 v2, v10, v14, v2
	;;#ASMEND
	s_nop 0
	;;#ASMSTART
	v_dot2_f32_f16 v2, v11, v15, v2
	;;#ASMEND
	s_nop 0
	;;#ASMSTART
	v_dot2_f32_f16 v2, v12, v16, v2
	;;#ASMEND
	s_nop 0
	;;#ASMSTART
	v_dot2_f32_f16 v2, v13, v17, v2
	;;#ASMEND
	s_waitcnt lgkmcnt(0)
	;;#ASMSTART
	v_dot2_f32_f16 v3, v10, v18, v3
	;;#ASMEND
	s_nop 0
	;;#ASMSTART
	v_dot2_f32_f16 v3, v11, v19, v3
	;;#ASMEND
	s_nop 0
	;;#ASMSTART
	v_dot2_f32_f16 v3, v12, v20, v3
	;;#ASMEND
	s_nop 0
	;;#ASMSTART
	v_dot2_f32_f16 v3, v13, v21, v3
	;;#ASMEND
	ds_read_b128 v[10:13], v75 offset:32
	ds_read_b128 v[14:17], v88 offset:4192
	ds_read_b128 v[18:21], v88 offset:4416
	s_waitcnt lgkmcnt(1)
	;;#ASMSTART
	v_dot2_f32_f16 v2, v10, v14, v2
	;;#ASMEND
	s_nop 0
	;;#ASMSTART
	v_dot2_f32_f16 v2, v11, v15, v2
	;;#ASMEND
	s_nop 0
	;; [unrolled: 35-line block ×6, first 2 shown]
	;;#ASMSTART
	v_dot2_f32_f16 v2, v12, v16, v2
	;;#ASMEND
	s_nop 0
	;;#ASMSTART
	v_dot2_f32_f16 v2, v13, v17, v2
	;;#ASMEND
	s_waitcnt lgkmcnt(0)
	;;#ASMSTART
	v_dot2_f32_f16 v3, v10, v18, v3
	;;#ASMEND
	s_nop 0
	;;#ASMSTART
	v_dot2_f32_f16 v3, v11, v19, v3
	;;#ASMEND
	s_nop 0
	;;#ASMSTART
	v_dot2_f32_f16 v3, v12, v20, v3
	;;#ASMEND
	s_nop 0
	;;#ASMSTART
	v_dot2_f32_f16 v3, v13, v21, v3
	;;#ASMEND
	s_barrier
	s_and_saveexec_b64 s[14:15], vcc
	s_cbranch_execnz .LBB9_31
; %bb.18:                               ;   in Loop: Header=BB9_11 Depth=1
	s_or_b64 exec, exec, s[14:15]
	s_and_saveexec_b64 s[14:15], s[4:5]
	s_cbranch_execnz .LBB9_32
.LBB9_19:                               ;   in Loop: Header=BB9_11 Depth=1
	s_or_b64 exec, exec, s[14:15]
	s_and_saveexec_b64 s[14:15], s[6:7]
	s_cbranch_execz .LBB9_21
.LBB9_20:                               ;   in Loop: Header=BB9_11 Depth=1
	v_mov_b32_e32 v79, v65
	v_lshl_add_u64 v[4:5], v[8:9], 0, v[78:79]
	global_load_dwordx4 v[4:7], v[4:5], off offset:112
	s_waitcnt vmcnt(0)
	ds_write_b128 v91, v[4:7]
.LBB9_21:                               ;   in Loop: Header=BB9_11 Depth=1
	s_or_b64 exec, exec, s[14:15]
	s_waitcnt lgkmcnt(0)
	s_barrier
	ds_read_b128 v[4:7], v75
	ds_read_b128 v[8:11], v88 offset:4272
	ds_read_b128 v[12:15], v88 offset:4496
	s_waitcnt lgkmcnt(1)
	;;#ASMSTART
	v_dot2_f32_f16 v2, v4, v8, v2
	;;#ASMEND
	s_nop 0
	;;#ASMSTART
	v_dot2_f32_f16 v2, v5, v9, v2
	;;#ASMEND
	v_xor_b32_e32 v104, 16, v63
	;;#ASMSTART
	v_dot2_f32_f16 v2, v6, v10, v2
	;;#ASMEND
	v_xor_b32_e32 v103, 8, v63
	;;#ASMSTART
	v_dot2_f32_f16 v2, v7, v11, v2
	;;#ASMEND
	s_waitcnt lgkmcnt(0)
	;;#ASMSTART
	v_dot2_f32_f16 v3, v4, v12, v3
	;;#ASMEND
	v_xor_b32_e32 v101, 4, v63
	;;#ASMSTART
	v_dot2_f32_f16 v3, v5, v13, v3
	;;#ASMEND
	v_xor_b32_e32 v100, 2, v63
	;; [unrolled: 4-line block ×3, first 2 shown]
	;;#ASMSTART
	v_dot2_f32_f16 v3, v7, v15, v3
	;;#ASMEND
	ds_read_b128 v[4:7], v75 offset:16
	ds_read_b128 v[8:11], v88 offset:4288
	ds_read_b128 v[12:15], v88 offset:4512
	s_waitcnt lgkmcnt(1)
	;;#ASMSTART
	v_dot2_f32_f16 v2, v4, v8, v2
	;;#ASMEND
	s_nop 0
	;;#ASMSTART
	v_dot2_f32_f16 v2, v5, v9, v2
	;;#ASMEND
	s_nop 0
	;;#ASMSTART
	v_dot2_f32_f16 v2, v6, v10, v2
	;;#ASMEND
	s_nop 0
	;;#ASMSTART
	v_dot2_f32_f16 v2, v7, v11, v2
	;;#ASMEND
	s_waitcnt lgkmcnt(0)
	;;#ASMSTART
	v_dot2_f32_f16 v3, v4, v12, v3
	;;#ASMEND
	s_nop 0
	;;#ASMSTART
	v_dot2_f32_f16 v3, v5, v13, v3
	;;#ASMEND
	s_nop 0
	;;#ASMSTART
	v_dot2_f32_f16 v3, v6, v14, v3
	;;#ASMEND
	s_nop 0
	;;#ASMSTART
	v_dot2_f32_f16 v3, v7, v15, v3
	;;#ASMEND
	ds_read_b128 v[4:7], v75 offset:32
	ds_read_b128 v[8:11], v88 offset:4304
	ds_read_b128 v[12:15], v88 offset:4528
	s_waitcnt lgkmcnt(1)
	;;#ASMSTART
	v_dot2_f32_f16 v2, v4, v8, v2
	;;#ASMEND
	s_nop 0
	;;#ASMSTART
	v_dot2_f32_f16 v2, v5, v9, v2
	;;#ASMEND
	s_nop 0
	;;#ASMSTART
	v_dot2_f32_f16 v2, v6, v10, v2
	;;#ASMEND
	s_nop 0
	;;#ASMSTART
	v_dot2_f32_f16 v2, v7, v11, v2
	;;#ASMEND
	s_waitcnt lgkmcnt(0)
	;;#ASMSTART
	v_dot2_f32_f16 v3, v4, v12, v3
	;;#ASMEND
	s_nop 0
	;;#ASMSTART
	v_dot2_f32_f16 v3, v5, v13, v3
	;;#ASMEND
	s_nop 0
	;;#ASMSTART
	v_dot2_f32_f16 v3, v6, v14, v3
	;;#ASMEND
	s_nop 0
	;; [unrolled: 35-line block ×5, first 2 shown]
	;;#ASMSTART
	v_dot2_f32_f16 v3, v7, v15, v3
	;;#ASMEND
	ds_read_b128 v[4:7], v75 offset:96
	ds_read_b128 v[8:11], v88 offset:4368
	;; [unrolled: 1-line block ×3, first 2 shown]
	s_waitcnt lgkmcnt(1)
	;;#ASMSTART
	v_dot2_f32_f16 v2, v4, v8, v2
	;;#ASMEND
	s_nop 0
	;;#ASMSTART
	v_dot2_f32_f16 v2, v5, v9, v2
	;;#ASMEND
	s_nop 0
	;; [unrolled: 4-line block ×3, first 2 shown]
	;;#ASMSTART
	v_dot2_f32_f16 v2, v7, v11, v2
	;;#ASMEND
	s_waitcnt lgkmcnt(0)
	;;#ASMSTART
	v_dot2_f32_f16 v3, v4, v12, v3
	;;#ASMEND
	v_add_u32_e32 v4, s44, v68
	;;#ASMSTART
	v_dot2_f32_f16 v3, v5, v13, v3
	;;#ASMEND
	v_ashrrev_i32_e32 v5, 31, v4
	;;#ASMSTART
	v_dot2_f32_f16 v3, v6, v14, v3
	;;#ASMEND
	v_lshl_add_u64 v[4:5], v[4:5], 1, s[40:41]
	;;#ASMSTART
	v_dot2_f32_f16 v3, v7, v15, v3
	;;#ASMEND
	flat_load_ushort v4, v[4:5]
	v_and_b32_e32 v5, 0x60, v63
	v_add_u32_e32 v102, 32, v5
	v_cmp_lt_i32_e64 s[14:15], v104, v102
	v_max_f32_e32 v6, v1, v1
	v_max_f32_e32 v7, v0, v0
	v_cndmask_b32_e64 v5, v63, v104, s[14:15]
	v_lshlrev_b32_e32 v8, 2, v5
	v_cmp_lt_i32_e64 s[14:15], v103, v102
	s_waitcnt lgkmcnt(0)
	s_barrier
	s_waitcnt vmcnt(0)
	v_cvt_f32_f16_e32 v4, v4
	v_pk_add_f32 v[2:3], v[2:3], v[4:5] op_sel_hi:[1,0]
	s_nop 0
	v_pk_add_f32 v[4:5], v[2:3], s[2:3] op_sel_hi:[1,0]
	s_nop 0
	v_max_f32_e32 v5, v6, v5
	v_max_f32_e32 v4, v7, v4
	ds_bpermute_b32 v6, v8, v5
	ds_bpermute_b32 v7, v8, v4
	v_cndmask_b32_e64 v8, v63, v103, s[14:15]
	v_lshlrev_b32_e32 v8, 2, v8
	v_cmp_lt_i32_e64 s[14:15], v101, v102
	s_waitcnt lgkmcnt(1)
	v_max_f32_e32 v6, v6, v6
	s_waitcnt lgkmcnt(0)
	v_max_f32_e32 v7, v7, v7
	v_max_f32_e32 v5, v5, v6
	v_max_f32_e32 v4, v4, v7
	ds_bpermute_b32 v6, v8, v5
	ds_bpermute_b32 v7, v8, v4
	v_cndmask_b32_e64 v8, v63, v101, s[14:15]
	v_lshlrev_b32_e32 v8, 2, v8
	v_cmp_lt_i32_e64 s[14:15], v100, v102
	s_waitcnt lgkmcnt(1)
	v_max_f32_e32 v6, v6, v6
	s_waitcnt lgkmcnt(0)
	v_max_f32_e32 v7, v7, v7
	;; [unrolled: 11-line block ×3, first 2 shown]
	v_max_f32_e32 v5, v5, v6
	v_max_f32_e32 v4, v4, v7
	ds_bpermute_b32 v6, v8, v5
	ds_bpermute_b32 v7, v8, v4
	v_cndmask_b32_e64 v8, v63, v99, s[14:15]
	v_lshlrev_b32_e32 v8, 2, v8
	s_mul_hi_i32 s15, s44, s45
	s_waitcnt lgkmcnt(1)
	v_max_f32_e32 v6, v6, v6
	s_waitcnt lgkmcnt(0)
	v_max_f32_e32 v7, v7, v7
	v_max_f32_e32 v5, v5, v6
	;; [unrolled: 1-line block ×3, first 2 shown]
	ds_bpermute_b32 v6, v8, v5
	ds_bpermute_b32 v7, v8, v4
	s_mul_i32 s14, s44, s45
	s_lshl_b64 s[16:17], s[14:15], 2
	s_add_u32 s16, s49, s16
	s_waitcnt lgkmcnt(1)
	v_max_f32_e32 v6, v6, v6
	s_waitcnt lgkmcnt(0)
	v_max_f32_e32 v7, v7, v7
	v_max_f32_e32 v81, v5, v6
	;; [unrolled: 1-line block ×3, first 2 shown]
	v_pk_add_f32 v[2:3], v[2:3], v[80:81] neg_lo:[0,1] neg_hi:[0,1]
	s_addc_u32 s17, s50, s17
	v_mul_f32_e32 v4, 0x3fb8aa3b, v3
	v_mul_f32_e32 v5, 0x3fb8aa3b, v2
	v_fma_f32 v6, v3, s51, -v4
	v_rndne_f32_e32 v7, v4
	v_fma_f32 v8, v2, s51, -v5
	v_rndne_f32_e32 v9, v5
	v_fmac_f32_e32 v6, 0x32a5705f, v3
	v_sub_f32_e32 v4, v4, v7
	v_fmac_f32_e32 v8, 0x32a5705f, v2
	v_sub_f32_e32 v5, v5, v9
	v_add_f32_e32 v4, v4, v6
	v_cvt_i32_f32_e32 v7, v7
	v_add_f32_e32 v5, v5, v8
	v_exp_f32_e32 v4, v4
	v_cvt_i32_f32_e32 v9, v9
	v_exp_f32_e32 v5, v5
	v_cmp_ngt_f32_e64 s[14:15], s52, v3
	v_ldexp_f32 v4, v4, v7
	v_ldexp_f32 v5, v5, v9
	v_cndmask_b32_e64 v4, 0, v4, s[14:15]
	v_cmp_ngt_f32_e64 s[14:15], s52, v2
	s_nop 1
	v_cndmask_b32_e64 v5, 0, v5, s[14:15]
	v_cmp_nlt_f32_e64 s[14:15], s53, v3
	s_nop 1
	v_cndmask_b32_e64 v83, v98, v4, s[14:15]
	v_cmp_nlt_f32_e64 s[14:15], s53, v2
	v_cvt_f16_f32_e32 v2, v83
	s_nop 0
	v_cndmask_b32_e64 v82, v98, v5, s[14:15]
	v_cvt_f16_f32_e32 v3, v82
	v_pack_b32_f16 v2, v3, v2
	ds_write_b32 v93, v2
	s_and_saveexec_b64 s[14:15], s[8:9]
	s_cbranch_execnz .LBB9_33
; %bb.22:                               ;   in Loop: Header=BB9_11 Depth=1
	s_or_b64 exec, exec, s[14:15]
	s_and_saveexec_b64 s[14:15], s[10:11]
	s_cbranch_execnz .LBB9_34
.LBB9_23:                               ;   in Loop: Header=BB9_11 Depth=1
	s_or_b64 exec, exec, s[14:15]
	v_lshlrev_b32_e32 v86, 2, v74
	s_and_saveexec_b64 s[14:15], s[12:13]
	s_cbranch_execz .LBB9_25
.LBB9_24:                               ;   in Loop: Header=BB9_11 Depth=1
	v_lshl_add_u64 v[2:3], v[76:77], 2, s[16:17]
	v_mov_b32_e32 v87, v65
	v_lshl_add_u64 v[2:3], v[2:3], 0, v[86:87]
	global_load_dwordx4 v[2:5], v[2:3], off
	s_waitcnt vmcnt(0)
	ds_write_b128 v97, v[2:5]
.LBB9_25:                               ;   in Loop: Header=BB9_11 Depth=1
	s_or_b64 exec, exec, s[14:15]
	v_pk_add_f32 v[84:85], v[0:1], v[80:81] neg_lo:[0,1] neg_hi:[0,1]
	s_waitcnt lgkmcnt(0)
	s_barrier
	ds_read2_b64 v[44:47], v94 offset1:28
	ds_read_b128 v[36:39], v92
	ds_read_b128 v[16:19], v92 offset:16
	ds_read_b128 v[4:7], v92 offset:32
	;; [unrolled: 1-line block ×3, first 2 shown]
	ds_read2_b64 v[40:43], v94 offset0:56 offset1:84
	ds_read2_b64 v[32:35], v94 offset0:112 offset1:140
	;; [unrolled: 1-line block ×4, first 2 shown]
	v_add_u32_e32 v105, 0x800, v94
	ds_read2_b64 v[20:23], v105 offset0:24 offset1:52
	ds_read2_b64 v[12:15], v105 offset0:80 offset1:108
	;; [unrolled: 1-line block ×3, first 2 shown]
	s_or_b32 s36, s44, 16
	s_mul_hi_i32 s37, s36, s45
	s_mul_i32 s36, s36, s45
	s_lshl_b64 s[36:37], s[36:37], 2
	s_add_u32 s36, s49, s36
	v_cmp_ngt_f32_e64 s[18:19], s52, v85
	v_cmp_nlt_f32_e64 s[20:21], s53, v85
	v_cmp_ngt_f32_e64 s[16:17], s52, v84
	v_cmp_nlt_f32_e64 s[14:15], s53, v84
	s_addc_u32 s37, s50, s37
	s_waitcnt lgkmcnt(0)
	s_barrier
	s_and_saveexec_b64 s[42:43], s[8:9]
	s_cbranch_execnz .LBB9_35
; %bb.26:                               ;   in Loop: Header=BB9_11 Depth=1
	s_or_b64 exec, exec, s[42:43]
	s_and_saveexec_b64 s[42:43], s[10:11]
	s_cbranch_execnz .LBB9_36
.LBB9_27:                               ;   in Loop: Header=BB9_11 Depth=1
	s_or_b64 exec, exec, s[42:43]
	s_and_saveexec_b64 s[42:43], s[12:13]
	s_cbranch_execz .LBB9_29
.LBB9_28:                               ;   in Loop: Header=BB9_11 Depth=1
	v_lshl_add_u64 v[78:79], v[76:77], 2, s[36:37]
	v_mov_b32_e32 v87, v65
	v_lshl_add_u64 v[78:79], v[78:79], 0, v[86:87]
	global_load_dwordx4 v[106:109], v[78:79], off
	s_waitcnt vmcnt(0)
	ds_write_b128 v97, v[106:109]
.LBB9_29:                               ;   in Loop: Header=BB9_11 Depth=1
	s_or_b64 exec, exec, s[42:43]
	v_mul_f32_e32 v64, 0x3fb8aa3b, v85
	v_fma_f32 v78, v85, s51, -v64
	v_rndne_f32_e32 v79, v64
	v_fmac_f32_e32 v78, 0x32a5705f, v85
	v_sub_f32_e32 v64, v64, v79
	v_add_f32_e32 v64, v64, v78
	v_cvt_i32_f32_e32 v78, v79
	v_mul_f32_e32 v79, 0x3fb8aa3b, v84
	v_fma_f32 v85, v84, s51, -v79
	v_fmac_f32_e32 v85, 0x32a5705f, v84
	v_rndne_f32_e32 v84, v79
	v_exp_f32_e32 v64, v64
	v_sub_f32_e32 v79, v79, v84
	v_add_f32_e32 v79, v79, v85
	v_exp_f32_e32 v85, v79
	v_cvt_i32_f32_e32 v84, v84
	v_ldexp_f32 v64, v64, v78
	v_cndmask_b32_e64 v64, 0, v64, s[18:19]
	v_cndmask_b32_e64 v79, v98, v64, s[20:21]
	v_ldexp_f32 v64, v85, v84
	v_cndmask_b32_e64 v64, 0, v64, s[16:17]
	v_cvt_f16_f32_e32 v84, v79
	v_cndmask_b32_e64 v78, v98, v64, s[14:15]
	v_cvt_f16_f32_e32 v64, v78
	v_pk_mul_f16 v85, v44, v36 op_sel_hi:[1,0]
	v_pk_mul_f16 v44, v44, v36 op_sel:[0,1]
	v_pk_mul_f16 v59, v84, v59 op_sel_hi:[0,1]
	v_pk_fma_f16 v44, v84, v53, v44 op_sel_hi:[0,1,1]
	v_pk_mul_f16 v53, v45, v36 op_sel_hi:[1,0]
	v_pk_fma_f16 v69, v64, v69, v85 op_sel_hi:[0,1,1]
	v_pk_fma_f16 v52, v64, v52, v53 op_sel_hi:[0,1,1]
	v_pk_fma_f16 v36, v45, v36, v59 op_sel:[0,1,0]
	v_pk_fma_f16 v45, v46, v37, v69 op_sel_hi:[1,0,1]
	v_pk_fma_f16 v44, v46, v37, v44 op_sel:[0,1,0]
	;; [unrolled: 2-line block ×31, first 2 shown]
	s_waitcnt lgkmcnt(0)
	s_barrier
	ds_read2_b64 v[0:3], v94 offset1:28
	ds_read_b128 v[4:7], v92 offset:64
	ds_read_b128 v[8:11], v92 offset:80
	ds_read_b128 v[12:15], v92 offset:96
	ds_read_b128 v[16:19], v92 offset:112
	v_pk_fma_f32 v[54:55], v[54:55], v[78:79], v[82:83]
	s_waitcnt lgkmcnt(3)
	v_pk_fma_f16 v24, v0, v4, v20 op_sel_hi:[1,0,1]
	v_pk_fma_f16 v0, v0, v4, v21 op_sel:[0,1,0]
	v_pk_fma_f16 v25, v1, v4, v22 op_sel_hi:[1,0,1]
	v_pk_fma_f16 v1, v1, v4, v23 op_sel:[0,1,0]
	ds_read2_b64 v[20:23], v94 offset0:56 offset1:84
	v_pk_fma_f16 v4, v2, v5, v24 op_sel_hi:[1,0,1]
	v_pk_fma_f16 v0, v2, v5, v0 op_sel:[0,1,0]
	v_pk_fma_f16 v2, v3, v5, v25 op_sel_hi:[1,0,1]
	v_pk_fma_f16 v1, v3, v5, v1 op_sel:[0,1,0]
	s_waitcnt lgkmcnt(0)
	v_pk_fma_f16 v4, v20, v6, v4 op_sel_hi:[1,0,1]
	v_pk_fma_f16 v5, v20, v6, v0 op_sel:[0,1,0]
	v_pk_fma_f16 v20, v21, v6, v2 op_sel_hi:[1,0,1]
	v_pk_fma_f16 v6, v21, v6, v1 op_sel:[0,1,0]
	ds_read2_b64 v[0:3], v94 offset0:112 offset1:140
	v_pk_fma_f16 v4, v22, v7, v4 op_sel_hi:[1,0,1]
	v_pk_fma_f16 v5, v22, v7, v5 op_sel:[0,1,0]
	v_pk_fma_f16 v20, v23, v7, v20 op_sel_hi:[1,0,1]
	v_pk_fma_f16 v6, v23, v7, v6 op_sel:[0,1,0]
	;; [unrolled: 10-line block ×6, first 2 shown]
	s_waitcnt lgkmcnt(0)
	v_pk_fma_f16 v8, v0, v16, v8 op_sel_hi:[1,0,1]
	v_pk_fma_f16 v0, v0, v16, v4 op_sel:[0,1,0]
	v_pk_fma_f16 v9, v1, v16, v6 op_sel_hi:[1,0,1]
	v_pk_fma_f16 v1, v1, v16, v5 op_sel:[0,1,0]
	ds_read2_b64 v[4:7], v105 offset0:136 offset1:164
	s_waitcnt lgkmcnt(0)
	s_barrier
	s_load_dword s14, s[26:27], 0x4
	v_pk_fma_f16 v8, v2, v17, v8 op_sel_hi:[1,0,1]
	v_pk_fma_f16 v0, v2, v17, v0 op_sel:[0,1,0]
	v_pk_fma_f16 v2, v3, v17, v9 op_sel_hi:[1,0,1]
	v_pk_fma_f16 v1, v3, v17, v1 op_sel:[0,1,0]
	s_waitcnt lgkmcnt(0)
	s_lshl_b32 s14, s14, 5
	v_pk_fma_f16 v3, v4, v18, v8 op_sel_hi:[1,0,1]
	v_pk_fma_f16 v0, v4, v18, v0 op_sel:[0,1,0]
	v_pk_fma_f16 v2, v5, v18, v2 op_sel_hi:[1,0,1]
	v_pk_fma_f16 v1, v5, v18, v1 op_sel:[0,1,0]
	s_add_i32 s44, s14, s44
	v_pk_fma_f16 v69, v6, v19, v3 op_sel_hi:[1,0,1]
	v_pk_fma_f16 v53, v6, v19, v0 op_sel:[0,1,0]
	v_pk_fma_f16 v52, v7, v19, v2 op_sel_hi:[1,0,1]
	v_pk_fma_f16 v59, v7, v19, v1 op_sel:[0,1,0]
	s_cmp_ge_i32 s44, s34
	s_cbranch_scc1 .LBB9_37
; %bb.30:                               ;   in Loop: Header=BB9_11 Depth=1
	v_mov_b32_e32 v0, v80
	v_mov_b32_e32 v1, v81
	s_branch .LBB9_11
.LBB9_31:                               ;   in Loop: Header=BB9_11 Depth=1
	global_load_dwordx4 v[10:13], v[6:7], off offset:208
	s_waitcnt vmcnt(0)
	ds_write_b128 v89, v[10:13]
	s_or_b64 exec, exec, s[14:15]
	s_and_saveexec_b64 s[14:15], s[4:5]
	s_cbranch_execz .LBB9_19
.LBB9_32:                               ;   in Loop: Header=BB9_11 Depth=1
	v_lshl_add_u64 v[4:5], v[4:5], 0, v[64:65]
	global_load_dwordx4 v[4:7], v[4:5], off offset:176
	s_waitcnt vmcnt(0)
	ds_write_b128 v90, v[4:7]
	s_or_b64 exec, exec, s[14:15]
	s_and_saveexec_b64 s[14:15], s[6:7]
	s_cbranch_execnz .LBB9_20
	s_branch .LBB9_21
.LBB9_33:                               ;   in Loop: Header=BB9_11 Depth=1
	v_lshl_add_u64 v[2:3], v[70:71], 2, s[16:17]
	v_lshl_add_u64 v[2:3], v[2:3], 0, v[64:65]
	global_load_dwordx4 v[2:5], v[2:3], off offset:192
	s_waitcnt vmcnt(0)
	ds_write_b128 v95, v[2:5]
	s_or_b64 exec, exec, s[14:15]
	s_and_saveexec_b64 s[14:15], s[10:11]
	s_cbranch_execz .LBB9_23
.LBB9_34:                               ;   in Loop: Header=BB9_11 Depth=1
	v_lshl_add_u64 v[2:3], v[72:73], 2, s[16:17]
	v_mov_b32_e32 v79, v65
	v_lshl_add_u64 v[2:3], v[2:3], 0, v[78:79]
	global_load_dwordx4 v[2:5], v[2:3], off offset:128
	s_waitcnt vmcnt(0)
	ds_write_b128 v96, v[2:5]
	s_or_b64 exec, exec, s[14:15]
	v_lshlrev_b32_e32 v86, 2, v74
	s_and_saveexec_b64 s[14:15], s[12:13]
	s_cbranch_execnz .LBB9_24
	s_branch .LBB9_25
.LBB9_35:                               ;   in Loop: Header=BB9_11 Depth=1
	v_lshl_add_u64 v[106:107], v[70:71], 2, s[36:37]
	v_lshl_add_u64 v[106:107], v[106:107], 0, v[64:65]
	global_load_dwordx4 v[106:109], v[106:107], off offset:192
	s_waitcnt vmcnt(0)
	ds_write_b128 v95, v[106:109]
	s_or_b64 exec, exec, s[42:43]
	s_and_saveexec_b64 s[42:43], s[10:11]
	s_cbranch_execz .LBB9_27
.LBB9_36:                               ;   in Loop: Header=BB9_11 Depth=1
	v_lshl_add_u64 v[106:107], v[72:73], 2, s[36:37]
	v_mov_b32_e32 v79, v65
	v_lshl_add_u64 v[78:79], v[106:107], 0, v[78:79]
	global_load_dwordx4 v[106:109], v[78:79], off offset:128
	s_waitcnt vmcnt(0)
	ds_write_b128 v96, v[106:109]
	s_or_b64 exec, exec, s[42:43]
	s_and_saveexec_b64 s[42:43], s[12:13]
	s_cbranch_execnz .LBB9_28
	s_branch .LBB9_29
.LBB9_37:
	v_cmp_lt_i32_e32 vcc, v104, v102
	s_cmp_lg_u64 s[24:25], 0
	s_cselect_b64 s[4:5], -1, 0
	v_cndmask_b32_e32 v0, v63, v104, vcc
	v_lshlrev_b32_e32 v1, 2, v0
	ds_bpermute_b32 v0, v1, v54
	ds_bpermute_b32 v1, v1, v55
	v_cmp_lt_i32_e32 vcc, v103, v102
	s_cmp_eq_u32 s3, 0
	s_cselect_b64 s[6:7], -1, 0
	v_cndmask_b32_e32 v2, v63, v103, vcc
	v_lshlrev_b32_e32 v3, 2, v2
	s_waitcnt lgkmcnt(0)
	v_pk_add_f32 v[0:1], v[54:55], v[0:1]
	ds_bpermute_b32 v2, v3, v0
	ds_bpermute_b32 v3, v3, v1
	v_cmp_lt_i32_e32 vcc, v101, v102
	s_and_b64 s[4:5], s[6:7], s[4:5]
	s_waitcnt lgkmcnt(0)
	v_pk_add_f32 v[0:1], v[0:1], v[2:3]
	v_cndmask_b32_e32 v4, v63, v101, vcc
	v_lshlrev_b32_e32 v4, 2, v4
	ds_bpermute_b32 v2, v4, v0
	ds_bpermute_b32 v3, v4, v1
	v_cmp_lt_i32_e32 vcc, v100, v102
	s_waitcnt lgkmcnt(0)
	v_pk_add_f32 v[0:1], v[0:1], v[2:3]
	v_cndmask_b32_e32 v4, v63, v100, vcc
	v_lshlrev_b32_e32 v4, 2, v4
	ds_bpermute_b32 v2, v4, v0
	ds_bpermute_b32 v3, v4, v1
	v_cmp_lt_i32_e32 vcc, v99, v102
	s_waitcnt lgkmcnt(0)
	v_pk_add_f32 v[0:1], v[0:1], v[2:3]
	v_cndmask_b32_e32 v4, v63, v99, vcc
	v_lshlrev_b32_e32 v4, 2, v4
	ds_bpermute_b32 v2, v4, v0
	ds_bpermute_b32 v3, v4, v1
	s_and_b64 vcc, exec, s[4:5]
	s_waitcnt lgkmcnt(0)
	v_pk_add_f32 v[0:1], v[0:1], v[2:3]
	s_cbranch_vccz .LBB9_39
; %bb.38:
	v_add_u32_e32 v2, s35, v51
	v_ashrrev_i32_e32 v3, 31, v2
	v_lshl_add_u64 v[2:3], v[2:3], 2, s[24:25]
	global_load_dwordx2 v[2:3], v[2:3], off
	v_max_f32_e32 v4, v81, v81
	v_max_f32_e32 v6, v80, v80
	s_mov_b32 s2, 0x3fb8aa3b
	s_mov_b32 s4, 0xc2ce8ed0
	;; [unrolled: 1-line block ×3, first 2 shown]
	v_mov_b32_e32 v8, 0x7f800000
	s_waitcnt vmcnt(0)
	v_max_f32_e32 v5, v3, v3
	v_max_f32_e32 v7, v2, v2
	v_max_f32_e32 v5, v4, v5
	v_max_f32_e32 v4, v6, v7
	v_pk_add_f32 v[6:7], v[80:81], v[4:5] neg_lo:[0,1] neg_hi:[0,1]
	v_pk_add_f32 v[2:3], v[2:3], v[4:5] neg_lo:[0,1] neg_hi:[0,1]
	v_mul_f32_e32 v9, 0x3fb8aa3b, v7
	v_mul_f32_e32 v10, 0x3fb8aa3b, v6
	v_fma_f32 v13, v7, s2, -v9
	v_rndne_f32_e32 v14, v9
	v_mul_f32_e32 v11, 0x3fb8aa3b, v3
	v_fma_f32 v15, v6, s2, -v10
	v_rndne_f32_e32 v16, v10
	v_fmac_f32_e32 v13, 0x32a5705f, v7
	v_sub_f32_e32 v9, v9, v14
	v_mul_f32_e32 v12, 0x3fb8aa3b, v2
	v_fma_f32 v17, v3, s2, -v11
	v_rndne_f32_e32 v18, v11
	v_fmac_f32_e32 v15, 0x32a5705f, v6
	v_sub_f32_e32 v10, v10, v16
	v_add_f32_e32 v9, v9, v13
	v_fma_f32 v19, v2, s2, -v12
	v_rndne_f32_e32 v20, v12
	v_cvt_i32_f32_e32 v14, v14
	v_fmac_f32_e32 v17, 0x32a5705f, v3
	v_sub_f32_e32 v11, v11, v18
	v_add_f32_e32 v10, v10, v15
	v_exp_f32_e32 v9, v9
	v_cvt_i32_f32_e32 v16, v16
	v_fmac_f32_e32 v19, 0x32a5705f, v2
	v_sub_f32_e32 v12, v12, v20
	v_add_f32_e32 v11, v11, v17
	v_exp_f32_e32 v10, v10
	v_cvt_i32_f32_e32 v18, v18
	v_add_f32_e32 v12, v12, v19
	v_exp_f32_e32 v11, v11
	v_cvt_i32_f32_e32 v20, v20
	v_exp_f32_e32 v12, v12
	v_ldexp_f32 v9, v9, v14
	v_cmp_ngt_f32_e32 vcc, s4, v7
	v_ldexp_f32 v10, v10, v16
	v_ldexp_f32 v11, v11, v18
	v_cndmask_b32_e32 v9, 0, v9, vcc
	v_cmp_ngt_f32_e32 vcc, s4, v6
	v_ldexp_f32 v12, v12, v20
	v_mov_b64_e32 v[80:81], v[4:5]
	v_cndmask_b32_e32 v10, 0, v10, vcc
	v_cmp_ngt_f32_e32 vcc, s4, v3
	s_nop 1
	v_cndmask_b32_e32 v11, 0, v11, vcc
	v_cmp_ngt_f32_e32 vcc, s4, v2
	s_nop 1
	v_cndmask_b32_e32 v12, 0, v12, vcc
	v_cmp_nlt_f32_e32 vcc, s5, v7
	s_nop 1
	v_cndmask_b32_e32 v7, v8, v9, vcc
	v_cmp_nlt_f32_e32 vcc, s5, v6
	;; [unrolled: 3-line block ×3, first 2 shown]
	v_cvt_f16_f32_e32 v9, v6
	v_pk_mul_f16 v69, v9, v69 op_sel_hi:[0,1]
	v_cndmask_b32_e32 v3, v8, v11, vcc
	v_cmp_nlt_f32_e32 vcc, s5, v2
	v_pk_mul_f16 v52, v9, v52 op_sel_hi:[0,1]
	s_nop 0
	v_cndmask_b32_e32 v2, v8, v12, vcc
	v_cvt_f16_f32_e32 v8, v7
	v_pk_fma_f32 v[0:1], v[0:1], v[6:7], v[2:3]
	v_pk_mul_f16 v53, v8, v53 op_sel_hi:[0,1]
	v_pk_mul_f16 v59, v8, v59 op_sel_hi:[0,1]
.LBB9_39:
	v_cmp_gt_i32_e32 vcc, s38, v49
	s_and_saveexec_b64 s[4:5], vcc
	s_cbranch_execz .LBB9_49
; %bb.40:
	s_load_dword s2, s[0:1], 0xd4
	v_mov_b32_e32 v4, 1.0
	s_waitcnt lgkmcnt(0)
	s_cmp_lg_u32 s2, 1
	s_cselect_b64 s[4:5], -1, 0
	s_cmp_eq_u32 s2, 1
	s_cselect_b64 s[0:1], -1, 0
	s_and_b64 vcc, exec, s[4:5]
	s_cbranch_vccnz .LBB9_42
; %bb.41:
	v_div_scale_f32 v2, s[6:7], v0, v0, 1.0
	v_rcp_f32_e32 v3, v2
	v_div_scale_f32 v4, vcc, 1.0, v0, 1.0
	v_fma_f32 v5, -v2, v3, 1.0
	v_fmac_f32_e32 v3, v5, v3
	v_mul_f32_e32 v5, v4, v3
	v_fma_f32 v6, -v2, v5, v4
	v_fmac_f32_e32 v5, v6, v3
	v_fma_f32 v2, -v2, v5, v4
	v_div_fmas_f32 v2, v2, v3, v5
	v_div_fixup_f32 v4, v2, v0, 1.0
.LBB9_42:
	s_mul_i32 s33, s33, s38
	v_add_u32_e32 v2, s33, v49
	v_mul_lo_u32 v2, v2, s39
	v_add3_u32 v2, s35, v51, v2
	v_mul_lo_u32 v5, s2, v2
	v_add_u32_e32 v2, s3, v5
	s_and_saveexec_b64 s[6:7], s[22:23]
	s_cbranch_execz .LBB9_44
; %bb.43:
	v_cvt_f32_f16_sdwa v9, v69 dst_sel:DWORD dst_unused:UNUSED_PAD src0_sel:WORD_1
	v_cvt_f32_f16_e32 v8, v69
	v_cvt_f32_f16_sdwa v11, v52 dst_sel:DWORD dst_unused:UNUSED_PAD src0_sel:WORD_1
	v_cvt_f32_f16_e32 v10, v52
	s_movk_i32 s8, 0x70
	v_mad_u64_u32 v[6:7], s[8:9], v2, s8, v[48:49]
	v_mov_b32_e32 v7, 0
	v_lshl_add_u64 v[12:13], v[6:7], 2, s[28:29]
	v_pk_mul_f32 v[6:7], v[4:5], v[8:9] op_sel_hi:[0,1]
	v_pk_mul_f32 v[8:9], v[4:5], v[10:11] op_sel_hi:[0,1]
	global_store_dwordx4 v[12:13], v[6:9], off
.LBB9_44:
	s_or_b64 exec, exec, s[6:7]
	v_cmp_eq_u32_e32 vcc, 0, v50
	s_and_b64 s[4:5], vcc, s[4:5]
	s_and_saveexec_b64 s[6:7], s[4:5]
	s_cbranch_execnz .LBB9_50
; %bb.45:
	s_or_b64 exec, exec, s[6:7]
	s_andn2_b64 vcc, exec, s[0:1]
	v_mov_b32_e32 v0, 1.0
	s_cbranch_vccz .LBB9_51
.LBB9_46:
	s_add_i32 s3, s3, s2
	v_add_u32_e32 v2, s3, v5
	s_and_saveexec_b64 s[0:1], s[22:23]
	s_cbranch_execnz .LBB9_52
.LBB9_47:
	s_or_b64 exec, exec, s[0:1]
	s_and_b64 exec, exec, s[4:5]
	s_cbranch_execz .LBB9_49
.LBB9_48:
	v_ashrrev_i32_e32 v3, 31, v2
	v_lshl_add_u64 v[2:3], v[2:3], 3, s[30:31]
	v_mov_b32_e32 v0, v81
	global_store_dwordx2 v[2:3], v[0:1], off
.LBB9_49:
	s_endpgm
.LBB9_50:
	v_ashrrev_i32_e32 v3, 31, v2
	v_lshl_add_u64 v[2:3], v[2:3], 3, s[30:31]
	v_mov_b32_e32 v6, v80
	v_mov_b32_e32 v7, v0
	global_store_dwordx2 v[2:3], v[6:7], off
	s_or_b64 exec, exec, s[6:7]
	s_andn2_b64 vcc, exec, s[0:1]
	v_mov_b32_e32 v0, 1.0
	s_cbranch_vccnz .LBB9_46
.LBB9_51:
	v_div_scale_f32 v0, s[0:1], v1, v1, 1.0
	v_rcp_f32_e32 v2, v0
	v_div_scale_f32 v3, vcc, 1.0, v1, 1.0
	v_fma_f32 v4, -v0, v2, 1.0
	v_fmac_f32_e32 v2, v4, v2
	v_mul_f32_e32 v4, v3, v2
	v_fma_f32 v6, -v0, v4, v3
	v_fmac_f32_e32 v4, v6, v2
	v_fma_f32 v0, -v0, v4, v3
	v_div_fmas_f32 v0, v0, v2, v4
	v_div_fixup_f32 v0, v0, v1, 1.0
	s_add_i32 s3, s3, s2
	v_add_u32_e32 v2, s3, v5
	s_and_saveexec_b64 s[0:1], s[22:23]
	s_cbranch_execz .LBB9_47
.LBB9_52:
	v_cvt_f32_f16_sdwa v7, v53 dst_sel:DWORD dst_unused:UNUSED_PAD src0_sel:WORD_1
	v_cvt_f32_f16_e32 v6, v53
	v_cvt_f32_f16_sdwa v9, v59 dst_sel:DWORD dst_unused:UNUSED_PAD src0_sel:WORD_1
	v_cvt_f32_f16_e32 v8, v59
	s_movk_i32 s2, 0x70
	v_mad_u64_u32 v[4:5], s[2:3], v2, s2, v[48:49]
	v_mov_b32_e32 v5, 0
	v_lshl_add_u64 v[10:11], v[4:5], 2, s[28:29]
	v_pk_mul_f32 v[4:5], v[0:1], v[6:7] op_sel_hi:[0,1]
	v_pk_mul_f32 v[6:7], v[0:1], v[8:9] op_sel_hi:[0,1]
	global_store_dwordx4 v[10:11], v[4:7], off
	s_or_b64 exec, exec, s[0:1]
	s_and_b64 exec, exec, s[4:5]
	s_cbranch_execnz .LBB9_48
	s_branch .LBB9_49
	.section	.rodata,"a",@progbits
	.p2align	6, 0x0
	.amdhsa_kernel _ZL15flash_attn_tileILi112ELi112ELi2ELi8ELb0EEvPKcS1_S1_S1_S1_PKiPfP15HIP_vector_typeIfLj2EEffffjfiS5_IjLj3EEiiiiiiiiiiiliiliiiiil
		.amdhsa_group_segment_fixed_size 8768
		.amdhsa_private_segment_fixed_size 0
		.amdhsa_kernarg_size 464
		.amdhsa_user_sgpr_count 2
		.amdhsa_user_sgpr_dispatch_ptr 0
		.amdhsa_user_sgpr_queue_ptr 0
		.amdhsa_user_sgpr_kernarg_segment_ptr 1
		.amdhsa_user_sgpr_dispatch_id 0
		.amdhsa_user_sgpr_kernarg_preload_length 0
		.amdhsa_user_sgpr_kernarg_preload_offset 0
		.amdhsa_user_sgpr_private_segment_size 0
		.amdhsa_uses_dynamic_stack 0
		.amdhsa_enable_private_segment 0
		.amdhsa_system_sgpr_workgroup_id_x 1
		.amdhsa_system_sgpr_workgroup_id_y 1
		.amdhsa_system_sgpr_workgroup_id_z 1
		.amdhsa_system_sgpr_workgroup_info 0
		.amdhsa_system_vgpr_workitem_id 1
		.amdhsa_next_free_vgpr 110
		.amdhsa_next_free_sgpr 54
		.amdhsa_accum_offset 112
		.amdhsa_reserve_vcc 1
		.amdhsa_float_round_mode_32 0
		.amdhsa_float_round_mode_16_64 0
		.amdhsa_float_denorm_mode_32 3
		.amdhsa_float_denorm_mode_16_64 3
		.amdhsa_dx10_clamp 1
		.amdhsa_ieee_mode 1
		.amdhsa_fp16_overflow 0
		.amdhsa_tg_split 0
		.amdhsa_exception_fp_ieee_invalid_op 0
		.amdhsa_exception_fp_denorm_src 0
		.amdhsa_exception_fp_ieee_div_zero 0
		.amdhsa_exception_fp_ieee_overflow 0
		.amdhsa_exception_fp_ieee_underflow 0
		.amdhsa_exception_fp_ieee_inexact 0
		.amdhsa_exception_int_div_zero 0
	.end_amdhsa_kernel
	.section	.text._ZL15flash_attn_tileILi112ELi112ELi2ELi8ELb0EEvPKcS1_S1_S1_S1_PKiPfP15HIP_vector_typeIfLj2EEffffjfiS5_IjLj3EEiiiiiiiiiiiliiliiiiil,"axG",@progbits,_ZL15flash_attn_tileILi112ELi112ELi2ELi8ELb0EEvPKcS1_S1_S1_S1_PKiPfP15HIP_vector_typeIfLj2EEffffjfiS5_IjLj3EEiiiiiiiiiiiliiliiiiil,comdat
.Lfunc_end9:
	.size	_ZL15flash_attn_tileILi112ELi112ELi2ELi8ELb0EEvPKcS1_S1_S1_S1_PKiPfP15HIP_vector_typeIfLj2EEffffjfiS5_IjLj3EEiiiiiiiiiiiliiliiiiil, .Lfunc_end9-_ZL15flash_attn_tileILi112ELi112ELi2ELi8ELb0EEvPKcS1_S1_S1_S1_PKiPfP15HIP_vector_typeIfLj2EEffffjfiS5_IjLj3EEiiiiiiiiiiiliiliiiiil
                                        ; -- End function
	.section	.AMDGPU.csdata,"",@progbits
; Kernel info:
; codeLenInByte = 7556
; NumSgprs: 60
; NumVgprs: 110
; NumAgprs: 0
; TotalNumVgprs: 110
; ScratchSize: 0
; MemoryBound: 0
; FloatMode: 240
; IeeeMode: 1
; LDSByteSize: 8768 bytes/workgroup (compile time only)
; SGPRBlocks: 7
; VGPRBlocks: 13
; NumSGPRsForWavesPerEU: 60
; NumVGPRsForWavesPerEU: 110
; AccumOffset: 112
; Occupancy: 4
; WaveLimiterHint : 1
; COMPUTE_PGM_RSRC2:SCRATCH_EN: 0
; COMPUTE_PGM_RSRC2:USER_SGPR: 2
; COMPUTE_PGM_RSRC2:TRAP_HANDLER: 0
; COMPUTE_PGM_RSRC2:TGID_X_EN: 1
; COMPUTE_PGM_RSRC2:TGID_Y_EN: 1
; COMPUTE_PGM_RSRC2:TGID_Z_EN: 1
; COMPUTE_PGM_RSRC2:TIDIG_COMP_CNT: 1
; COMPUTE_PGM_RSRC3_GFX90A:ACCUM_OFFSET: 27
; COMPUTE_PGM_RSRC3_GFX90A:TG_SPLIT: 0
	.section	.text._ZL25flash_attn_mask_to_KV_maxILi2EEvPK7__half2Piiii,"axG",@progbits,_ZL25flash_attn_mask_to_KV_maxILi2EEvPK7__half2Piiii,comdat
	.globl	_ZL25flash_attn_mask_to_KV_maxILi2EEvPK7__half2Piiii ; -- Begin function _ZL25flash_attn_mask_to_KV_maxILi2EEvPK7__half2Piiii
	.p2align	8
	.type	_ZL25flash_attn_mask_to_KV_maxILi2EEvPK7__half2Piiii,@function
_ZL25flash_attn_mask_to_KV_maxILi2EEvPK7__half2Piiii: ; @_ZL25flash_attn_mask_to_KV_maxILi2EEvPK7__half2Piiii
; %bb.0:
	s_load_dwordx4 s[4:7], s[0:1], 0x0
	v_cmp_gt_u32_e32 vcc, 32, v0
	s_and_saveexec_b64 s[8:9], vcc
	s_cbranch_execz .LBB10_2
; %bb.1:
	v_lshlrev_b32_e32 v1, 2, v0
	v_mov_b32_e32 v2, 1
	ds_write_b32 v1, v2
.LBB10_2:
	s_or_b64 exec, exec, s[8:9]
	s_load_dwordx4 s[8:11], s[0:1], 0x10
	s_load_dword s18, s[0:1], 0x20
	v_and_b32_e32 v2, 31, v0
	v_lshlrev_b32_e32 v4, 2, v2
	v_lshrrev_b32_e32 v1, 3, v0
	s_waitcnt lgkmcnt(0)
	s_mul_i32 s1, s2, s9
	s_mul_i32 s0, s3, s10
	s_lshl_b32 s1, s1, 1
	s_add_i32 s0, s0, s1
	s_ashr_i32 s1, s0, 31
	s_lshl_b64 s[0:1], s[0:1], 2
	s_add_u32 s10, s4, s0
	s_addc_u32 s11, s5, s1
	v_cmp_eq_u32_e64 s[0:1], 0, v2
	v_mbcnt_lo_u32_b32 v2, -1, 0
	v_mbcnt_hi_u32_b32 v5, -1, v2
	v_and_b32_e32 v2, 0x60, v5
	s_lshl_b32 s8, s8, 8
	s_mov_b64 s[12:13], 0
	v_mov_b32_e32 v3, 0
	s_movk_i32 s19, 0x204
	s_movk_i32 s20, 0x7fff
	;; [unrolled: 1-line block ×3, first 2 shown]
	v_add_u32_e32 v6, 32, v2
	v_xor_b32_e32 v7, 16, v5
	v_xor_b32_e32 v8, 8, v5
	;; [unrolled: 1-line block ×5, first 2 shown]
	s_barrier
	s_waitcnt lgkmcnt(0)
                                        ; implicit-def: $sgpr4_sgpr5
	s_branch .LBB10_5
.LBB10_3:                               ;   in Loop: Header=BB10_5 Depth=1
	s_or_b64 exec, exec, s[14:15]
	s_waitcnt lgkmcnt(0)
	s_barrier
	ds_read_b32 v16, v4
	s_waitcnt lgkmcnt(0)
	s_barrier
	ds_bpermute_b32 v2, v2, v16
	v_cmp_ne_u32_e32 vcc, 0, v16
	s_waitcnt lgkmcnt(0)
	v_cmp_ne_u32_e64 s[4:5], 0, v2
	s_and_b64 s[4:5], vcc, s[4:5]
	s_nop 0
	v_cndmask_b32_e64 v2, 0, 1, s[4:5]
	ds_bpermute_b32 v2, v12, v2
	s_waitcnt lgkmcnt(0)
	v_cmp_ne_u32_e32 vcc, 0, v2
	s_and_b64 s[4:5], vcc, s[4:5]
	v_cndmask_b32_e64 v2, 0, 1, s[4:5]
	ds_bpermute_b32 v2, v13, v2
	s_waitcnt lgkmcnt(0)
	v_cmp_ne_u32_e32 vcc, 0, v2
	s_and_b64 s[4:5], vcc, s[4:5]
	;; [unrolled: 5-line block ×3, first 2 shown]
	v_cndmask_b32_e64 v2, 0, 1, s[4:5]
	ds_bpermute_b32 v2, v15, v2
	s_xor_b64 s[4:5], s[4:5], -1
	s_waitcnt lgkmcnt(0)
	v_cmp_eq_u32_e32 vcc, 0, v2
	s_or_b64 s[4:5], vcc, s[4:5]
.LBB10_4:                               ;   in Loop: Header=BB10_5 Depth=1
	s_and_b64 s[14:15], exec, s[4:5]
	s_or_b64 s[12:13], s[14:15], s[12:13]
	v_mov_b32_e32 v2, s8
	s_mov_b32 s8, s22
	s_andn2_b64 exec, exec, s[12:13]
	s_cbranch_execz .LBB10_12
.LBB10_5:                               ; =>This Inner Loop Header: Depth=1
	s_add_i32 s22, s8, 0xffffff00
	s_or_b64 s[4:5], s[4:5], exec
	s_cmp_lt_i32 s22, 0
	s_cbranch_scc1 .LBB10_4
; %bb.6:                                ;   in Loop: Header=BB10_5 Depth=1
	s_lshr_b32 s4, s22, 1
	v_add_u32_e32 v2, s4, v0
	v_lshl_add_u64 v[12:13], v[2:3], 2, s[10:11]
	global_load_dword v12, v[12:13], off
	s_mov_b64 s[14:15], 0
	s_waitcnt vmcnt(0)
	v_cmp_class_f16_e64 s[4:5], v12, s19
	v_and_b32_sdwa v12, s20, v12 dst_sel:DWORD dst_unused:UNUSED_PAD src0_sel:DWORD src1_sel:WORD_1
	v_cmp_eq_f16_e32 vcc, s21, v12
	s_and_b64 s[16:17], s[4:5], vcc
	s_and_saveexec_b64 s[4:5], s[16:17]
	s_cbranch_execz .LBB10_10
; %bb.7:                                ;   in Loop: Header=BB10_5 Depth=1
	v_add_u32_e32 v12, s9, v2
	v_ashrrev_i32_e32 v13, 31, v12
	v_lshl_add_u64 v[12:13], v[12:13], 2, s[10:11]
	global_load_dword v2, v[12:13], off
	s_waitcnt vmcnt(0)
	v_cmp_class_f16_e64 s[24:25], v2, s19
	s_and_saveexec_b64 s[16:17], s[24:25]
; %bb.8:                                ;   in Loop: Header=BB10_5 Depth=1
	v_cmp_class_f16_sdwa s[14:15], v2, s19 src0_sel:WORD_1 src1_sel:DWORD
	s_and_b64 s[14:15], s[14:15], exec
; %bb.9:                                ;   in Loop: Header=BB10_5 Depth=1
	s_or_b64 exec, exec, s[16:17]
	s_and_b64 s[14:15], s[14:15], exec
.LBB10_10:                              ;   in Loop: Header=BB10_5 Depth=1
	s_or_b64 exec, exec, s[4:5]
	v_cmp_lt_i32_e32 vcc, v7, v6
	v_cndmask_b32_e64 v12, 0, 1, s[14:15]
	s_nop 0
	v_cndmask_b32_e32 v2, v5, v7, vcc
	v_lshlrev_b32_e32 v2, 2, v2
	ds_bpermute_b32 v12, v2, v12
	s_waitcnt lgkmcnt(0)
	v_cmp_ne_u32_e32 vcc, 0, v12
	s_and_b64 s[4:5], s[14:15], vcc
	v_cmp_lt_i32_e32 vcc, v8, v6
	v_cndmask_b32_e64 v13, 0, 1, s[4:5]
	s_nop 0
	v_cndmask_b32_e32 v12, v5, v8, vcc
	v_lshlrev_b32_e32 v12, 2, v12
	ds_bpermute_b32 v13, v12, v13
	s_waitcnt lgkmcnt(0)
	v_cmp_ne_u32_e32 vcc, 0, v13
	s_and_b64 s[4:5], vcc, s[4:5]
	v_cmp_lt_i32_e32 vcc, v9, v6
	v_cndmask_b32_e64 v14, 0, 1, s[4:5]
	s_nop 0
	v_cndmask_b32_e32 v13, v5, v9, vcc
	v_lshlrev_b32_e32 v13, 2, v13
	ds_bpermute_b32 v14, v13, v14
	s_waitcnt lgkmcnt(0)
	v_cmp_ne_u32_e32 vcc, 0, v14
	s_and_b64 s[4:5], vcc, s[4:5]
	;; [unrolled: 9-line block ×3, first 2 shown]
	v_cmp_lt_i32_e32 vcc, v11, v6
	v_cndmask_b32_e64 v16, 0, 1, s[4:5]
	s_nop 0
	v_cndmask_b32_e32 v15, v5, v11, vcc
	v_lshlrev_b32_e32 v15, 2, v15
	ds_bpermute_b32 v16, v15, v16
	s_and_saveexec_b64 s[14:15], s[0:1]
	s_cbranch_execz .LBB10_3
; %bb.11:                               ;   in Loop: Header=BB10_5 Depth=1
	s_waitcnt lgkmcnt(0)
	v_cmp_ne_u32_e32 vcc, 0, v16
	s_and_b64 s[4:5], vcc, s[4:5]
	v_cndmask_b32_e64 v16, 0, 1, s[4:5]
	ds_write_b32 v1, v16
	s_branch .LBB10_3
.LBB10_12:
	s_or_b64 exec, exec, s[12:13]
	v_cmp_eq_u32_e32 vcc, 0, v0
	s_and_saveexec_b64 s[0:1], vcc
	s_cbranch_execz .LBB10_14
; %bb.13:
	s_mul_i32 s0, s18, s3
	s_add_i32 s0, s0, s2
	s_ashr_i32 s1, s0, 31
	s_lshl_b64 s[0:1], s[0:1], 2
	s_add_u32 s0, s6, s0
	s_addc_u32 s1, s7, s1
	v_mov_b32_e32 v0, 0
	global_store_dword v0, v2, s[0:1]
.LBB10_14:
	s_endpgm
	.section	.rodata,"a",@progbits
	.p2align	6, 0x0
	.amdhsa_kernel _ZL25flash_attn_mask_to_KV_maxILi2EEvPK7__half2Piiii
		.amdhsa_group_segment_fixed_size 128
		.amdhsa_private_segment_fixed_size 0
		.amdhsa_kernarg_size 288
		.amdhsa_user_sgpr_count 2
		.amdhsa_user_sgpr_dispatch_ptr 0
		.amdhsa_user_sgpr_queue_ptr 0
		.amdhsa_user_sgpr_kernarg_segment_ptr 1
		.amdhsa_user_sgpr_dispatch_id 0
		.amdhsa_user_sgpr_kernarg_preload_length 0
		.amdhsa_user_sgpr_kernarg_preload_offset 0
		.amdhsa_user_sgpr_private_segment_size 0
		.amdhsa_uses_dynamic_stack 0
		.amdhsa_enable_private_segment 0
		.amdhsa_system_sgpr_workgroup_id_x 1
		.amdhsa_system_sgpr_workgroup_id_y 1
		.amdhsa_system_sgpr_workgroup_id_z 0
		.amdhsa_system_sgpr_workgroup_info 0
		.amdhsa_system_vgpr_workitem_id 0
		.amdhsa_next_free_vgpr 17
		.amdhsa_next_free_sgpr 26
		.amdhsa_accum_offset 20
		.amdhsa_reserve_vcc 1
		.amdhsa_float_round_mode_32 0
		.amdhsa_float_round_mode_16_64 0
		.amdhsa_float_denorm_mode_32 3
		.amdhsa_float_denorm_mode_16_64 3
		.amdhsa_dx10_clamp 1
		.amdhsa_ieee_mode 1
		.amdhsa_fp16_overflow 0
		.amdhsa_tg_split 0
		.amdhsa_exception_fp_ieee_invalid_op 0
		.amdhsa_exception_fp_denorm_src 0
		.amdhsa_exception_fp_ieee_div_zero 0
		.amdhsa_exception_fp_ieee_overflow 0
		.amdhsa_exception_fp_ieee_underflow 0
		.amdhsa_exception_fp_ieee_inexact 0
		.amdhsa_exception_int_div_zero 0
	.end_amdhsa_kernel
	.section	.text._ZL25flash_attn_mask_to_KV_maxILi2EEvPK7__half2Piiii,"axG",@progbits,_ZL25flash_attn_mask_to_KV_maxILi2EEvPK7__half2Piiii,comdat
.Lfunc_end10:
	.size	_ZL25flash_attn_mask_to_KV_maxILi2EEvPK7__half2Piiii, .Lfunc_end10-_ZL25flash_attn_mask_to_KV_maxILi2EEvPK7__half2Piiii
                                        ; -- End function
	.section	.AMDGPU.csdata,"",@progbits
; Kernel info:
; codeLenInByte = 848
; NumSgprs: 32
; NumVgprs: 17
; NumAgprs: 0
; TotalNumVgprs: 17
; ScratchSize: 0
; MemoryBound: 0
; FloatMode: 240
; IeeeMode: 1
; LDSByteSize: 128 bytes/workgroup (compile time only)
; SGPRBlocks: 3
; VGPRBlocks: 2
; NumSGPRsForWavesPerEU: 32
; NumVGPRsForWavesPerEU: 17
; AccumOffset: 20
; Occupancy: 8
; WaveLimiterHint : 0
; COMPUTE_PGM_RSRC2:SCRATCH_EN: 0
; COMPUTE_PGM_RSRC2:USER_SGPR: 2
; COMPUTE_PGM_RSRC2:TRAP_HANDLER: 0
; COMPUTE_PGM_RSRC2:TGID_X_EN: 1
; COMPUTE_PGM_RSRC2:TGID_Y_EN: 1
; COMPUTE_PGM_RSRC2:TGID_Z_EN: 0
; COMPUTE_PGM_RSRC2:TIDIG_COMP_CNT: 0
; COMPUTE_PGM_RSRC3_GFX90A:ACCUM_OFFSET: 4
; COMPUTE_PGM_RSRC3_GFX90A:TG_SPLIT: 0
	.section	.text._ZL33flash_attn_stream_k_fixup_uniformILi112ELi2ELi8EEvPfPK15HIP_vector_typeIfLj2EEiiiiiiS1_IjLj3EES5_S5_,"axG",@progbits,_ZL33flash_attn_stream_k_fixup_uniformILi112ELi2ELi8EEvPfPK15HIP_vector_typeIfLj2EEiiiiiiS1_IjLj3EES5_S5_,comdat
	.globl	_ZL33flash_attn_stream_k_fixup_uniformILi112ELi2ELi8EEvPfPK15HIP_vector_typeIfLj2EEiiiiiiS1_IjLj3EES5_S5_ ; -- Begin function _ZL33flash_attn_stream_k_fixup_uniformILi112ELi2ELi8EEvPfPK15HIP_vector_typeIfLj2EEiiiiiiS1_IjLj3EES5_S5_
	.p2align	8
	.type	_ZL33flash_attn_stream_k_fixup_uniformILi112ELi2ELi8EEvPfPK15HIP_vector_typeIfLj2EEiiiiiiS1_IjLj3EES5_S5_,@function
_ZL33flash_attn_stream_k_fixup_uniformILi112ELi2ELi8EEvPfPK15HIP_vector_typeIfLj2EEiiiiiiS1_IjLj3EES5_S5_: ; @_ZL33flash_attn_stream_k_fixup_uniformILi112ELi2ELi8EEvPfPK15HIP_vector_typeIfLj2EEiiiiiiS1_IjLj3EES5_S5_
; %bb.0:
	s_load_dwordx8 s[8:15], s[0:1], 0x1c
	s_load_dwordx2 s[6:7], s[0:1], 0x10
	s_load_dwordx4 s[16:19], s[0:1], 0x3c
	s_waitcnt lgkmcnt(0)
	s_mul_hi_u32 s5, s11, s2
	s_add_i32 s5, s2, s5
	s_lshr_b32 s5, s5, s12
	s_mul_i32 s11, s5, s13
	s_sub_i32 s12, s2, s11
	s_mul_hi_u32 s11, s12, s14
	s_add_i32 s11, s12, s11
	s_lshr_b32 s11, s11, s15
	s_mul_i32 s13, s11, s16
	s_sub_i32 s12, s12, s13
	;; [unrolled: 5-line block ×3, first 2 shown]
	s_lshl_b32 s12, s16, 1
	s_lshl_b32 s17, s13, 3
	s_add_i32 s12, s12, s3
	s_cmp_lt_i32 s12, s6
	s_cselect_b64 s[12:13], -1, 0
	s_add_i32 s17, s17, s4
	s_cmp_lt_i32 s17, s9
	s_cselect_b64 s[14:15], -1, 0
	s_and_b64 s[12:13], s[12:13], s[14:15]
	s_andn2_b64 vcc, exec, s[12:13]
	s_cbranch_vccnz .LBB11_6
; %bb.1:
	s_load_dwordx4 s[12:15], s[0:1], 0x0
	s_mul_i32 s0, s5, s6
	s_mul_i32 s11, s11, s9
	s_add_i32 s0, s0, s3
	s_mul_i32 s0, s0, s7
	s_add_i32 s5, s17, s11
	s_mul_i32 s1, s7, s16
	s_add_i32 s0, s5, s0
	s_mulk_i32 s1, 0xe0
	s_mulk_i32 s0, 0x70
	s_add_i32 s0, s0, s1
	v_add_u32_e32 v4, s0, v0
	s_waitcnt lgkmcnt(0)
	v_mov_b32_e32 v2, s12
	v_mov_b32_e32 v3, s13
	v_ashrrev_i32_e32 v5, 31, v4
	v_lshl_add_u64 v[2:3], v[4:5], 2, v[2:3]
	global_load_dword v7, v[2:3], off
	s_mul_i32 s5, s2, s10
	s_lshl_b32 s11, s3, 3
	s_add_i32 s9, s5, s10
	s_add_i32 s0, s11, s4
	s_lshl_b32 s1, s9, 4
	s_add_i32 s0, s0, s1
	s_add_i32 s0, s0, -16
	s_ashr_i32 s1, s0, 31
	s_lshl_b64 s[0:1], s[0:1], 3
	s_add_u32 s0, s14, s0
	s_addc_u32 s1, s15, s1
	s_load_dword s12, s[0:1], 0x4
	s_add_i32 s6, s9, -2
	s_cmp_lt_i32 s6, s5
	s_cbranch_scc1 .LBB11_4
; %bb.2:
	s_lshl_b32 s6, s8, 6
	s_ashr_i32 s7, s6, 31
	s_lshl_b64 s[6:7], s[6:7], 2
	s_add_u32 s6, s14, s6
	s_addc_u32 s7, s15, s7
	s_add_i32 s2, s2, 1
	s_load_dword s0, s[0:1], 0x0
	s_mul_i32 s1, s10, s2
	s_lshl_b32 s2, s1, 4
	s_add_i32 s2, s4, s2
	s_mulk_i32 s3, 0x380
	s_mulk_i32 s4, 0x70
	s_lshl_b32 s8, s8, 4
	s_mulk_i32 s1, 0x700
	s_add_i32 s3, s4, s3
	s_add_i32 s2, s2, s8
	;; [unrolled: 1-line block ×4, first 2 shown]
	v_add_u32_e32 v0, s3, v0
	s_add_i32 s9, s9, -1
	s_sub_i32 s2, s2, 32
	v_add_u32_e32 v0, 0xfffff200, v0
	s_waitcnt lgkmcnt(0)
	v_mov_b32_e32 v6, s12
	v_mov_b32_e32 v5, s0
	s_mov_b32 s4, 0x3fb8aa3b
	s_mov_b32 s8, 0xc2ce8ed0
	s_mov_b32 s10, 0x42b17218
	v_mov_b32_e32 v4, 0x7f800000
	s_mov_b32 s11, 0xc1a00000
.LBB11_3:                               ; =>This Inner Loop Header: Depth=1
	v_ashrrev_i32_e32 v1, 31, v0
	v_lshl_add_u64 v[8:9], v[0:1], 2, s[6:7]
	global_load_dword v1, v[8:9], off
	s_ashr_i32 s3, s2, 31
	s_lshl_b64 s[0:1], s[2:3], 3
	s_add_u32 s0, s14, s0
	s_addc_u32 s1, s15, s1
	s_load_dwordx2 s[12:13], s[0:1], 0x0
	s_waitcnt vmcnt(1)
	v_mov_b32_e32 v8, v7
	v_max_f32_e32 v7, v5, v5
	v_mov_b32_e32 v9, v6
	s_add_i32 s9, s9, -1
	s_waitcnt lgkmcnt(0)
	v_max_f32_e64 v6, s12, s12
	v_max_f32_e32 v6, v7, v6
	v_sub_f32_e32 v10, s12, v6
	v_sub_f32_e32 v7, v5, v6
	v_mul_f32_e32 v11, 0x3fb8aa3b, v10
	v_mov_b32_e32 v5, v6
	v_mul_f32_e32 v6, 0x3fb8aa3b, v7
	v_fma_f32 v14, v10, s4, -v11
	v_rndne_f32_e32 v15, v11
	v_fma_f32 v12, v7, s4, -v6
	v_rndne_f32_e32 v13, v6
	v_fmac_f32_e32 v14, 0x32a5705f, v10
	v_sub_f32_e32 v11, v11, v15
	v_fmac_f32_e32 v12, 0x32a5705f, v7
	v_sub_f32_e32 v6, v6, v13
	v_add_f32_e32 v11, v11, v14
	v_cvt_i32_f32_e32 v15, v15
	v_add_f32_e32 v6, v6, v12
	v_exp_f32_e32 v11, v11
	v_cvt_i32_f32_e32 v13, v13
	v_exp_f32_e32 v6, v6
	v_cmp_ngt_f32_e32 vcc, s8, v10
	v_ldexp_f32 v11, v11, v15
	v_cmp_ngt_f32_e64 s[0:1], s8, v7
	v_ldexp_f32 v6, v6, v13
	v_cndmask_b32_e32 v11, 0, v11, vcc
	v_cmp_nlt_f32_e32 vcc, s10, v10
	v_cndmask_b32_e64 v6, 0, v6, s[0:1]
	v_cmp_nlt_f32_e64 s[0:1], s10, v7
	v_cndmask_b32_e32 v11, v4, v11, vcc
	v_cmp_le_f32_e32 vcc, s11, v10
	v_cndmask_b32_e64 v6, v4, v6, s[0:1]
	v_cmp_le_f32_e64 s[0:1], s11, v7
	v_cndmask_b32_e32 v7, 0, v11, vcc
	s_add_i32 s2, s2, -16
	v_cndmask_b32_e64 v10, 0, v6, s[0:1]
	v_mul_f32_e32 v6, s13, v7
	v_add_u32_e32 v0, 0xfffff900, v0
	s_cmp_le_i32 s9, s5
	v_fmac_f32_e32 v6, v9, v10
	s_waitcnt vmcnt(0)
	v_mul_f32_e32 v7, v1, v7
	v_fmac_f32_e32 v7, v8, v10
	s_cbranch_scc0 .LBB11_3
	s_branch .LBB11_5
.LBB11_4:
	s_waitcnt lgkmcnt(0)
	v_mov_b32_e32 v6, s12
.LBB11_5:
	s_waitcnt vmcnt(0)
	v_div_scale_f32 v0, s[0:1], v6, v6, v7
	v_rcp_f32_e32 v1, v0
	v_div_scale_f32 v4, vcc, v7, v6, v7
	v_fma_f32 v5, -v0, v1, 1.0
	v_fmac_f32_e32 v1, v5, v1
	v_mul_f32_e32 v5, v4, v1
	v_fma_f32 v8, -v0, v5, v4
	v_fmac_f32_e32 v5, v8, v1
	v_fma_f32 v0, -v0, v5, v4
	v_div_fmas_f32 v0, v0, v1, v5
	v_div_fixup_f32 v0, v0, v6, v7
	global_store_dword v[2:3], v0, off
.LBB11_6:
	s_endpgm
	.section	.rodata,"a",@progbits
	.p2align	6, 0x0
	.amdhsa_kernel _ZL33flash_attn_stream_k_fixup_uniformILi112ELi2ELi8EEvPfPK15HIP_vector_typeIfLj2EEiiiiiiS1_IjLj3EES5_S5_
		.amdhsa_group_segment_fixed_size 0
		.amdhsa_private_segment_fixed_size 0
		.amdhsa_kernarg_size 76
		.amdhsa_user_sgpr_count 2
		.amdhsa_user_sgpr_dispatch_ptr 0
		.amdhsa_user_sgpr_queue_ptr 0
		.amdhsa_user_sgpr_kernarg_segment_ptr 1
		.amdhsa_user_sgpr_dispatch_id 0
		.amdhsa_user_sgpr_kernarg_preload_length 0
		.amdhsa_user_sgpr_kernarg_preload_offset 0
		.amdhsa_user_sgpr_private_segment_size 0
		.amdhsa_uses_dynamic_stack 0
		.amdhsa_enable_private_segment 0
		.amdhsa_system_sgpr_workgroup_id_x 1
		.amdhsa_system_sgpr_workgroup_id_y 1
		.amdhsa_system_sgpr_workgroup_id_z 1
		.amdhsa_system_sgpr_workgroup_info 0
		.amdhsa_system_vgpr_workitem_id 0
		.amdhsa_next_free_vgpr 16
		.amdhsa_next_free_sgpr 20
		.amdhsa_accum_offset 16
		.amdhsa_reserve_vcc 1
		.amdhsa_float_round_mode_32 0
		.amdhsa_float_round_mode_16_64 0
		.amdhsa_float_denorm_mode_32 3
		.amdhsa_float_denorm_mode_16_64 3
		.amdhsa_dx10_clamp 1
		.amdhsa_ieee_mode 1
		.amdhsa_fp16_overflow 0
		.amdhsa_tg_split 0
		.amdhsa_exception_fp_ieee_invalid_op 0
		.amdhsa_exception_fp_denorm_src 0
		.amdhsa_exception_fp_ieee_div_zero 0
		.amdhsa_exception_fp_ieee_overflow 0
		.amdhsa_exception_fp_ieee_underflow 0
		.amdhsa_exception_fp_ieee_inexact 0
		.amdhsa_exception_int_div_zero 0
	.end_amdhsa_kernel
	.section	.text._ZL33flash_attn_stream_k_fixup_uniformILi112ELi2ELi8EEvPfPK15HIP_vector_typeIfLj2EEiiiiiiS1_IjLj3EES5_S5_,"axG",@progbits,_ZL33flash_attn_stream_k_fixup_uniformILi112ELi2ELi8EEvPfPK15HIP_vector_typeIfLj2EEiiiiiiS1_IjLj3EES5_S5_,comdat
.Lfunc_end11:
	.size	_ZL33flash_attn_stream_k_fixup_uniformILi112ELi2ELi8EEvPfPK15HIP_vector_typeIfLj2EEiiiiiiS1_IjLj3EES5_S5_, .Lfunc_end11-_ZL33flash_attn_stream_k_fixup_uniformILi112ELi2ELi8EEvPfPK15HIP_vector_typeIfLj2EEiiiiiiS1_IjLj3EES5_S5_
                                        ; -- End function
	.section	.AMDGPU.csdata,"",@progbits
; Kernel info:
; codeLenInByte = 836
; NumSgprs: 26
; NumVgprs: 16
; NumAgprs: 0
; TotalNumVgprs: 16
; ScratchSize: 0
; MemoryBound: 0
; FloatMode: 240
; IeeeMode: 1
; LDSByteSize: 0 bytes/workgroup (compile time only)
; SGPRBlocks: 3
; VGPRBlocks: 1
; NumSGPRsForWavesPerEU: 26
; NumVGPRsForWavesPerEU: 16
; AccumOffset: 16
; Occupancy: 8
; WaveLimiterHint : 0
; COMPUTE_PGM_RSRC2:SCRATCH_EN: 0
; COMPUTE_PGM_RSRC2:USER_SGPR: 2
; COMPUTE_PGM_RSRC2:TRAP_HANDLER: 0
; COMPUTE_PGM_RSRC2:TGID_X_EN: 1
; COMPUTE_PGM_RSRC2:TGID_Y_EN: 1
; COMPUTE_PGM_RSRC2:TGID_Z_EN: 1
; COMPUTE_PGM_RSRC2:TIDIG_COMP_CNT: 0
; COMPUTE_PGM_RSRC3_GFX90A:ACCUM_OFFSET: 3
; COMPUTE_PGM_RSRC3_GFX90A:TG_SPLIT: 0
	.section	.text._ZL33flash_attn_stream_k_fixup_generalILi112ELi2ELi8EEvPfPK15HIP_vector_typeIfLj2EEiiiiS1_IjLj3EES5_S5_S5_,"axG",@progbits,_ZL33flash_attn_stream_k_fixup_generalILi112ELi2ELi8EEvPfPK15HIP_vector_typeIfLj2EEiiiiS1_IjLj3EES5_S5_S5_,comdat
	.globl	_ZL33flash_attn_stream_k_fixup_generalILi112ELi2ELi8EEvPfPK15HIP_vector_typeIfLj2EEiiiiS1_IjLj3EES5_S5_S5_ ; -- Begin function _ZL33flash_attn_stream_k_fixup_generalILi112ELi2ELi8EEvPfPK15HIP_vector_typeIfLj2EEiiiiS1_IjLj3EES5_S5_S5_
	.p2align	8
	.type	_ZL33flash_attn_stream_k_fixup_generalILi112ELi2ELi8EEvPfPK15HIP_vector_typeIfLj2EEiiiiS1_IjLj3EES5_S5_S5_,@function
_ZL33flash_attn_stream_k_fixup_generalILi112ELi2ELi8EEvPfPK15HIP_vector_typeIfLj2EEiiiiS1_IjLj3EES5_S5_S5_: ; @_ZL33flash_attn_stream_k_fixup_generalILi112ELi2ELi8EEvPfPK15HIP_vector_typeIfLj2EEiiiiS1_IjLj3EES5_S5_S5_
; %bb.0:
	s_load_dwordx4 s[12:15], s[0:1], 0x10
	s_load_dword s22, s[0:1], 0x50
	s_mov_b32 s8, 0
	s_waitcnt lgkmcnt(0)
	s_mul_hi_i32 s9, s15, s2
	s_cmp_lg_u64 s[8:9], 0
	s_mul_i32 s5, s15, s2
	s_cbranch_scc0 .LBB12_21
; %bb.1:
	v_cvt_f32_u32_e32 v1, s22
	v_cvt_f32_ubyte0_e32 v2, 0
	s_sub_u32 s8, 0, s22
	s_subb_u32 s10, 0, 0
	v_fmamk_f32 v1, v2, 0x4f800000, v1
	v_rcp_f32_e32 v1, v1
	s_nop 0
	v_mul_f32_e32 v1, 0x5f7ffffc, v1
	v_mul_f32_e32 v2, 0x2f800000, v1
	v_trunc_f32_e32 v2, v2
	v_fmamk_f32 v1, v2, 0xcf800000, v1
	v_cvt_u32_f32_e32 v2, v2
	v_cvt_u32_f32_e32 v1, v1
	v_readfirstlane_b32 s11, v2
	v_readfirstlane_b32 s16, v1
	s_mul_i32 s17, s8, s11
	s_mul_hi_u32 s19, s8, s16
	s_mul_i32 s18, s10, s16
	s_add_i32 s17, s19, s17
	s_add_i32 s17, s17, s18
	s_mul_i32 s20, s8, s16
	s_mul_hi_u32 s18, s16, s17
	s_mul_i32 s19, s16, s17
	s_mul_hi_u32 s16, s16, s20
	s_add_u32 s16, s16, s19
	s_addc_u32 s18, 0, s18
	s_mul_hi_u32 s21, s11, s20
	s_mul_i32 s20, s11, s20
	s_add_u32 s16, s16, s20
	s_mul_hi_u32 s19, s11, s17
	s_addc_u32 s16, s18, s21
	s_addc_u32 s18, s19, 0
	s_mul_i32 s17, s11, s17
	s_add_u32 s16, s16, s17
	s_addc_u32 s17, 0, s18
	v_add_co_u32_e32 v1, vcc, s16, v1
	s_cmp_lg_u64 vcc, 0
	s_addc_u32 s11, s11, s17
	v_readfirstlane_b32 s17, v1
	s_mul_i32 s16, s8, s11
	s_mul_hi_u32 s18, s8, s17
	s_add_i32 s16, s18, s16
	s_mul_i32 s10, s10, s17
	s_add_i32 s16, s16, s10
	s_mul_i32 s8, s8, s17
	s_mul_hi_u32 s18, s11, s8
	s_mul_i32 s19, s11, s8
	s_mul_i32 s21, s17, s16
	s_mul_hi_u32 s8, s17, s8
	s_mul_hi_u32 s20, s17, s16
	s_add_u32 s8, s8, s21
	s_addc_u32 s17, 0, s20
	s_add_u32 s8, s8, s19
	s_mul_hi_u32 s10, s11, s16
	s_addc_u32 s8, s17, s18
	s_addc_u32 s10, s10, 0
	s_mul_i32 s16, s11, s16
	s_add_u32 s8, s8, s16
	s_addc_u32 s10, 0, s10
	v_add_co_u32_e32 v1, vcc, s8, v1
	s_cmp_lg_u64 vcc, 0
	s_addc_u32 s16, s11, s10
	s_ashr_i32 s10, s9, 31
	s_add_u32 s8, s5, s10
	s_mov_b32 s11, s10
	s_addc_u32 s9, s9, s10
	s_xor_b64 s[8:9], s[8:9], s[10:11]
	v_readfirstlane_b32 s19, v1
	s_mul_i32 s18, s8, s16
	s_mul_hi_u32 s20, s8, s19
	s_mul_hi_u32 s17, s8, s16
	s_add_u32 s18, s20, s18
	s_addc_u32 s17, 0, s17
	s_mul_hi_u32 s21, s9, s19
	s_mul_i32 s19, s9, s19
	s_add_u32 s18, s18, s19
	s_mul_hi_u32 s20, s9, s16
	s_addc_u32 s17, s17, s21
	s_addc_u32 s18, s20, 0
	s_mul_i32 s16, s9, s16
	s_add_u32 s16, s17, s16
	s_addc_u32 s17, 0, s18
	s_add_u32 s18, s16, 1
	s_addc_u32 s19, s17, 0
	s_add_u32 s20, s16, 2
	s_mul_i32 s23, s22, s17
	s_mul_hi_u32 s24, s22, s16
	s_addc_u32 s21, s17, 0
	s_add_i32 s24, s24, s23
	s_mul_i32 s23, s22, s16
	v_mov_b32_e32 v1, s23
	v_sub_co_u32_e32 v1, vcc, s8, v1
	s_cmp_lg_u64 vcc, 0
	s_subb_u32 s8, s9, s24
	v_subrev_co_u32_e32 v2, vcc, s22, v1
	s_cmp_lg_u64 vcc, 0
	s_subb_u32 s9, s8, 0
	v_readfirstlane_b32 s23, v2
	s_cmp_ge_u32 s23, s22
	s_cselect_b32 s23, -1, 0
	s_cmp_eq_u32 s9, 0
	s_cselect_b32 s9, s23, -1
	s_cmp_lg_u32 s9, 0
	s_cselect_b32 s9, s21, s19
	v_readfirstlane_b32 s19, v1
	s_cselect_b32 s18, s20, s18
	s_cmp_ge_u32 s19, s22
	s_cselect_b32 s19, -1, 0
	s_cmp_eq_u32 s8, 0
	s_cselect_b32 s8, s19, -1
	s_cmp_lg_u32 s8, 0
	s_cselect_b32 s9, s9, s17
	s_cselect_b32 s8, s18, s16
	s_xor_b64 s[8:9], s[8:9], s[10:11]
	s_sub_u32 s20, s8, s10
	s_load_dwordx4 s[16:19], s[0:1], 0x44
	s_cbranch_execnz .LBB12_3
.LBB12_2:
	v_cvt_f32_u32_e32 v1, s22
	s_sub_i32 s6, 0, s22
	v_rcp_iflag_f32_e32 v1, v1
	s_nop 0
	v_mul_f32_e32 v1, 0x4f7ffffe, v1
	v_cvt_u32_f32_e32 v1, v1
	s_nop 0
	v_readfirstlane_b32 s7, v1
	s_mul_i32 s6, s6, s7
	s_mul_hi_u32 s6, s7, s6
	s_add_i32 s7, s7, s6
	s_mul_hi_u32 s6, s5, s7
	s_mul_i32 s8, s6, s22
	s_sub_i32 s5, s5, s8
	s_add_i32 s7, s6, 1
	s_sub_i32 s8, s5, s22
	s_cmp_ge_u32 s5, s22
	s_cselect_b32 s6, s7, s6
	s_cselect_b32 s5, s8, s5
	s_add_i32 s7, s6, 1
	s_cmp_ge_u32 s5, s22
	s_cselect_b32 s20, s7, s6
.LBB12_3:
	s_add_i32 s5, s2, 1
	s_mul_hi_i32 s9, s15, s5
	s_mov_b32 s8, 0
	s_cmp_lg_u64 s[8:9], 0
	s_mul_i32 s5, s15, s5
	s_cbranch_scc0 .LBB12_22
; %bb.4:
	v_cvt_f32_u32_e32 v1, s22
	v_cvt_f32_ubyte0_e32 v2, 0
	s_sub_u32 s8, 0, s22
	s_subb_u32 s10, 0, 0
	v_fmamk_f32 v1, v2, 0x4f800000, v1
	v_rcp_f32_e32 v1, v1
	s_nop 0
	v_mul_f32_e32 v1, 0x5f7ffffc, v1
	v_mul_f32_e32 v2, 0x2f800000, v1
	v_trunc_f32_e32 v2, v2
	v_fmamk_f32 v1, v2, 0xcf800000, v1
	v_cvt_u32_f32_e32 v2, v2
	v_cvt_u32_f32_e32 v1, v1
	v_readfirstlane_b32 s11, v2
	s_waitcnt lgkmcnt(0)
	v_readfirstlane_b32 s19, v1
	s_mul_i32 s21, s8, s11
	s_mul_hi_u32 s24, s8, s19
	s_mul_i32 s23, s10, s19
	s_add_i32 s21, s24, s21
	s_add_i32 s21, s21, s23
	s_mul_i32 s25, s8, s19
	s_mul_hi_u32 s23, s19, s21
	s_mul_i32 s24, s19, s21
	s_mul_hi_u32 s19, s19, s25
	s_add_u32 s19, s19, s24
	s_addc_u32 s23, 0, s23
	s_mul_hi_u32 s26, s11, s25
	s_mul_i32 s25, s11, s25
	s_add_u32 s19, s19, s25
	s_mul_hi_u32 s24, s11, s21
	s_addc_u32 s19, s23, s26
	s_addc_u32 s23, s24, 0
	s_mul_i32 s21, s11, s21
	s_add_u32 s19, s19, s21
	s_addc_u32 s21, 0, s23
	v_add_co_u32_e32 v1, vcc, s19, v1
	s_cmp_lg_u64 vcc, 0
	s_addc_u32 s11, s11, s21
	v_readfirstlane_b32 s21, v1
	s_mul_i32 s19, s8, s11
	s_mul_hi_u32 s23, s8, s21
	s_add_i32 s19, s23, s19
	s_mul_i32 s10, s10, s21
	s_add_i32 s19, s19, s10
	s_mul_i32 s8, s8, s21
	s_mul_hi_u32 s23, s11, s8
	s_mul_i32 s24, s11, s8
	s_mul_i32 s26, s21, s19
	s_mul_hi_u32 s8, s21, s8
	s_mul_hi_u32 s25, s21, s19
	s_add_u32 s8, s8, s26
	s_addc_u32 s21, 0, s25
	s_add_u32 s8, s8, s24
	s_mul_hi_u32 s10, s11, s19
	s_addc_u32 s8, s21, s23
	s_addc_u32 s10, s10, 0
	s_mul_i32 s19, s11, s19
	s_add_u32 s8, s8, s19
	s_addc_u32 s10, 0, s10
	v_add_co_u32_e32 v1, vcc, s8, v1
	s_cmp_lg_u64 vcc, 0
	s_addc_u32 s19, s11, s10
	s_ashr_i32 s10, s9, 31
	s_add_u32 s8, s5, s10
	s_mov_b32 s11, s10
	s_addc_u32 s9, s9, s10
	s_xor_b64 s[8:9], s[8:9], s[10:11]
	v_readfirstlane_b32 s23, v1
	s_mul_i32 s21, s8, s19
	s_mul_hi_u32 s24, s8, s23
	s_mul_hi_u32 s11, s8, s19
	s_add_u32 s21, s24, s21
	s_addc_u32 s11, 0, s11
	s_mul_hi_u32 s25, s9, s23
	s_mul_i32 s23, s9, s23
	s_add_u32 s21, s21, s23
	s_mul_hi_u32 s24, s9, s19
	s_addc_u32 s11, s11, s25
	s_addc_u32 s21, s24, 0
	s_mul_i32 s19, s9, s19
	s_add_u32 s11, s11, s19
	s_addc_u32 s19, 0, s21
	s_mul_i32 s19, s22, s19
	s_mul_hi_u32 s24, s22, s11
	s_add_i32 s24, s24, s19
	s_mul_i32 s19, s22, s11
	v_mov_b32_e32 v1, s19
	s_add_u32 s21, s11, 1
	s_add_u32 s23, s11, 2
	v_sub_co_u32_e32 v1, vcc, s8, v1
	s_cmp_lg_u64 vcc, 0
	s_subb_u32 s8, s9, s24
	v_subrev_co_u32_e32 v2, vcc, s22, v1
	s_cmp_lg_u64 vcc, 0
	s_subb_u32 s9, s8, 0
	v_cmp_le_u32_e32 vcc, s22, v2
	s_cmp_eq_u32 s9, 0
	v_mov_b32_e32 v3, s21
	v_cndmask_b32_e64 v2, 0, -1, vcc
	s_cselect_b64 vcc, -1, 0
	v_cndmask_b32_e32 v2, -1, v2, vcc
	v_mov_b32_e32 v4, s23
	v_cmp_ne_u32_e32 vcc, 0, v2
	s_cmp_eq_u32 s8, 0
	s_nop 0
	v_cndmask_b32_e32 v2, v3, v4, vcc
	v_cmp_le_u32_e32 vcc, s22, v1
	v_mov_b32_e32 v3, s11
	s_nop 0
	v_cndmask_b32_e64 v1, 0, -1, vcc
	s_cselect_b64 vcc, -1, 0
	v_cndmask_b32_e32 v1, -1, v1, vcc
	v_cmp_ne_u32_e32 vcc, 0, v1
	s_nop 1
	v_cndmask_b32_e32 v1, v3, v2, vcc
	v_xor_b32_e32 v1, s10, v1
	v_subrev_co_u32_e32 v2, vcc, s10, v1
	s_cbranch_execnz .LBB12_6
.LBB12_5:
	v_cvt_f32_u32_e32 v1, s22
	s_sub_i32 s6, 0, s22
	s_mov_b32 s7, 0
	v_rcp_iflag_f32_e32 v1, v1
	s_nop 0
	v_mul_f32_e32 v1, 0x4f7ffffe, v1
	v_cvt_u32_f32_e32 v1, v1
	s_nop 0
	v_readfirstlane_b32 s8, v1
	s_mul_i32 s6, s6, s8
	s_mul_hi_u32 s6, s8, s6
	s_add_i32 s8, s8, s6
	s_mul_hi_u32 s6, s5, s8
	s_mul_i32 s9, s6, s22
	s_sub_i32 s5, s5, s9
	s_add_i32 s8, s6, 1
	s_sub_i32 s9, s5, s22
	s_cmp_ge_u32 s5, s22
	s_cselect_b32 s6, s8, s6
	s_cselect_b32 s5, s9, s5
	s_add_i32 s8, s6, 1
	s_cmp_ge_u32 s5, s22
	s_cselect_b32 s6, s8, s6
	v_mov_b64_e32 v[2:3], s[6:7]
.LBB12_6:
	s_waitcnt lgkmcnt(0)
	s_mul_hi_u32 s5, s20, s16
	s_add_i32 s5, s5, s20
	v_mul_hi_u32 v1, v2, s16
	s_lshr_b32 s19, s5, s17
	v_add_u32_e32 v1, v1, v2
	s_mul_i32 s5, s19, s18
	v_lshrrev_b32_e32 v1, s17, v1
	s_cmp_eq_u32 s5, s20
	v_cmp_eq_u32_e64 s[6:7], s19, v1
	v_mul_lo_u32 v1, v1, s18
	v_cmp_eq_u32_e32 vcc, s20, v2
	s_cselect_b64 s[10:11], -1, 0
	v_cmp_ne_u32_e64 s[8:9], v1, v2
	s_and_b64 s[6:7], s[6:7], s[8:9]
	s_or_b64 s[8:9], vcc, s[10:11]
	s_or_b64 s[6:7], s[8:9], s[6:7]
	s_and_b64 vcc, exec, s[6:7]
	s_cbranch_vccnz .LBB12_24
; %bb.7:
	s_load_dwordx8 s[24:31], s[0:1], 0x20
	s_load_dword s5, s[0:1], 0x40
	s_waitcnt lgkmcnt(0)
	s_mul_hi_u32 s6, s20, s24
	s_add_i32 s6, s6, s20
	s_lshr_b32 s7, s6, s25
	s_mul_i32 s6, s7, s26
	s_sub_i32 s6, s20, s6
	s_mul_hi_u32 s8, s6, s27
	s_add_i32 s8, s6, s8
	s_lshr_b32 s23, s8, s28
	s_mul_i32 s8, s23, s29
	s_sub_i32 s6, s6, s8
	;; [unrolled: 5-line block ×3, first 2 shown]
	s_mul_hi_u32 s6, s5, s16
	s_add_i32 s5, s5, s6
	s_lshr_b32 s24, s5, s17
	s_lshl_b32 s5, s24, 1
	s_lshl_b32 s25, s8, 3
	s_add_i32 s5, s5, s3
	s_cmp_lt_i32 s5, s12
	s_cselect_b64 s[8:9], -1, 0
	s_add_i32 s25, s25, s4
	s_cmp_lt_i32 s25, s14
	s_cselect_b64 s[10:11], -1, 0
	s_and_b64 s[8:9], s[8:9], s[10:11]
	s_andn2_b64 vcc, exec, s[8:9]
	s_mov_b32 s6, 0
	s_cbranch_vccnz .LBB12_24
; %bb.8:
	s_load_dwordx4 s[8:11], s[0:1], 0x0
	s_lshl_b32 s21, s3, 3
	s_lshl_b32 s0, s22, 6
	s_mov_b32 s1, s6
	s_add_i32 s21, s21, s4
	s_lshl_b64 s[0:1], s[0:1], 2
	s_waitcnt lgkmcnt(0)
	s_add_u32 s4, s10, s0
	s_mul_i32 s0, s7, s12
	s_addc_u32 s5, s11, s1
	s_mul_i32 s23, s23, s14
	s_add_i32 s0, s0, s3
	s_mul_i32 s0, s0, s13
	s_add_i32 s3, s25, s23
	;; [unrolled: 2-line block ×3, first 2 shown]
	s_mulk_i32 s1, 0xe0
	s_mulk_i32 s0, 0x70
	s_add_i32 s1, s1, s0
	v_add_u32_e32 v4, s1, v0
	v_mov_b32_e32 v2, s8
	v_mov_b32_e32 v3, s9
	v_ashrrev_i32_e32 v5, 31, v4
	v_lshl_add_u64 v[2:3], v[4:5], 2, v[2:3]
	global_load_dword v5, v[2:3], off
	s_lshl_b32 s0, s2, 4
	s_add_i32 s0, s21, s0
	s_ashr_i32 s1, s0, 31
	s_lshl_b64 s[0:1], s[0:1], 3
	s_add_u32 s0, s10, s0
	s_addc_u32 s1, s11, s1
	s_add_i32 s12, s2, -1
	s_mul_i32 s2, s21, 0x70
	v_add_u32_e32 v4, s2, v0
	v_cvt_f32_u32_e32 v0, s22
	v_cvt_f32_ubyte0_e32 v1, 0
	s_load_dwordx2 s[0:1], s[0:1], 0x0
	v_mov_b32_e32 v8, s20
	v_fmac_f32_e32 v0, 0x4f800000, v1
	v_rcp_f32_e32 v0, v0
	v_cvt_f32_u32_e32 v1, s22
	s_waitcnt lgkmcnt(0)
	v_mov_b32_e32 v6, s1
	v_mov_b32_e32 v7, s0
	v_mul_f32_e32 v0, 0x5f7ffffc, v0
	v_rcp_iflag_f32_e32 v1, v1
	v_mul_f32_e32 v9, 0x2f800000, v0
	v_trunc_f32_e32 v10, v9
	v_fmac_f32_e32 v0, 0xcf800000, v10
	v_cvt_u32_f32_e32 v9, v0
	v_mul_f32_e32 v0, 0x4f7ffffe, v1
	v_cvt_u32_f32_e32 v10, v10
	v_cvt_u32_f32_e32 v11, v0
	s_mov_b32 s8, 0x3fb8aa3b
	s_mov_b32 s9, 0xc2ce8ed0
	;; [unrolled: 1-line block ×4, first 2 shown]
	v_mov_b32_e32 v12, 0x7f800000
	s_mul_hi_i32 s7, s12, s15
	s_cmp_lg_u64 s[6:7], 0
	s_mul_i32 s2, s12, s15
	s_cbranch_scc0 .LBB12_15
.LBB12_9:
	s_sub_u32 s0, 0, s22
	v_readfirstlane_b32 s3, v9
	v_readfirstlane_b32 s24, v10
	s_subb_u32 s1, 0, 0
	s_mul_hi_u32 s23, s0, s3
	s_mul_i32 s25, s0, s24
	s_mul_i32 s20, s1, s3
	s_add_i32 s23, s23, s25
	s_add_i32 s23, s23, s20
	s_mul_i32 s26, s0, s3
	s_mul_hi_u32 s20, s3, s23
	s_mul_i32 s25, s3, s23
	s_mul_hi_u32 s3, s3, s26
	s_add_u32 s3, s3, s25
	s_addc_u32 s20, 0, s20
	s_mul_hi_u32 s27, s24, s26
	s_mul_i32 s26, s24, s26
	s_add_u32 s3, s3, s26
	s_mul_hi_u32 s25, s24, s23
	s_addc_u32 s3, s20, s27
	s_addc_u32 s20, s25, 0
	s_mul_i32 s23, s24, s23
	s_add_u32 s3, s3, s23
	s_addc_u32 s20, 0, s20
	v_add_co_u32_e32 v0, vcc, s3, v9
	s_cmp_lg_u64 vcc, 0
	s_addc_u32 s3, s24, s20
	v_readfirstlane_b32 s23, v0
	s_mul_i32 s20, s0, s3
	s_mul_hi_u32 s24, s0, s23
	s_add_i32 s20, s24, s20
	s_mul_i32 s1, s1, s23
	s_add_i32 s20, s20, s1
	s_mul_i32 s0, s0, s23
	s_mul_hi_u32 s24, s3, s0
	s_mul_i32 s25, s3, s0
	s_mul_i32 s27, s23, s20
	s_mul_hi_u32 s0, s23, s0
	s_mul_hi_u32 s26, s23, s20
	s_add_u32 s0, s0, s27
	s_addc_u32 s23, 0, s26
	s_add_u32 s0, s0, s25
	s_mul_hi_u32 s1, s3, s20
	s_addc_u32 s0, s23, s24
	s_addc_u32 s1, s1, 0
	s_mul_i32 s20, s3, s20
	s_add_u32 s0, s0, s20
	s_addc_u32 s1, 0, s1
	v_add_co_u32_e32 v0, vcc, s0, v0
	s_cmp_lg_u64 vcc, 0
	s_addc_u32 s3, s3, s1
	s_ashr_i32 s0, s7, 31
	s_add_u32 s24, s2, s0
	s_mov_b32 s1, s0
	s_addc_u32 s25, s7, s0
	s_xor_b64 s[24:25], s[24:25], s[0:1]
	v_readfirstlane_b32 s20, v0
	s_mul_i32 s7, s24, s3
	s_mul_hi_u32 s23, s24, s20
	s_mul_hi_u32 s1, s24, s3
	s_add_u32 s7, s23, s7
	s_addc_u32 s1, 0, s1
	s_mul_hi_u32 s26, s25, s20
	s_mul_i32 s20, s25, s20
	s_add_u32 s7, s7, s20
	s_mul_hi_u32 s23, s25, s3
	s_addc_u32 s1, s1, s26
	s_addc_u32 s7, s23, 0
	s_mul_i32 s3, s25, s3
	s_add_u32 s1, s1, s3
	s_addc_u32 s3, 0, s7
	s_mul_i32 s3, s22, s3
	s_mul_hi_u32 s23, s22, s1
	s_add_i32 s23, s23, s3
	s_mul_i32 s3, s22, s1
	v_mov_b32_e32 v0, s3
	s_add_u32 s7, s1, 1
	s_add_u32 s20, s1, 2
	v_sub_co_u32_e32 v0, vcc, s24, v0
	s_cmp_lg_u64 vcc, 0
	s_subb_u32 s3, s25, s23
	v_subrev_co_u32_e32 v1, vcc, s22, v0
	s_cmp_lg_u64 vcc, 0
	s_subb_u32 s23, s3, 0
	v_cmp_le_u32_e32 vcc, s22, v1
	s_cmp_eq_u32 s23, 0
	v_mov_b32_e32 v13, s7
	v_cndmask_b32_e64 v1, 0, -1, vcc
	s_cselect_b64 vcc, -1, 0
	v_cndmask_b32_e32 v1, -1, v1, vcc
	v_mov_b32_e32 v14, s20
	v_cmp_ne_u32_e32 vcc, 0, v1
	s_cmp_eq_u32 s3, 0
	s_nop 0
	v_cndmask_b32_e32 v1, v13, v14, vcc
	v_cmp_le_u32_e32 vcc, s22, v0
	v_mov_b32_e32 v13, s1
	s_nop 0
	v_cndmask_b32_e64 v0, 0, -1, vcc
	s_cselect_b64 vcc, -1, 0
	v_cndmask_b32_e32 v0, -1, v0, vcc
	v_cmp_ne_u32_e32 vcc, 0, v0
	s_nop 1
	v_cndmask_b32_e32 v0, v13, v1, vcc
	v_xor_b32_e32 v0, s0, v0
	v_subrev_co_u32_e32 v0, vcc, s0, v0
	s_cbranch_execnz .LBB12_11
.LBB12_10:
	s_sub_i32 s0, 0, s22
	v_mul_lo_u32 v0, s0, v11
	v_mul_hi_u32 v0, v11, v0
	v_add_u32_e32 v0, v11, v0
	v_mul_hi_u32 v0, s2, v0
	v_mul_lo_u32 v13, v0, s22
	v_sub_u32_e32 v13, s2, v13
	v_add_u32_e32 v1, 1, v0
	v_subrev_u32_e32 v14, s22, v13
	v_cmp_le_u32_e32 vcc, s22, v13
	s_nop 1
	v_cndmask_b32_e32 v13, v13, v14, vcc
	v_cndmask_b32_e32 v0, v0, v1, vcc
	v_add_u32_e32 v1, 1, v0
	v_cmp_le_u32_e32 vcc, s22, v13
	s_nop 1
	v_cndmask_b32_e32 v0, v0, v1, vcc
.LBB12_11:
	v_cmp_ne_u32_e32 vcc, v8, v0
	s_cbranch_vccz .LBB12_14
; %bb.12:
	s_add_i32 s0, s12, s22
	s_lshl_b32 s0, s0, 4
	v_mul_hi_u32 v1, v0, s16
	s_add_i32 s0, s0, s21
	s_mov_b32 s1, s6
	v_add_u32_e32 v1, v1, v0
	s_lshl_b64 s[0:1], s[0:1], 3
	v_lshrrev_b32_e32 v1, s17, v1
	s_add_u32 s2, s10, s0
	v_mul_lo_u32 v13, v1, s18
	s_addc_u32 s3, s11, s1
	v_cmp_eq_u32_e32 vcc, v13, v0
	v_cmp_gt_u32_e64 s[0:1], s19, v1
	s_or_b64 s[0:1], s[0:1], vcc
	s_and_b64 vcc, exec, s[0:1]
	s_cbranch_vccnz .LBB12_16
; %bb.13:
	s_add_i32 s7, s12, -1
	s_mov_b64 s[0:1], 0
	s_branch .LBB12_17
.LBB12_14:
                                        ; implicit-def: $sgpr0_sgpr1
                                        ; implicit-def: $vgpr14
                                        ; implicit-def: $vgpr1
                                        ; implicit-def: $vgpr13
                                        ; implicit-def: $sgpr7
                                        ; implicit-def: $vgpr0
	s_branch .LBB12_18
.LBB12_15:
                                        ; implicit-def: $vgpr0_vgpr1
	s_branch .LBB12_10
.LBB12_16:
	s_mov_b64 s[0:1], -1
	s_mov_b32 s7, s12
	v_mov_b32_e32 v0, v8
.LBB12_17:
	s_mul_i32 s20, s12, 0x700
	v_add_u32_e32 v14, s20, v4
	v_ashrrev_i32_e32 v15, 31, v14
	v_lshl_add_u64 v[14:15], v[14:15], 2, s[4:5]
	global_load_dword v14, v[14:15], off
	s_load_dwordx2 s[2:3], s[2:3], 0x0
	v_max_f32_e32 v1, v7, v7
	s_waitcnt lgkmcnt(0)
	v_max_f32_e64 v13, s2, s2
	v_max_f32_e32 v1, v1, v13
	v_sub_f32_e32 v13, v7, v1
	v_sub_f32_e32 v15, s2, v1
	v_mul_f32_e32 v16, 0x3fb8aa3b, v13
	v_mul_f32_e32 v17, 0x3fb8aa3b, v15
	v_fma_f32 v18, v13, s8, -v16
	v_rndne_f32_e32 v19, v16
	v_fma_f32 v20, v15, s8, -v17
	v_rndne_f32_e32 v21, v17
	v_fmac_f32_e32 v18, 0x32a5705f, v13
	v_sub_f32_e32 v16, v16, v19
	v_fmac_f32_e32 v20, 0x32a5705f, v15
	v_sub_f32_e32 v17, v17, v21
	v_add_f32_e32 v16, v16, v18
	v_cvt_i32_f32_e32 v19, v19
	v_add_f32_e32 v17, v17, v20
	v_exp_f32_e32 v16, v16
	v_cvt_i32_f32_e32 v21, v21
	v_exp_f32_e32 v17, v17
	v_cmp_ngt_f32_e32 vcc, s9, v13
	v_ldexp_f32 v16, v16, v19
	v_ldexp_f32 v17, v17, v21
	v_cndmask_b32_e32 v16, 0, v16, vcc
	v_cmp_ngt_f32_e32 vcc, s9, v15
	s_nop 1
	v_cndmask_b32_e32 v17, 0, v17, vcc
	v_cmp_nlt_f32_e32 vcc, s13, v13
	s_nop 1
	v_cndmask_b32_e32 v16, v12, v16, vcc
	v_cmp_nlt_f32_e32 vcc, s13, v15
	s_nop 1
	v_cndmask_b32_e32 v17, v12, v17, vcc
	v_cmp_le_f32_e32 vcc, s14, v13
	s_nop 1
	v_cndmask_b32_e32 v16, 0, v16, vcc
	v_cmp_le_f32_e32 vcc, s14, v15
	s_nop 1
	v_cndmask_b32_e32 v15, 0, v17, vcc
	v_mul_f32_e32 v13, s3, v15
	v_fmac_f32_e32 v13, v6, v16
	s_waitcnt vmcnt(0)
	v_mul_f32_e32 v14, v14, v15
	v_fmac_f32_e32 v14, v5, v16
	s_cbranch_execnz .LBB12_19
.LBB12_18:
	s_add_i32 s7, s12, -1
	s_mov_b64 s[0:1], 0
	v_mov_b32_e32 v0, v8
	v_mov_b32_e32 v13, v6
	;; [unrolled: 1-line block ×3, first 2 shown]
	s_waitcnt vmcnt(0)
	v_mov_b32_e32 v14, v5
.LBB12_19:
	s_andn2_b64 vcc, exec, s[0:1]
	s_cbranch_vccz .LBB12_23
; %bb.20:
	v_mov_b32_e32 v8, v0
	s_mov_b32 s12, s7
	v_mov_b32_e32 v6, v13
	v_mov_b32_e32 v7, v1
	s_waitcnt vmcnt(0)
	v_mov_b32_e32 v5, v14
	s_mul_hi_i32 s7, s12, s15
	s_cmp_lg_u64 s[6:7], 0
	s_mul_i32 s2, s12, s15
	s_cbranch_scc1 .LBB12_9
	s_branch .LBB12_15
.LBB12_21:
                                        ; implicit-def: $sgpr20_sgpr21
	s_load_dwordx4 s[16:19], s[0:1], 0x44
	s_branch .LBB12_2
.LBB12_22:
                                        ; implicit-def: $vgpr2_vgpr3
	s_branch .LBB12_5
.LBB12_23:
	v_div_scale_f32 v0, s[0:1], v13, v13, v14
	v_rcp_f32_e32 v1, v0
	v_div_scale_f32 v4, vcc, v14, v13, v14
	s_waitcnt vmcnt(0)
	v_fma_f32 v5, -v0, v1, 1.0
	v_fmac_f32_e32 v1, v5, v1
	v_mul_f32_e32 v5, v4, v1
	v_fma_f32 v6, -v0, v5, v4
	v_fmac_f32_e32 v5, v6, v1
	v_fma_f32 v0, -v0, v5, v4
	v_div_fmas_f32 v0, v0, v1, v5
	v_div_fixup_f32 v0, v0, v13, v14
	global_store_dword v[2:3], v0, off
.LBB12_24:
	s_endpgm
	.section	.rodata,"a",@progbits
	.p2align	6, 0x0
	.amdhsa_kernel _ZL33flash_attn_stream_k_fixup_generalILi112ELi2ELi8EEvPfPK15HIP_vector_typeIfLj2EEiiiiS1_IjLj3EES5_S5_S5_
		.amdhsa_group_segment_fixed_size 0
		.amdhsa_private_segment_fixed_size 0
		.amdhsa_kernarg_size 336
		.amdhsa_user_sgpr_count 2
		.amdhsa_user_sgpr_dispatch_ptr 0
		.amdhsa_user_sgpr_queue_ptr 0
		.amdhsa_user_sgpr_kernarg_segment_ptr 1
		.amdhsa_user_sgpr_dispatch_id 0
		.amdhsa_user_sgpr_kernarg_preload_length 0
		.amdhsa_user_sgpr_kernarg_preload_offset 0
		.amdhsa_user_sgpr_private_segment_size 0
		.amdhsa_uses_dynamic_stack 0
		.amdhsa_enable_private_segment 0
		.amdhsa_system_sgpr_workgroup_id_x 1
		.amdhsa_system_sgpr_workgroup_id_y 1
		.amdhsa_system_sgpr_workgroup_id_z 1
		.amdhsa_system_sgpr_workgroup_info 0
		.amdhsa_system_vgpr_workitem_id 0
		.amdhsa_next_free_vgpr 22
		.amdhsa_next_free_sgpr 32
		.amdhsa_accum_offset 24
		.amdhsa_reserve_vcc 1
		.amdhsa_float_round_mode_32 0
		.amdhsa_float_round_mode_16_64 0
		.amdhsa_float_denorm_mode_32 3
		.amdhsa_float_denorm_mode_16_64 3
		.amdhsa_dx10_clamp 1
		.amdhsa_ieee_mode 1
		.amdhsa_fp16_overflow 0
		.amdhsa_tg_split 0
		.amdhsa_exception_fp_ieee_invalid_op 0
		.amdhsa_exception_fp_denorm_src 0
		.amdhsa_exception_fp_ieee_div_zero 0
		.amdhsa_exception_fp_ieee_overflow 0
		.amdhsa_exception_fp_ieee_underflow 0
		.amdhsa_exception_fp_ieee_inexact 0
		.amdhsa_exception_int_div_zero 0
	.end_amdhsa_kernel
	.section	.text._ZL33flash_attn_stream_k_fixup_generalILi112ELi2ELi8EEvPfPK15HIP_vector_typeIfLj2EEiiiiS1_IjLj3EES5_S5_S5_,"axG",@progbits,_ZL33flash_attn_stream_k_fixup_generalILi112ELi2ELi8EEvPfPK15HIP_vector_typeIfLj2EEiiiiS1_IjLj3EES5_S5_S5_,comdat
.Lfunc_end12:
	.size	_ZL33flash_attn_stream_k_fixup_generalILi112ELi2ELi8EEvPfPK15HIP_vector_typeIfLj2EEiiiiS1_IjLj3EES5_S5_S5_, .Lfunc_end12-_ZL33flash_attn_stream_k_fixup_generalILi112ELi2ELi8EEvPfPK15HIP_vector_typeIfLj2EEiiiiS1_IjLj3EES5_S5_S5_
                                        ; -- End function
	.section	.AMDGPU.csdata,"",@progbits
; Kernel info:
; codeLenInByte = 2868
; NumSgprs: 38
; NumVgprs: 22
; NumAgprs: 0
; TotalNumVgprs: 22
; ScratchSize: 0
; MemoryBound: 0
; FloatMode: 240
; IeeeMode: 1
; LDSByteSize: 0 bytes/workgroup (compile time only)
; SGPRBlocks: 4
; VGPRBlocks: 2
; NumSGPRsForWavesPerEU: 38
; NumVGPRsForWavesPerEU: 22
; AccumOffset: 24
; Occupancy: 8
; WaveLimiterHint : 0
; COMPUTE_PGM_RSRC2:SCRATCH_EN: 0
; COMPUTE_PGM_RSRC2:USER_SGPR: 2
; COMPUTE_PGM_RSRC2:TRAP_HANDLER: 0
; COMPUTE_PGM_RSRC2:TGID_X_EN: 1
; COMPUTE_PGM_RSRC2:TGID_Y_EN: 1
; COMPUTE_PGM_RSRC2:TGID_Z_EN: 1
; COMPUTE_PGM_RSRC2:TIDIG_COMP_CNT: 0
; COMPUTE_PGM_RSRC3_GFX90A:ACCUM_OFFSET: 5
; COMPUTE_PGM_RSRC3_GFX90A:TG_SPLIT: 0
	.section	.text._ZL15flash_attn_tileILi112ELi112ELi1ELi8ELb0EEvPKcS1_S1_S1_S1_PKiPfP15HIP_vector_typeIfLj2EEffffjfiS5_IjLj3EEiiiiiiiiiiiliiliiiiil,"axG",@progbits,_ZL15flash_attn_tileILi112ELi112ELi1ELi8ELb0EEvPKcS1_S1_S1_S1_PKiPfP15HIP_vector_typeIfLj2EEffffjfiS5_IjLj3EEiiiiiiiiiiiliiliiiiil,comdat
	.globl	_ZL15flash_attn_tileILi112ELi112ELi1ELi8ELb0EEvPKcS1_S1_S1_S1_PKiPfP15HIP_vector_typeIfLj2EEffffjfiS5_IjLj3EEiiiiiiiiiiiliiliiiiil ; -- Begin function _ZL15flash_attn_tileILi112ELi112ELi1ELi8ELb0EEvPKcS1_S1_S1_S1_PKiPfP15HIP_vector_typeIfLj2EEffffjfiS5_IjLj3EEiiiiiiiiiiiliiliiiiil
	.p2align	8
	.type	_ZL15flash_attn_tileILi112ELi112ELi1ELi8ELb0EEvPKcS1_S1_S1_S1_PKiPfP15HIP_vector_typeIfLj2EEffffjfiS5_IjLj3EEiiiiiiiiiiiliiliiiiil,@function
_ZL15flash_attn_tileILi112ELi112ELi1ELi8ELb0EEvPKcS1_S1_S1_S1_PKiPfP15HIP_vector_typeIfLj2EEffffjfiS5_IjLj3EEiiiiiiiiiiiliiliiiiil: ; @_ZL15flash_attn_tileILi112ELi112ELi1ELi8ELb0EEvPKcS1_S1_S1_S1_PKiPfP15HIP_vector_typeIfLj2EEffffjfiS5_IjLj3EEiiiiiiiiiiiliiliiiiil
; %bb.0:
	s_load_dwordx4 s[28:31], s[0:1], 0x5c
	s_load_dwordx2 s[34:35], s[0:1], 0x80
	s_load_dwordx16 s[12:27], s[0:1], 0x0
	s_mov_b64 s[36:37], 0
	s_waitcnt lgkmcnt(0)
	s_ashr_i32 s5, s31, 31
	s_lshr_b32 s5, s5, 29
	s_add_i32 s5, s31, s5
	s_ashr_i32 s5, s5, 3
	v_cvt_f32_u32_e32 v1, s5
	s_sub_i32 s6, 0, s5
	v_rcp_iflag_f32_e32 v1, v1
	s_nop 0
	v_mul_f32_e32 v1, 0x4f7ffffe, v1
	v_cvt_u32_f32_e32 v1, v1
	s_nop 0
	v_readfirstlane_b32 s7, v1
	s_mul_i32 s6, s6, s7
	s_mul_hi_u32 s6, s7, s6
	s_add_i32 s7, s7, s6
	s_mul_hi_u32 s6, s4, s7
	s_mul_i32 s7, s6, s5
	s_sub_i32 s7, s4, s7
	s_add_i32 s8, s6, 1
	s_sub_i32 s9, s7, s5
	s_cmp_ge_u32 s7, s5
	s_cselect_b32 s6, s8, s6
	s_cselect_b32 s7, s9, s7
	s_add_i32 s8, s6, 1
	s_cmp_ge_u32 s7, s5
	s_cselect_b32 s33, s8, s6
	s_abs_i32 s5, s35
	v_cvt_f32_u32_e32 v1, s5
	s_sub_i32 s8, 0, s5
	s_abs_i32 s7, s31
	s_lshl_b32 s6, s4, 3
	v_rcp_iflag_f32_e32 v1, v1
	s_xor_b32 s4, s31, s35
	s_ashr_i32 s4, s4, 31
	v_mul_f32_e32 v1, 0x4f7ffffe, v1
	v_cvt_u32_f32_e32 v1, v1
	s_nop 0
	v_readfirstlane_b32 s9, v1
	s_mul_i32 s8, s8, s9
	s_mul_hi_u32 s8, s9, s8
	s_add_i32 s9, s9, s8
	s_mul_hi_u32 s8, s7, s9
	s_mul_i32 s9, s8, s5
	s_sub_i32 s7, s7, s9
	s_add_i32 s10, s8, 1
	s_sub_i32 s9, s7, s5
	s_cmp_ge_u32 s7, s5
	s_cselect_b32 s8, s10, s8
	s_cselect_b32 s7, s9, s7
	s_add_i32 s9, s8, 1
	s_cmp_ge_u32 s7, s5
	s_cselect_b32 s5, s9, s8
	s_xor_b32 s5, s5, s4
	s_sub_i32 s9, s5, s4
	s_abs_i32 s8, s9
	v_cvt_f32_u32_e32 v1, s8
	s_load_dwordx2 s[4:5], s[0:1], 0xb8
	s_mul_i32 s7, s33, s31
	s_cmp_eq_u64 s[18:19], 0
	v_rcp_iflag_f32_e32 v1, v1
	s_nop 0
	v_mul_f32_e32 v1, 0x4f7ffffe, v1
	v_cvt_u32_f32_e32 v1, v1
	s_nop 0
	v_readfirstlane_b32 s10, v1
	s_cbranch_scc1 .LBB13_2
; %bb.1:
	s_waitcnt lgkmcnt(0)
	s_abs_i32 s4, s4
	v_cvt_f32_u32_e32 v1, s4
	s_sub_i32 s38, 0, s4
	s_abs_i32 s35, s33
	s_ashr_i32 s11, s33, 31
	v_rcp_iflag_f32_e32 v1, v1
	s_load_dwordx2 s[36:37], s[0:1], 0xc8
	v_mul_f32_e32 v1, 0x4f7ffffe, v1
	v_cvt_u32_f32_e32 v1, v1
	s_nop 0
	v_readfirstlane_b32 s39, v1
	s_mul_i32 s38, s38, s39
	s_mul_hi_u32 s38, s39, s38
	s_add_i32 s39, s39, s38
	s_mul_hi_u32 s38, s35, s39
	s_mul_i32 s38, s38, s4
	s_sub_i32 s35, s35, s38
	s_sub_i32 s38, s35, s4
	s_cmp_ge_u32 s35, s4
	s_cselect_b32 s35, s38, s35
	s_sub_i32 s38, s35, s4
	s_cmp_ge_u32 s35, s4
	s_cselect_b32 s4, s38, s35
	s_xor_b32 s4, s4, s11
	s_sub_i32 s4, s4, s11
	s_ashr_i32 s11, s4, 31
	s_waitcnt lgkmcnt(0)
	s_mul_i32 s35, s4, s37
	s_mul_hi_u32 s37, s4, s36
	s_add_i32 s35, s37, s35
	s_mul_i32 s11, s11, s36
	s_add_i32 s35, s35, s11
	s_mul_i32 s4, s4, s36
	s_add_u32 s36, s18, s4
	s_addc_u32 s37, s19, s35
.LBB13_2:
	v_bfe_u32 v1, v0, 10, 10
	v_lshrrev_b32_e32 v41, 3, v1
	v_and_b32_e32 v40, 0x3ff, v0
	v_add_u32_e32 v0, s2, v41
	s_sub_i32 s35, s6, s7
	v_and_b32_e32 v45, 7, v1
	v_cmp_gt_u32_e64 s[18:19], 28, v40
	v_mul_hi_u32 v2, s28, v0
	s_and_saveexec_b64 s[6:7], s[18:19]
	s_cbranch_execz .LBB13_4
; %bb.3:
	s_load_dwordx4 s[40:43], s[0:1], 0x70
	s_waitcnt lgkmcnt(0)
	s_mul_i32 s4, s33, s42
	s_ashr_i32 s28, s4, 31
	s_mul_i32 s11, s35, s41
	s_add_u32 s4, s12, s4
	s_addc_u32 s13, s13, s28
	s_ashr_i32 s28, s11, 31
	s_add_u32 s12, s4, s11
	v_mov_b32_e32 v3, s41
	s_addc_u32 s13, s13, s28
	s_ashr_i32 s4, s41, 31
	v_alignbit_b32 v3, s4, v3, 2
	v_mad_u64_u32 v[4:5], s[38:39], v3, v45, 0
	v_mov_b32_e32 v6, v5
	s_lshr_b32 s4, s4, 2
	v_add_u32_e32 v3, v0, v2
	v_mad_u64_u32 v[6:7], s[38:39], s4, v45, v[6:7]
	v_lshrrev_b32_e32 v3, s29, v3
	v_mov_b32_e32 v5, v6
	v_mul_lo_u32 v3, v3, s30
	s_ashr_i32 s4, s40, 31
	v_mov_b32_e32 v6, s40
	v_sub_u32_e32 v3, v0, v3
	v_alignbit_b32 v6, s4, v6, 2
	v_mad_u64_u32 v[6:7], s[38:39], v6, v3, 0
	v_mov_b32_e32 v8, v7
	s_lshr_b32 s4, s4, 2
	v_mad_u64_u32 v[8:9], s[38:39], s4, v3, v[8:9]
	v_mov_b32_e32 v7, v8
	v_lshl_add_u64 v[4:5], v[4:5], 2, s[12:13]
	v_lshl_add_u64 v[4:5], v[6:7], 2, v[4:5]
	v_lshlrev_b32_e32 v6, 4, v40
	v_mov_b32_e32 v7, 0
	v_lshl_add_u64 v[4:5], v[4:5], 0, v[6:7]
	global_load_dwordx4 v[4:7], v[4:5], off
	s_load_dword s4, s[0:1], 0x40
	v_mul_u32_u24_e32 v3, 56, v1
	s_waitcnt vmcnt(0) lgkmcnt(0)
	v_pk_mul_f32 v[4:5], v[4:5], s[4:5] op_sel_hi:[1,0]
	v_pk_mul_f32 v[6:7], v[6:7], s[4:5] op_sel_hi:[1,0]
	v_cvt_f16_f32_e32 v8, v5
	v_cvt_f16_f32_e32 v5, v7
	;; [unrolled: 1-line block ×4, first 2 shown]
	v_lshlrev_b32_e32 v7, 1, v40
	v_add_lshl_u32 v3, v3, v7, 2
	v_pack_b32_f16 v5, v6, v5
	v_pack_b32_f16 v4, v4, v8
	ds_write_b64 v3, v[4:5] offset:4160
.LBB13_4:
	s_or_b64 exec, exec, s[6:7]
	s_cmp_eq_u64 s[22:23], 0
	s_waitcnt lgkmcnt(0)
	s_barrier
	s_cbranch_scc1 .LBB13_6
; %bb.5:
	s_load_dword s4, s[0:1], 0xd0
	s_mov_b32 s7, 0
	s_waitcnt lgkmcnt(0)
	s_mul_i32 s4, s4, s33
	s_add_i32 s6, s4, s2
	s_lshl_b64 s[6:7], s[6:7], 2
	s_add_u32 s6, s22, s6
	s_addc_u32 s7, s23, s7
	s_load_dword s34, s[6:7], 0x0
.LBB13_6:
	s_lshl_b32 s40, s3, 5
	s_waitcnt lgkmcnt(0)
	s_cmp_lt_i32 s40, s34
	v_mbcnt_lo_u32_b32 v3, -1, 0
	s_cbranch_scc1 .LBB13_8
; %bb.7:
	v_mbcnt_hi_u32_b32 v49, -1, v3
	v_and_b32_e32 v4, 0x60, v49
	s_mov_b32 s4, 0
	v_add_u32_e32 v82, 32, v4
	v_xor_b32_e32 v83, 16, v49
	v_xor_b32_e32 v84, 8, v49
	;; [unrolled: 1-line block ×5, first 2 shown]
	s_mov_b64 s[6:7], 0
	s_mov_b32 s11, 0xfeffffff
	s_branch .LBB13_9
.LBB13_8:
	s_mov_b64 s[6:7], -1
                                        ; implicit-def: $sgpr11
                                        ; implicit-def: $sgpr4
                                        ; implicit-def: $vgpr49
                                        ; implicit-def: $vgpr82
                                        ; implicit-def: $vgpr83
                                        ; implicit-def: $vgpr84
                                        ; implicit-def: $vgpr85
                                        ; implicit-def: $vgpr86
                                        ; implicit-def: $vgpr87
.LBB13_9:
	s_andn2_b64 vcc, exec, s[6:7]
	v_mov_b32_e32 v64, s11
	v_mov_b32_e32 v88, s4
	;; [unrolled: 1-line block ×4, first 2 shown]
	s_cbranch_vccnz .LBB13_37
; %bb.10:
	s_load_dwordx2 s[6:7], s[0:1], 0x8c
	s_load_dwordx4 s[44:47], s[0:1], 0x98
	s_sub_i32 s4, 0, s8
	s_mul_i32 s4, s4, s10
	s_ashr_i32 s22, s5, 1
	s_waitcnt lgkmcnt(0)
	s_ashr_i32 s42, s6, 2
	s_ashr_i32 s5, s33, 31
	s_mul_i32 s6, s33, s45
	s_mul_hi_u32 s23, s33, s44
	s_mul_hi_u32 s4, s10, s4
	s_add_i32 s6, s23, s6
	s_mul_i32 s23, s5, s44
	s_abs_i32 s12, s35
	s_add_i32 s10, s10, s4
	s_ashr_i32 s13, s35, 31
	s_ashr_i32 s9, s9, 31
	s_ashr_i32 s41, s46, 2
	s_add_i32 s6, s6, s23
	s_mul_i32 s23, s33, s44
	s_mul_hi_u32 s4, s12, s10
	s_add_u32 s14, s14, s23
	s_addc_u32 s6, s15, s6
	s_xor_b32 s9, s13, s9
	s_mul_i32 s13, s4, s8
	s_sub_i32 s12, s12, s13
	s_add_i32 s13, s4, 1
	s_sub_i32 s15, s12, s8
	s_cmp_ge_u32 s12, s8
	s_cselect_b32 s4, s13, s4
	s_cselect_b32 s12, s15, s12
	s_add_i32 s13, s4, 1
	s_cmp_ge_u32 s12, s8
	s_cselect_b32 s4, s13, s4
	s_load_dwordx2 s[10:11], s[0:1], 0xa8
	s_xor_b32 s4, s4, s9
	s_sub_i32 s4, s4, s9
	s_mul_i32 s7, s4, s7
	s_ashr_i32 s8, s7, 31
	v_add_u32_e32 v2, v0, v2
	s_add_u32 s43, s14, s7
	v_lshrrev_b32_e32 v2, s29, v2
	s_addc_u32 s44, s6, s8
	s_waitcnt lgkmcnt(0)
	s_mul_i32 s6, s33, s11
	s_mul_hi_u32 s7, s33, s10
	v_mul_lo_u32 v2, v2, s30
	s_add_i32 s6, s7, s6
	s_mul_i32 s5, s5, s10
	v_lshl_add_u32 v4, v1, 5, v40
	v_sub_u32_e32 v0, v0, v2
	s_add_i32 s6, s6, s5
	s_mul_i32 s5, s33, s10
	v_cmp_gt_u32_e32 vcc, 32, v4
	v_lshrrev_b32_e32 v5, 1, v40
	v_mul_lo_u32 v42, s42, v4
	v_lshlrev_b32_e32 v4, 2, v40
	v_mad_u64_u32 v[54:55], s[8:9], v0, s22, v[40:41]
	v_mov_b32_e32 v0, 0x1740
	s_add_u32 s5, s16, s5
	s_mul_i32 s4, s4, s47
	v_lshl_add_u32 v5, v1, 4, v5
	v_lshrrev_b32_e32 v6, 2, v40
	s_movk_i32 s14, 0xe0
	v_mov_b32_e32 v7, 0x1040
	v_and_b32_e32 v44, 4, v4
	v_lshl_add_u32 v74, v1, 6, v0
	v_lshrrev_b32_e32 v0, 3, v40
	s_addc_u32 s6, s17, s6
	s_ashr_i32 s7, s4, 31
	v_lshl_add_u32 v6, v1, 3, v6
	v_mad_u32_u24 v65, v1, s14, v7
	v_lshlrev_b32_e32 v8, 2, v44
	v_lshl_add_u32 v0, v1, 2, v0
	v_mul_u32_u24_e32 v1, 0xe0, v5
	s_add_u32 s45, s5, s4
	v_lshlrev_b32_e32 v7, 7, v5
	v_and_b32_e32 v48, 12, v4
	v_or_b32_e32 v1, v1, v8
	s_addc_u32 s46, s6, s7
	v_or3_b32 v72, v7, v8, 64
	v_lshlrev_b32_e32 v7, 2, v48
	v_add_u32_e32 v77, 0xc0, v1
	v_mul_u32_u24_e32 v1, 0xe0, v6
	s_movk_i32 s15, 0x80
	v_and_b32_e32 v60, 28, v4
	v_lshlrev_b32_e32 v70, 7, v40
	v_mul_lo_u32 v46, s42, v5
	v_mul_lo_u32 v52, s42, v6
	;; [unrolled: 1-line block ×3, first 2 shown]
	v_add3_u32 v78, v1, v7, s15
	v_mul_lo_u32 v58, s41, v6
	v_lshlrev_b32_e32 v1, 2, v60
	v_mul_lo_u32 v62, s41, v0
	s_add_u32 s22, s0, 0xd0
	v_cmp_gt_u32_e64 s[4:5], 32, v5
	v_cmp_gt_u32_e64 s[6:7], 32, v6
	v_or_b32_e32 v71, 0x60, v70
	v_ashrrev_i32_e32 v43, 31, v42
	v_ashrrev_i32_e32 v47, 31, v46
	v_mov_b32_e32 v51, 0
	v_lshl_or_b32 v73, v6, 7, v7
	v_ashrrev_i32_e32 v53, 31, v52
	v_lshl_add_u32 v75, v40, 1, v74
	v_cmp_gt_u32_e64 s[8:9], 16, v5
	v_cmp_gt_u32_e64 s[10:11], 16, v6
	v_cmp_gt_u32_e64 s[12:13], 16, v0
	v_lshlrev_b32_e32 v76, 3, v40
	v_ashrrev_i32_e32 v57, 31, v56
	v_ashrrev_i32_e32 v59, 31, v58
	v_mad_u32_u24 v79, v0, s14, v1
	v_ashrrev_i32_e32 v63, 31, v62
	s_addc_u32 s23, s1, 0
	v_mov_b32_e32 v6, 0xfeffffff
	v_mbcnt_hi_u32_b32 v49, -1, v3
	s_mov_b32 s47, 0x3fb8aa3b
	s_mov_b32 s48, 0xc2ce8ed0
	;; [unrolled: 1-line block ×3, first 2 shown]
	v_mov_b32_e32 v80, 0x7f800000
	v_mov_b32_e32 v61, 0
	;; [unrolled: 1-line block ×4, first 2 shown]
.LBB13_11:                              ; =>This Inner Loop Header: Depth=1
	s_mul_hi_i32 s15, s40, s42
	s_mul_i32 s14, s40, s42
	s_lshl_b64 s[14:15], s[14:15], 2
	s_add_u32 s14, s43, s14
	s_addc_u32 s15, s44, s15
	v_lshl_add_u64 v[2:3], v[42:43], 2, s[14:15]
	s_and_saveexec_b64 s[16:17], vcc
	s_cbranch_execz .LBB13_13
; %bb.12:                               ;   in Loop: Header=BB13_11 Depth=1
	global_load_dwordx4 v[8:11], v[2:3], off offset:96
	s_waitcnt vmcnt(0)
	ds_write_b128 v71, v[8:11]
.LBB13_13:                              ;   in Loop: Header=BB13_11 Depth=1
	s_or_b64 exec, exec, s[16:17]
	v_lshl_add_u64 v[0:1], v[46:47], 2, s[14:15]
	v_lshlrev_b32_e32 v50, 2, v44
	s_and_saveexec_b64 s[16:17], s[4:5]
	s_cbranch_execz .LBB13_15
; %bb.14:                               ;   in Loop: Header=BB13_11 Depth=1
	v_lshl_add_u64 v[4:5], v[0:1], 0, v[50:51]
	global_load_dwordx4 v[8:11], v[4:5], off offset:64
	s_waitcnt vmcnt(0)
	ds_write_b128 v72, v[8:11]
.LBB13_15:                              ;   in Loop: Header=BB13_11 Depth=1
	s_or_b64 exec, exec, s[16:17]
	v_lshl_add_u64 v[4:5], v[52:53], 2, s[14:15]
	v_lshlrev_b32_e32 v66, 2, v48
	s_and_saveexec_b64 s[14:15], s[6:7]
	s_cbranch_execz .LBB13_17
; %bb.16:                               ;   in Loop: Header=BB13_11 Depth=1
	v_mov_b32_e32 v67, v51
	v_lshl_add_u64 v[8:9], v[4:5], 0, v[66:67]
	global_load_dwordx4 v[8:11], v[8:9], off
	s_waitcnt vmcnt(0)
	ds_write_b128 v73, v[8:11]
.LBB13_17:                              ;   in Loop: Header=BB13_11 Depth=1
	s_or_b64 exec, exec, s[14:15]
	s_waitcnt lgkmcnt(0)
	s_barrier
	ds_read_b128 v[8:11], v70
	ds_read_b128 v[12:15], v65
	v_mov_b32_e32 v7, 0
	s_waitcnt lgkmcnt(0)
	;;#ASMSTART
	v_dot2_f32_f16 v7, v8, v12, v7
	;;#ASMEND
	s_nop 0
	;;#ASMSTART
	v_dot2_f32_f16 v7, v9, v13, v7
	;;#ASMEND
	s_nop 0
	;;#ASMSTART
	v_dot2_f32_f16 v7, v10, v14, v7
	;;#ASMEND
	s_nop 0
	;;#ASMSTART
	v_dot2_f32_f16 v7, v11, v15, v7
	;;#ASMEND
	ds_read_b128 v[8:11], v70 offset:16
	ds_read_b128 v[12:15], v65 offset:16
	s_waitcnt lgkmcnt(0)
	;;#ASMSTART
	v_dot2_f32_f16 v7, v8, v12, v7
	;;#ASMEND
	s_nop 0
	;;#ASMSTART
	v_dot2_f32_f16 v7, v9, v13, v7
	;;#ASMEND
	s_nop 0
	;;#ASMSTART
	v_dot2_f32_f16 v7, v10, v14, v7
	;;#ASMEND
	s_nop 0
	;;#ASMSTART
	v_dot2_f32_f16 v7, v11, v15, v7
	;;#ASMEND
	ds_read_b128 v[8:11], v70 offset:32
	ds_read_b128 v[12:15], v65 offset:32
	s_waitcnt lgkmcnt(0)
	;;#ASMSTART
	v_dot2_f32_f16 v7, v8, v12, v7
	;;#ASMEND
	s_nop 0
	;;#ASMSTART
	v_dot2_f32_f16 v7, v9, v13, v7
	;;#ASMEND
	s_nop 0
	;;#ASMSTART
	v_dot2_f32_f16 v7, v10, v14, v7
	;;#ASMEND
	s_nop 0
	;;#ASMSTART
	v_dot2_f32_f16 v7, v11, v15, v7
	;;#ASMEND
	ds_read_b128 v[8:11], v70 offset:48
	ds_read_b128 v[12:15], v65 offset:48
	s_waitcnt lgkmcnt(0)
	;;#ASMSTART
	v_dot2_f32_f16 v7, v8, v12, v7
	;;#ASMEND
	s_nop 0
	;;#ASMSTART
	v_dot2_f32_f16 v7, v9, v13, v7
	;;#ASMEND
	s_nop 0
	;;#ASMSTART
	v_dot2_f32_f16 v7, v10, v14, v7
	;;#ASMEND
	s_nop 0
	;;#ASMSTART
	v_dot2_f32_f16 v7, v11, v15, v7
	;;#ASMEND
	ds_read_b128 v[8:11], v70 offset:64
	ds_read_b128 v[12:15], v65 offset:64
	s_waitcnt lgkmcnt(0)
	;;#ASMSTART
	v_dot2_f32_f16 v7, v8, v12, v7
	;;#ASMEND
	s_nop 0
	;;#ASMSTART
	v_dot2_f32_f16 v7, v9, v13, v7
	;;#ASMEND
	s_nop 0
	;;#ASMSTART
	v_dot2_f32_f16 v7, v10, v14, v7
	;;#ASMEND
	s_nop 0
	;;#ASMSTART
	v_dot2_f32_f16 v7, v11, v15, v7
	;;#ASMEND
	ds_read_b128 v[8:11], v70 offset:80
	ds_read_b128 v[12:15], v65 offset:80
	s_waitcnt lgkmcnt(0)
	;;#ASMSTART
	v_dot2_f32_f16 v7, v8, v12, v7
	;;#ASMEND
	s_nop 0
	;;#ASMSTART
	v_dot2_f32_f16 v7, v9, v13, v7
	;;#ASMEND
	s_nop 0
	;;#ASMSTART
	v_dot2_f32_f16 v7, v10, v14, v7
	;;#ASMEND
	s_nop 0
	;;#ASMSTART
	v_dot2_f32_f16 v7, v11, v15, v7
	;;#ASMEND
	ds_read_b128 v[8:11], v70 offset:96
	ds_read_b128 v[12:15], v65 offset:96
	s_waitcnt lgkmcnt(0)
	;;#ASMSTART
	v_dot2_f32_f16 v7, v8, v12, v7
	;;#ASMEND
	s_nop 0
	;;#ASMSTART
	v_dot2_f32_f16 v7, v9, v13, v7
	;;#ASMEND
	s_nop 0
	;; [unrolled: 4-line block ×3, first 2 shown]
	;;#ASMSTART
	v_dot2_f32_f16 v7, v11, v15, v7
	;;#ASMEND
	s_barrier
	s_and_saveexec_b64 s[14:15], vcc
	s_cbranch_execnz .LBB13_31
; %bb.18:                               ;   in Loop: Header=BB13_11 Depth=1
	s_or_b64 exec, exec, s[14:15]
	s_and_saveexec_b64 s[14:15], s[4:5]
	s_cbranch_execnz .LBB13_32
.LBB13_19:                              ;   in Loop: Header=BB13_11 Depth=1
	s_or_b64 exec, exec, s[14:15]
	s_and_saveexec_b64 s[14:15], s[6:7]
	s_cbranch_execz .LBB13_21
.LBB13_20:                              ;   in Loop: Header=BB13_11 Depth=1
	v_mov_b32_e32 v67, v51
	v_lshl_add_u64 v[0:1], v[4:5], 0, v[66:67]
	global_load_dwordx4 v[0:3], v[0:1], off offset:112
	s_waitcnt vmcnt(0)
	ds_write_b128 v73, v[0:3]
.LBB13_21:                              ;   in Loop: Header=BB13_11 Depth=1
	s_or_b64 exec, exec, s[14:15]
	s_waitcnt lgkmcnt(0)
	s_barrier
	ds_read_b128 v[0:3], v70
	ds_read_b128 v[8:11], v65 offset:112
	v_add_u32_e32 v4, s40, v54
	s_waitcnt lgkmcnt(0)
	;;#ASMSTART
	v_dot2_f32_f16 v7, v0, v8, v7
	;;#ASMEND
	s_nop 0
	;;#ASMSTART
	v_dot2_f32_f16 v7, v1, v9, v7
	;;#ASMEND
	v_ashrrev_i32_e32 v5, 31, v4
	;;#ASMSTART
	v_dot2_f32_f16 v7, v2, v10, v7
	;;#ASMEND
	v_lshl_add_u64 v[4:5], v[4:5], 1, s[36:37]
	;;#ASMSTART
	v_dot2_f32_f16 v7, v3, v11, v7
	;;#ASMEND
	ds_read_b128 v[0:3], v70 offset:16
	ds_read_b128 v[8:11], v65 offset:128
	s_waitcnt lgkmcnt(0)
	;;#ASMSTART
	v_dot2_f32_f16 v7, v0, v8, v7
	;;#ASMEND
	s_nop 0
	;;#ASMSTART
	v_dot2_f32_f16 v7, v1, v9, v7
	;;#ASMEND
	v_xor_b32_e32 v83, 16, v49
	;;#ASMSTART
	v_dot2_f32_f16 v7, v2, v10, v7
	;;#ASMEND
	v_xor_b32_e32 v84, 8, v49
	;;#ASMSTART
	v_dot2_f32_f16 v7, v3, v11, v7
	;;#ASMEND
	ds_read_b128 v[0:3], v70 offset:32
	ds_read_b128 v[8:11], v65 offset:144
	s_waitcnt lgkmcnt(0)
	;;#ASMSTART
	v_dot2_f32_f16 v7, v0, v8, v7
	;;#ASMEND
	s_nop 0
	;;#ASMSTART
	v_dot2_f32_f16 v7, v1, v9, v7
	;;#ASMEND
	v_xor_b32_e32 v85, 4, v49
	;;#ASMSTART
	v_dot2_f32_f16 v7, v2, v10, v7
	;;#ASMEND
	v_xor_b32_e32 v86, 2, v49
	;;#ASMSTART
	v_dot2_f32_f16 v7, v3, v11, v7
	;;#ASMEND
	ds_read_b128 v[0:3], v70 offset:48
	ds_read_b128 v[8:11], v65 offset:160
	s_waitcnt lgkmcnt(0)
	;;#ASMSTART
	v_dot2_f32_f16 v7, v0, v8, v7
	;;#ASMEND
	s_nop 0
	;;#ASMSTART
	v_dot2_f32_f16 v7, v1, v9, v7
	;;#ASMEND
	v_xor_b32_e32 v87, 1, v49
	;;#ASMSTART
	v_dot2_f32_f16 v7, v2, v10, v7
	;;#ASMEND
	s_nop 0
	;;#ASMSTART
	v_dot2_f32_f16 v7, v3, v11, v7
	;;#ASMEND
	ds_read_b128 v[0:3], v70 offset:64
	ds_read_b128 v[8:11], v65 offset:176
	s_waitcnt lgkmcnt(0)
	;;#ASMSTART
	v_dot2_f32_f16 v7, v0, v8, v7
	;;#ASMEND
	s_nop 0
	;;#ASMSTART
	v_dot2_f32_f16 v7, v1, v9, v7
	;;#ASMEND
	s_nop 0
	;; [unrolled: 4-line block ×3, first 2 shown]
	;;#ASMSTART
	v_dot2_f32_f16 v7, v3, v11, v7
	;;#ASMEND
	ds_read_b128 v[0:3], v70 offset:80
	ds_read_b128 v[8:11], v65 offset:192
	s_waitcnt lgkmcnt(0)
	;;#ASMSTART
	v_dot2_f32_f16 v7, v0, v8, v7
	;;#ASMEND
	s_nop 0
	;;#ASMSTART
	v_dot2_f32_f16 v7, v1, v9, v7
	;;#ASMEND
	s_nop 0
	;; [unrolled: 4-line block ×3, first 2 shown]
	;;#ASMSTART
	v_dot2_f32_f16 v7, v3, v11, v7
	;;#ASMEND
	ds_read_b128 v[0:3], v70 offset:96
	ds_read_b128 v[8:11], v65 offset:208
	s_waitcnt lgkmcnt(0)
	;;#ASMSTART
	v_dot2_f32_f16 v7, v0, v8, v7
	;;#ASMEND
	s_nop 0
	;;#ASMSTART
	v_dot2_f32_f16 v7, v1, v9, v7
	;;#ASMEND
	v_max_f32_e32 v1, v6, v6
	;;#ASMSTART
	v_dot2_f32_f16 v7, v2, v10, v7
	;;#ASMEND
	v_and_b32_e32 v2, 0x60, v49
	;;#ASMSTART
	v_dot2_f32_f16 v7, v3, v11, v7
	;;#ASMEND
	flat_load_ushort v0, v[4:5]
	v_add_u32_e32 v82, 32, v2
	v_cmp_lt_i32_e64 s[14:15], v83, v82
	s_waitcnt lgkmcnt(0)
	s_barrier
	v_cndmask_b32_e64 v2, v49, v83, s[14:15]
	v_lshlrev_b32_e32 v2, 2, v2
	v_cmp_lt_i32_e64 s[14:15], v84, v82
	s_waitcnt vmcnt(0)
	v_cvt_f32_f16_e32 v0, v0
	v_add_f32_e32 v0, v7, v0
	v_add_f32_e32 v3, 0x40051340, v0
	v_max_f32_e32 v1, v1, v3
	ds_bpermute_b32 v2, v2, v1
	v_cndmask_b32_e64 v3, v49, v84, s[14:15]
	v_lshlrev_b32_e32 v3, 2, v3
	v_cmp_lt_i32_e64 s[14:15], v85, v82
	s_waitcnt lgkmcnt(0)
	v_max_f32_e32 v2, v2, v2
	v_max_f32_e32 v1, v1, v2
	ds_bpermute_b32 v2, v3, v1
	v_cndmask_b32_e64 v3, v49, v85, s[14:15]
	v_lshlrev_b32_e32 v3, 2, v3
	v_cmp_lt_i32_e64 s[14:15], v86, v82
	s_waitcnt lgkmcnt(0)
	v_max_f32_e32 v2, v2, v2
	;; [unrolled: 7-line block ×3, first 2 shown]
	v_max_f32_e32 v1, v1, v2
	ds_bpermute_b32 v2, v3, v1
	v_cndmask_b32_e64 v3, v49, v87, s[14:15]
	v_lshlrev_b32_e32 v3, 2, v3
	s_mul_hi_i32 s15, s40, s41
	s_mul_i32 s14, s40, s41
	s_waitcnt lgkmcnt(0)
	v_max_f32_e32 v2, v2, v2
	v_max_f32_e32 v1, v1, v2
	ds_bpermute_b32 v2, v3, v1
	s_lshl_b64 s[16:17], s[14:15], 2
	s_add_u32 s16, s45, s16
	s_addc_u32 s17, s46, s17
	s_waitcnt lgkmcnt(0)
	v_max_f32_e32 v2, v2, v2
	v_max_f32_e32 v64, v1, v2
	v_sub_f32_e32 v0, v0, v64
	v_mul_f32_e32 v1, 0x3fb8aa3b, v0
	v_fma_f32 v2, v0, s47, -v1
	v_rndne_f32_e32 v3, v1
	v_fmac_f32_e32 v2, 0x32a5705f, v0
	v_sub_f32_e32 v1, v1, v3
	v_add_f32_e32 v1, v1, v2
	v_cvt_i32_f32_e32 v3, v3
	v_exp_f32_e32 v1, v1
	v_cmp_ngt_f32_e64 s[14:15], s48, v0
	v_ldexp_f32 v1, v1, v3
	s_nop 0
	v_cndmask_b32_e64 v1, 0, v1, s[14:15]
	v_cmp_nlt_f32_e64 s[14:15], s49, v0
	s_nop 1
	v_cndmask_b32_e64 v88, v80, v1, s[14:15]
	v_cvt_f16_f32_e32 v0, v88
	ds_write_b16 v75, v0
	s_and_saveexec_b64 s[14:15], s[8:9]
	s_cbranch_execnz .LBB13_33
; %bb.22:                               ;   in Loop: Header=BB13_11 Depth=1
	s_or_b64 exec, exec, s[14:15]
	s_and_saveexec_b64 s[14:15], s[10:11]
	s_cbranch_execnz .LBB13_34
.LBB13_23:                              ;   in Loop: Header=BB13_11 Depth=1
	s_or_b64 exec, exec, s[14:15]
	v_lshlrev_b32_e32 v68, 2, v60
	s_and_saveexec_b64 s[14:15], s[12:13]
	s_cbranch_execz .LBB13_25
.LBB13_24:                              ;   in Loop: Header=BB13_11 Depth=1
	v_lshl_add_u64 v[0:1], v[62:63], 2, s[16:17]
	v_mov_b32_e32 v69, v51
	v_lshl_add_u64 v[0:1], v[0:1], 0, v[68:69]
	global_load_dwordx4 v[0:3], v[0:1], off
	s_waitcnt vmcnt(0)
	ds_write_b128 v79, v[0:3]
.LBB13_25:                              ;   in Loop: Header=BB13_11 Depth=1
	s_or_b64 exec, exec, s[14:15]
	s_waitcnt lgkmcnt(0)
	s_barrier
	ds_read2_b64 v[28:31], v76 offset1:28
	ds_read_b128 v[8:11], v74
	ds_read_b128 v[0:3], v74 offset:16
	ds_read2_b64 v[36:39], v76 offset0:56 offset1:84
	ds_read2_b64 v[32:35], v76 offset0:112 offset1:140
	;; [unrolled: 1-line block ×4, first 2 shown]
	v_add_u32_e32 v89, 0x800, v76
	v_sub_f32_e32 v90, v6, v64
	ds_read2_b64 v[20:23], v89 offset0:24 offset1:52
	ds_read2_b64 v[12:15], v89 offset0:80 offset1:108
	;; [unrolled: 1-line block ×3, first 2 shown]
	s_or_b32 s28, s40, 16
	s_mul_hi_i32 s29, s28, s41
	s_mul_i32 s28, s28, s41
	s_lshl_b64 s[28:29], s[28:29], 2
	s_add_u32 s28, s45, s28
	v_cmp_ngt_f32_e64 s[14:15], s48, v90
	v_cmp_nlt_f32_e64 s[16:17], s49, v90
	s_addc_u32 s29, s46, s29
	s_waitcnt lgkmcnt(0)
	s_barrier
	s_and_saveexec_b64 s[38:39], s[8:9]
	s_cbranch_execnz .LBB13_35
; %bb.26:                               ;   in Loop: Header=BB13_11 Depth=1
	s_or_b64 exec, exec, s[38:39]
	s_and_saveexec_b64 s[38:39], s[10:11]
	s_cbranch_execnz .LBB13_36
.LBB13_27:                              ;   in Loop: Header=BB13_11 Depth=1
	s_or_b64 exec, exec, s[38:39]
	s_and_saveexec_b64 s[38:39], s[12:13]
	s_cbranch_execz .LBB13_29
.LBB13_28:                              ;   in Loop: Header=BB13_11 Depth=1
	v_lshl_add_u64 v[66:67], v[62:63], 2, s[28:29]
	v_mov_b32_e32 v69, v51
	v_lshl_add_u64 v[66:67], v[66:67], 0, v[68:69]
	global_load_dwordx4 v[66:69], v[66:67], off
	s_waitcnt vmcnt(0)
	ds_write_b128 v79, v[66:69]
.LBB13_29:                              ;   in Loop: Header=BB13_11 Depth=1
	s_or_b64 exec, exec, s[38:39]
	v_mul_f32_e32 v50, 0x3fb8aa3b, v90
	v_fma_f32 v66, v90, s47, -v50
	v_rndne_f32_e32 v67, v50
	v_fmac_f32_e32 v66, 0x32a5705f, v90
	v_sub_f32_e32 v50, v50, v67
	v_add_f32_e32 v50, v50, v66
	v_cvt_i32_f32_e32 v66, v67
	v_exp_f32_e32 v50, v50
	v_pk_mul_f16 v28, v28, v8 op_sel_hi:[1,0]
	v_pk_mul_f16 v29, v29, v8 op_sel_hi:[1,0]
	s_waitcnt lgkmcnt(0)
	v_ldexp_f32 v50, v50, v66
	v_cndmask_b32_e64 v50, 0, v50, s[14:15]
	v_cndmask_b32_e64 v50, v80, v50, s[16:17]
	v_cvt_f16_f32_e32 v66, v50
	s_barrier
	v_fmac_f32_e32 v88, v81, v50
	v_pk_fma_f16 v28, v61, v66, v28 op_sel_hi:[1,0,1]
	v_pk_fma_f16 v29, v55, v66, v29 op_sel_hi:[1,0,1]
	v_pk_fma_f16 v28, v30, v8, v28 op_sel:[0,1,0]
	v_pk_fma_f16 v8, v31, v8, v29 op_sel:[0,1,0]
	v_pk_fma_f16 v28, v36, v9, v28 op_sel_hi:[1,0,1]
	v_pk_fma_f16 v8, v37, v9, v8 op_sel_hi:[1,0,1]
	v_pk_fma_f16 v28, v38, v9, v28 op_sel:[0,1,0]
	v_pk_fma_f16 v8, v39, v9, v8 op_sel:[0,1,0]
	;; [unrolled: 4-line block ×7, first 2 shown]
	ds_read2_b64 v[8:11], v76 offset1:28
	ds_read_b128 v[12:15], v74 offset:32
	v_pk_fma_f16 v1, v4, v3, v1 op_sel_hi:[1,0,1]
	v_pk_fma_f16 v0, v5, v3, v0 op_sel_hi:[1,0,1]
	v_pk_fma_f16 v4, v6, v3, v1 op_sel:[0,1,0]
	v_pk_fma_f16 v16, v7, v3, v0 op_sel:[0,1,0]
	s_waitcnt lgkmcnt(0)
	v_pk_fma_f16 v8, v8, v12, v4 op_sel_hi:[1,0,1]
	ds_read2_b64 v[4:7], v76 offset0:56 offset1:84
	v_pk_fma_f16 v9, v9, v12, v16 op_sel_hi:[1,0,1]
	v_pk_fma_f16 v16, v10, v12, v8 op_sel:[0,1,0]
	v_pk_fma_f16 v12, v11, v12, v9 op_sel:[0,1,0]
	ds_read2_b64 v[8:11], v76 offset0:112 offset1:140
	s_waitcnt lgkmcnt(1)
	v_pk_fma_f16 v4, v4, v13, v16 op_sel_hi:[1,0,1]
	v_pk_fma_f16 v5, v5, v13, v12 op_sel_hi:[1,0,1]
	v_pk_fma_f16 v4, v6, v13, v4 op_sel:[0,1,0]
	v_pk_fma_f16 v12, v7, v13, v5 op_sel:[0,1,0]
	s_waitcnt lgkmcnt(0)
	v_pk_fma_f16 v8, v8, v14, v4 op_sel_hi:[1,0,1]
	ds_read2_b64 v[4:7], v76 offset0:168 offset1:196
	v_pk_fma_f16 v9, v9, v14, v12 op_sel_hi:[1,0,1]
	ds_read_b128 v[0:3], v74 offset:48
	v_pk_fma_f16 v12, v10, v14, v8 op_sel:[0,1,0]
	v_pk_fma_f16 v13, v11, v14, v9 op_sel:[0,1,0]
	ds_read2_b64 v[8:11], v76 offset0:224 offset1:252
	s_waitcnt lgkmcnt(2)
	v_pk_fma_f16 v4, v4, v15, v12 op_sel_hi:[1,0,1]
	v_pk_fma_f16 v5, v5, v15, v13 op_sel_hi:[1,0,1]
	v_pk_fma_f16 v4, v6, v15, v4 op_sel:[0,1,0]
	v_pk_fma_f16 v12, v7, v15, v5 op_sel:[0,1,0]
	s_waitcnt lgkmcnt(0)
	v_pk_fma_f16 v8, v8, v0, v4 op_sel_hi:[1,0,1]
	ds_read2_b64 v[4:7], v89 offset0:24 offset1:52
	v_pk_fma_f16 v9, v9, v0, v12 op_sel_hi:[1,0,1]
	v_pk_fma_f16 v12, v10, v0, v8 op_sel:[0,1,0]
	v_pk_fma_f16 v0, v11, v0, v9 op_sel:[0,1,0]
	ds_read2_b64 v[8:11], v89 offset0:80 offset1:108
	s_waitcnt lgkmcnt(1)
	v_pk_fma_f16 v4, v4, v1, v12 op_sel_hi:[1,0,1]
	v_pk_fma_f16 v0, v5, v1, v0 op_sel_hi:[1,0,1]
	v_pk_fma_f16 v4, v6, v1, v4 op_sel:[0,1,0]
	v_pk_fma_f16 v0, v7, v1, v0 op_sel:[0,1,0]
	s_waitcnt lgkmcnt(0)
	v_pk_fma_f16 v1, v8, v2, v4 op_sel_hi:[1,0,1]
	ds_read2_b64 v[4:7], v89 offset0:136 offset1:164
	s_waitcnt lgkmcnt(0)
	s_barrier
	s_load_dword s14, s[22:23], 0x4
	v_pk_fma_f16 v0, v9, v2, v0 op_sel_hi:[1,0,1]
	v_pk_fma_f16 v1, v10, v2, v1 op_sel:[0,1,0]
	v_pk_fma_f16 v0, v11, v2, v0 op_sel:[0,1,0]
	v_pk_fma_f16 v1, v4, v3, v1 op_sel_hi:[1,0,1]
	s_waitcnt lgkmcnt(0)
	s_lshl_b32 s14, s14, 5
	v_pk_fma_f16 v0, v5, v3, v0 op_sel_hi:[1,0,1]
	s_add_i32 s40, s14, s40
	v_pk_fma_f16 v61, v6, v3, v1 op_sel:[0,1,0]
	s_cmp_lt_i32 s40, s34
	v_pk_fma_f16 v55, v7, v3, v0 op_sel:[0,1,0]
	s_cbranch_scc0 .LBB13_37
; %bb.30:                               ;   in Loop: Header=BB13_11 Depth=1
	v_mov_b32_e32 v6, v64
	v_mov_b32_e32 v81, v88
	s_branch .LBB13_11
.LBB13_31:                              ;   in Loop: Header=BB13_11 Depth=1
	global_load_dwordx4 v[8:11], v[2:3], off offset:208
	s_waitcnt vmcnt(0)
	ds_write_b128 v71, v[8:11]
	s_or_b64 exec, exec, s[14:15]
	s_and_saveexec_b64 s[14:15], s[4:5]
	s_cbranch_execz .LBB13_19
.LBB13_32:                              ;   in Loop: Header=BB13_11 Depth=1
	v_lshl_add_u64 v[0:1], v[0:1], 0, v[50:51]
	global_load_dwordx4 v[0:3], v[0:1], off offset:176
	s_waitcnt vmcnt(0)
	ds_write_b128 v72, v[0:3]
	s_or_b64 exec, exec, s[14:15]
	s_and_saveexec_b64 s[14:15], s[6:7]
	s_cbranch_execnz .LBB13_20
	s_branch .LBB13_21
.LBB13_33:                              ;   in Loop: Header=BB13_11 Depth=1
	v_lshl_add_u64 v[0:1], v[56:57], 2, s[16:17]
	v_lshl_add_u64 v[0:1], v[0:1], 0, v[50:51]
	global_load_dwordx4 v[0:3], v[0:1], off offset:192
	s_waitcnt vmcnt(0)
	ds_write_b128 v77, v[0:3]
	s_or_b64 exec, exec, s[14:15]
	s_and_saveexec_b64 s[14:15], s[10:11]
	s_cbranch_execz .LBB13_23
.LBB13_34:                              ;   in Loop: Header=BB13_11 Depth=1
	v_lshl_add_u64 v[0:1], v[58:59], 2, s[16:17]
	v_mov_b32_e32 v67, v51
	v_lshl_add_u64 v[0:1], v[0:1], 0, v[66:67]
	global_load_dwordx4 v[0:3], v[0:1], off offset:128
	s_waitcnt vmcnt(0)
	ds_write_b128 v78, v[0:3]
	s_or_b64 exec, exec, s[14:15]
	v_lshlrev_b32_e32 v68, 2, v60
	s_and_saveexec_b64 s[14:15], s[12:13]
	s_cbranch_execnz .LBB13_24
	s_branch .LBB13_25
.LBB13_35:                              ;   in Loop: Header=BB13_11 Depth=1
	v_lshl_add_u64 v[92:93], v[56:57], 2, s[28:29]
	v_lshl_add_u64 v[92:93], v[92:93], 0, v[50:51]
	global_load_dwordx4 v[92:95], v[92:93], off offset:192
	s_waitcnt vmcnt(0)
	ds_write_b128 v77, v[92:95]
	s_or_b64 exec, exec, s[38:39]
	s_and_saveexec_b64 s[38:39], s[10:11]
	s_cbranch_execz .LBB13_27
.LBB13_36:                              ;   in Loop: Header=BB13_11 Depth=1
	v_lshl_add_u64 v[92:93], v[58:59], 2, s[28:29]
	v_mov_b32_e32 v67, v51
	v_lshl_add_u64 v[66:67], v[92:93], 0, v[66:67]
	global_load_dwordx4 v[92:95], v[66:67], off offset:128
	s_waitcnt vmcnt(0)
	ds_write_b128 v78, v[92:95]
	s_or_b64 exec, exec, s[38:39]
	s_and_saveexec_b64 s[38:39], s[12:13]
	s_cbranch_execnz .LBB13_28
	s_branch .LBB13_29
.LBB13_37:
	v_cmp_lt_i32_e32 vcc, v83, v82
	s_cmp_eq_u64 s[20:21], 0
	s_cselect_b64 s[4:5], -1, 0
	v_cndmask_b32_e32 v0, v49, v83, vcc
	v_lshlrev_b32_e32 v0, 2, v0
	ds_bpermute_b32 v0, v0, v88
	v_cmp_lt_i32_e32 vcc, v84, v82
	s_cmp_lg_u32 s3, 0
	s_cselect_b64 s[6:7], -1, 0
	v_cndmask_b32_e32 v1, v49, v84, vcc
	v_lshlrev_b32_e32 v1, 2, v1
	s_waitcnt lgkmcnt(0)
	v_add_f32_e32 v0, v88, v0
	ds_bpermute_b32 v1, v1, v0
	v_cmp_lt_i32_e32 vcc, v85, v82
	s_or_b64 s[4:5], s[6:7], s[4:5]
	s_waitcnt lgkmcnt(0)
	v_add_f32_e32 v0, v0, v1
	v_cndmask_b32_e32 v2, v49, v85, vcc
	v_lshlrev_b32_e32 v2, 2, v2
	ds_bpermute_b32 v1, v2, v0
	v_cmp_lt_i32_e32 vcc, v86, v82
	s_waitcnt lgkmcnt(0)
	v_add_f32_e32 v1, v0, v1
	v_cndmask_b32_e32 v2, v49, v86, vcc
	v_lshlrev_b32_e32 v2, 2, v2
	ds_bpermute_b32 v2, v2, v1
	v_cmp_lt_i32_e32 vcc, v87, v82
	v_add_u32_e32 v0, s35, v45
	s_waitcnt lgkmcnt(0)
	v_add_f32_e32 v1, v1, v2
	v_cndmask_b32_e32 v3, v49, v87, vcc
	v_lshlrev_b32_e32 v3, 2, v3
	ds_bpermute_b32 v2, v3, v1
	s_and_b64 vcc, exec, s[4:5]
	s_waitcnt lgkmcnt(0)
	v_add_f32_e32 v65, v1, v2
	s_cbranch_vccnz .LBB13_39
; %bb.38:
	v_ashrrev_i32_e32 v1, 31, v0
	v_lshl_add_u64 v[2:3], v[0:1], 2, s[20:21]
	global_load_dword v1, v[2:3], off
	v_max_f32_e32 v2, v64, v64
	s_mov_b32 s4, 0x3fb8aa3b
	s_mov_b32 s5, 0xc2ce8ed0
	s_waitcnt vmcnt(0)
	v_max_f32_e32 v3, v1, v1
	v_max_f32_e32 v2, v2, v3
	v_sub_f32_e32 v3, v64, v2
	v_sub_f32_e32 v1, v1, v2
	v_mul_f32_e32 v4, 0x3fb8aa3b, v3
	v_mul_f32_e32 v5, 0x3fb8aa3b, v1
	v_fma_f32 v6, v3, s4, -v4
	v_rndne_f32_e32 v7, v4
	v_fma_f32 v8, v1, s4, -v5
	v_rndne_f32_e32 v9, v5
	v_fmac_f32_e32 v6, 0x32a5705f, v3
	v_sub_f32_e32 v4, v4, v7
	v_fmac_f32_e32 v8, 0x32a5705f, v1
	v_sub_f32_e32 v5, v5, v9
	v_add_f32_e32 v4, v4, v6
	v_cvt_i32_f32_e32 v7, v7
	v_add_f32_e32 v5, v5, v8
	v_exp_f32_e32 v4, v4
	v_cvt_i32_f32_e32 v9, v9
	v_exp_f32_e32 v5, v5
	v_cmp_ngt_f32_e32 vcc, s5, v3
	v_ldexp_f32 v4, v4, v7
	s_mov_b32 s4, 0x42b17218
	v_ldexp_f32 v5, v5, v9
	v_cndmask_b32_e32 v4, 0, v4, vcc
	v_cmp_ngt_f32_e32 vcc, s5, v1
	v_mov_b32_e32 v6, 0x7f800000
	s_nop 0
	v_cndmask_b32_e32 v5, 0, v5, vcc
	v_cmp_nlt_f32_e32 vcc, s4, v3
	s_nop 1
	v_cndmask_b32_e32 v4, v6, v4, vcc
	v_cvt_f16_f32_e32 v7, v4
	v_cmp_nlt_f32_e32 vcc, s4, v1
	v_pk_mul_f16 v61, v7, v61 op_sel_hi:[0,1]
	s_nop 0
	v_cndmask_b32_e32 v3, v6, v5, vcc
	v_fmac_f32_e32 v3, v65, v4
	v_pk_mul_f16 v55, v7, v55 op_sel_hi:[0,1]
	v_mov_b64_e32 v[64:65], v[2:3]
	s_branch .LBB13_40
.LBB13_39:
	v_mov_b32_e32 v3, v65
.LBB13_40:
	s_load_dword s6, s[0:1], 0xd4
	s_mul_i32 s4, s33, s30
	s_waitcnt lgkmcnt(0)
	s_cmp_lg_u32 s6, 1
	s_cselect_b64 s[0:1], -1, 0
	s_add_i32 s4, s4, s2
	v_add_u32_e32 v1, s4, v41
	v_mad_u64_u32 v[0:1], s[4:5], v1, s31, v[0:1]
	v_mul_lo_u32 v0, s6, v0
	v_add_u32_e32 v0, s3, v0
	s_and_saveexec_b64 s[2:3], s[18:19]
	s_cbranch_execz .LBB13_42
; %bb.41:
	v_div_scale_f32 v1, s[4:5], v3, v3, 1.0
	v_rcp_f32_e32 v2, v1
	v_cvt_f32_f16_sdwa v9, v61 dst_sel:DWORD dst_unused:UNUSED_PAD src0_sel:WORD_1
	v_cvt_f32_f16_sdwa v11, v55 dst_sel:DWORD dst_unused:UNUSED_PAD src0_sel:WORD_1
	v_cvt_f32_f16_e32 v10, v55
	v_fma_f32 v6, -v1, v2, 1.0
	v_fmac_f32_e32 v2, v6, v2
	v_div_scale_f32 v6, vcc, 1.0, v3, 1.0
	v_mul_f32_e32 v7, v6, v2
	v_fma_f32 v8, -v1, v7, v6
	v_fmac_f32_e32 v7, v8, v2
	v_fma_f32 v1, -v1, v7, v6
	v_div_fmas_f32 v1, v1, v2, v7
	v_cvt_f32_f16_e32 v8, v61
	v_div_fixup_f32 v1, v1, v3, 1.0
	s_movk_i32 s4, 0x70
	v_cndmask_b32_e64 v6, v1, 1.0, s[0:1]
	v_mul_lo_u32 v1, v0, s4
	v_mov_b32_e32 v4, s24
	v_mov_b32_e32 v5, s25
	v_lshl_add_u32 v2, v40, 2, v1
	v_mov_b32_e32 v3, 0
	v_lshl_add_u64 v[12:13], v[2:3], 2, v[4:5]
	v_pk_mul_f32 v[2:3], v[6:7], v[8:9] op_sel_hi:[0,1]
	v_pk_mul_f32 v[4:5], v[6:7], v[10:11] op_sel_hi:[0,1]
	global_store_dwordx4 v[12:13], v[2:5], off
.LBB13_42:
	s_or_b64 exec, exec, s[2:3]
	v_cmp_eq_u32_e32 vcc, 0, v40
	s_and_b64 s[0:1], vcc, s[0:1]
	s_and_saveexec_b64 s[2:3], s[0:1]
	s_cbranch_execz .LBB13_44
; %bb.43:
	v_mov_b32_e32 v2, s26
	v_mov_b32_e32 v3, s27
	v_ashrrev_i32_e32 v1, 31, v0
	v_lshl_add_u64 v[0:1], v[0:1], 3, v[2:3]
	global_store_dwordx2 v[0:1], v[64:65], off
.LBB13_44:
	s_endpgm
	.section	.rodata,"a",@progbits
	.p2align	6, 0x0
	.amdhsa_kernel _ZL15flash_attn_tileILi112ELi112ELi1ELi8ELb0EEvPKcS1_S1_S1_S1_PKiPfP15HIP_vector_typeIfLj2EEffffjfiS5_IjLj3EEiiiiiiiiiiiliiliiiiil
		.amdhsa_group_segment_fixed_size 6464
		.amdhsa_private_segment_fixed_size 0
		.amdhsa_kernarg_size 464
		.amdhsa_user_sgpr_count 2
		.amdhsa_user_sgpr_dispatch_ptr 0
		.amdhsa_user_sgpr_queue_ptr 0
		.amdhsa_user_sgpr_kernarg_segment_ptr 1
		.amdhsa_user_sgpr_dispatch_id 0
		.amdhsa_user_sgpr_kernarg_preload_length 0
		.amdhsa_user_sgpr_kernarg_preload_offset 0
		.amdhsa_user_sgpr_private_segment_size 0
		.amdhsa_uses_dynamic_stack 0
		.amdhsa_enable_private_segment 0
		.amdhsa_system_sgpr_workgroup_id_x 1
		.amdhsa_system_sgpr_workgroup_id_y 1
		.amdhsa_system_sgpr_workgroup_id_z 1
		.amdhsa_system_sgpr_workgroup_info 0
		.amdhsa_system_vgpr_workitem_id 1
		.amdhsa_next_free_vgpr 96
		.amdhsa_next_free_sgpr 50
		.amdhsa_accum_offset 96
		.amdhsa_reserve_vcc 1
		.amdhsa_float_round_mode_32 0
		.amdhsa_float_round_mode_16_64 0
		.amdhsa_float_denorm_mode_32 3
		.amdhsa_float_denorm_mode_16_64 3
		.amdhsa_dx10_clamp 1
		.amdhsa_ieee_mode 1
		.amdhsa_fp16_overflow 0
		.amdhsa_tg_split 0
		.amdhsa_exception_fp_ieee_invalid_op 0
		.amdhsa_exception_fp_denorm_src 0
		.amdhsa_exception_fp_ieee_div_zero 0
		.amdhsa_exception_fp_ieee_overflow 0
		.amdhsa_exception_fp_ieee_underflow 0
		.amdhsa_exception_fp_ieee_inexact 0
		.amdhsa_exception_int_div_zero 0
	.end_amdhsa_kernel
	.section	.text._ZL15flash_attn_tileILi112ELi112ELi1ELi8ELb0EEvPKcS1_S1_S1_S1_PKiPfP15HIP_vector_typeIfLj2EEffffjfiS5_IjLj3EEiiiiiiiiiiiliiliiiiil,"axG",@progbits,_ZL15flash_attn_tileILi112ELi112ELi1ELi8ELb0EEvPKcS1_S1_S1_S1_PKiPfP15HIP_vector_typeIfLj2EEffffjfiS5_IjLj3EEiiiiiiiiiiiliiliiiiil,comdat
.Lfunc_end13:
	.size	_ZL15flash_attn_tileILi112ELi112ELi1ELi8ELb0EEvPKcS1_S1_S1_S1_PKiPfP15HIP_vector_typeIfLj2EEffffjfiS5_IjLj3EEiiiiiiiiiiiliiliiiiil, .Lfunc_end13-_ZL15flash_attn_tileILi112ELi112ELi1ELi8ELb0EEvPKcS1_S1_S1_S1_PKiPfP15HIP_vector_typeIfLj2EEffffjfiS5_IjLj3EEiiiiiiiiiiiliiliiiiil
                                        ; -- End function
	.section	.AMDGPU.csdata,"",@progbits
; Kernel info:
; codeLenInByte = 5232
; NumSgprs: 56
; NumVgprs: 96
; NumAgprs: 0
; TotalNumVgprs: 96
; ScratchSize: 0
; MemoryBound: 0
; FloatMode: 240
; IeeeMode: 1
; LDSByteSize: 6464 bytes/workgroup (compile time only)
; SGPRBlocks: 6
; VGPRBlocks: 11
; NumSGPRsForWavesPerEU: 56
; NumVGPRsForWavesPerEU: 96
; AccumOffset: 96
; Occupancy: 5
; WaveLimiterHint : 1
; COMPUTE_PGM_RSRC2:SCRATCH_EN: 0
; COMPUTE_PGM_RSRC2:USER_SGPR: 2
; COMPUTE_PGM_RSRC2:TRAP_HANDLER: 0
; COMPUTE_PGM_RSRC2:TGID_X_EN: 1
; COMPUTE_PGM_RSRC2:TGID_Y_EN: 1
; COMPUTE_PGM_RSRC2:TGID_Z_EN: 1
; COMPUTE_PGM_RSRC2:TIDIG_COMP_CNT: 1
; COMPUTE_PGM_RSRC3_GFX90A:ACCUM_OFFSET: 23
; COMPUTE_PGM_RSRC3_GFX90A:TG_SPLIT: 0
	.section	.text._ZL25flash_attn_mask_to_KV_maxILi1EEvPK7__half2Piiii,"axG",@progbits,_ZL25flash_attn_mask_to_KV_maxILi1EEvPK7__half2Piiii,comdat
	.globl	_ZL25flash_attn_mask_to_KV_maxILi1EEvPK7__half2Piiii ; -- Begin function _ZL25flash_attn_mask_to_KV_maxILi1EEvPK7__half2Piiii
	.p2align	8
	.type	_ZL25flash_attn_mask_to_KV_maxILi1EEvPK7__half2Piiii,@function
_ZL25flash_attn_mask_to_KV_maxILi1EEvPK7__half2Piiii: ; @_ZL25flash_attn_mask_to_KV_maxILi1EEvPK7__half2Piiii
; %bb.0:
	s_load_dwordx4 s[4:7], s[0:1], 0x0
	v_cmp_gt_u32_e32 vcc, 32, v0
	s_and_saveexec_b64 s[8:9], vcc
	s_cbranch_execz .LBB14_2
; %bb.1:
	v_lshlrev_b32_e32 v1, 2, v0
	v_mov_b32_e32 v2, 1
	ds_write_b32 v1, v2
.LBB14_2:
	s_or_b64 exec, exec, s[8:9]
	s_load_dwordx4 s[16:19], s[0:1], 0x10
	s_load_dword s14, s[0:1], 0x20
	v_and_b32_e32 v2, 31, v0
	v_cmp_eq_u32_e32 vcc, 0, v2
	v_lshlrev_b32_e32 v4, 2, v2
	s_waitcnt lgkmcnt(0)
	s_mul_i32 s0, s3, s18
	s_mul_i32 s1, s2, s17
	s_add_i32 s0, s0, s1
	s_ashr_i32 s1, s0, 31
	v_mbcnt_lo_u32_b32 v2, -1, 0
	s_lshl_b64 s[0:1], s[0:1], 2
	v_mbcnt_hi_u32_b32 v5, -1, v2
	s_add_u32 s8, s4, s0
	v_and_b32_e32 v2, 0x60, v5
	s_addc_u32 s9, s5, s1
	s_lshl_b32 s15, s16, 8
	v_lshrrev_b32_e32 v1, 3, v0
	s_mov_b64 s[10:11], 0
	v_mov_b32_e32 v3, 0
	s_movk_i32 s16, 0x204
	s_movk_i32 s17, 0x7fff
	;; [unrolled: 1-line block ×3, first 2 shown]
	v_add_u32_e32 v6, 32, v2
	v_xor_b32_e32 v7, 16, v5
	v_xor_b32_e32 v8, 8, v5
	;; [unrolled: 1-line block ×5, first 2 shown]
	s_barrier
	s_waitcnt lgkmcnt(0)
                                        ; implicit-def: $sgpr0_sgpr1
	s_branch .LBB14_5
.LBB14_3:                               ;   in Loop: Header=BB14_5 Depth=1
	s_or_b64 exec, exec, s[4:5]
	s_waitcnt lgkmcnt(0)
	s_barrier
	ds_read_b32 v16, v4
	s_waitcnt lgkmcnt(0)
	s_barrier
	ds_bpermute_b32 v2, v2, v16
	v_cmp_ne_u32_e64 s[0:1], 0, v16
	s_waitcnt lgkmcnt(0)
	v_cmp_ne_u32_e64 s[4:5], 0, v2
	s_and_b64 s[4:5], s[0:1], s[4:5]
	s_nop 0
	v_cndmask_b32_e64 v2, 0, 1, s[4:5]
	ds_bpermute_b32 v2, v12, v2
	s_waitcnt lgkmcnt(0)
	v_cmp_ne_u32_e64 s[0:1], 0, v2
	s_and_b64 s[4:5], s[0:1], s[4:5]
	v_cndmask_b32_e64 v2, 0, 1, s[4:5]
	ds_bpermute_b32 v2, v13, v2
	s_waitcnt lgkmcnt(0)
	v_cmp_ne_u32_e64 s[0:1], 0, v2
	s_and_b64 s[4:5], s[0:1], s[4:5]
	;; [unrolled: 5-line block ×3, first 2 shown]
	s_nop 0
	v_cndmask_b32_e64 v2, 0, 1, s[0:1]
	ds_bpermute_b32 v2, v15, v2
	s_xor_b64 s[4:5], s[0:1], -1
	s_waitcnt lgkmcnt(0)
	v_cmp_eq_u32_e64 s[0:1], 0, v2
	s_or_b64 s[0:1], s[0:1], s[4:5]
.LBB14_4:                               ;   in Loop: Header=BB14_5 Depth=1
	s_and_b64 s[4:5], exec, s[0:1]
	s_or_b64 s[10:11], s[4:5], s[10:11]
	v_mov_b32_e32 v2, s15
	s_mov_b32 s15, s19
	s_andn2_b64 exec, exec, s[10:11]
	s_cbranch_execz .LBB14_8
.LBB14_5:                               ; =>This Inner Loop Header: Depth=1
	s_add_i32 s19, s15, 0xffffff00
	s_or_b64 s[0:1], s[0:1], exec
	s_cmp_lt_i32 s19, 0
	s_cbranch_scc1 .LBB14_4
; %bb.6:                                ;   in Loop: Header=BB14_5 Depth=1
	s_lshr_b32 s0, s19, 1
	v_add_u32_e32 v2, s0, v0
	v_lshl_add_u64 v[12:13], v[2:3], 2, s[8:9]
	global_load_dword v12, v[12:13], off
	v_cmp_lt_i32_e64 s[0:1], v7, v6
	s_waitcnt vmcnt(0)
	v_cmp_class_f16_e64 s[4:5], v12, s16
	v_and_b32_sdwa v12, s17, v12 dst_sel:DWORD dst_unused:UNUSED_PAD src0_sel:DWORD src1_sel:WORD_1
	v_cndmask_b32_e64 v2, v5, v7, s[0:1]
	v_cmp_eq_f16_e64 s[0:1], s18, v12
	s_and_b64 s[4:5], s[4:5], s[0:1]
	v_lshlrev_b32_e32 v2, 2, v2
	v_cndmask_b32_e64 v12, 0, 1, s[4:5]
	ds_bpermute_b32 v13, v2, v12
	v_cmp_lt_i32_e64 s[0:1], v8, v6
	s_nop 1
	v_cndmask_b32_e64 v12, v5, v8, s[0:1]
	s_waitcnt lgkmcnt(0)
	v_cmp_ne_u32_e64 s[0:1], 0, v13
	s_and_b64 s[4:5], s[4:5], s[0:1]
	v_lshlrev_b32_e32 v12, 2, v12
	v_cndmask_b32_e64 v13, 0, 1, s[4:5]
	ds_bpermute_b32 v14, v12, v13
	v_cmp_lt_i32_e64 s[0:1], v9, v6
	s_nop 1
	v_cndmask_b32_e64 v13, v5, v9, s[0:1]
	s_waitcnt lgkmcnt(0)
	v_cmp_ne_u32_e64 s[0:1], 0, v14
	;; [unrolled: 9-line block ×4, first 2 shown]
	s_and_b64 s[12:13], s[0:1], s[4:5]
	v_cndmask_b32_e64 v17, 0, 1, s[12:13]
	v_lshlrev_b32_e32 v15, 2, v16
	ds_bpermute_b32 v16, v15, v17
	s_and_saveexec_b64 s[4:5], vcc
	s_cbranch_execz .LBB14_3
; %bb.7:                                ;   in Loop: Header=BB14_5 Depth=1
	s_waitcnt lgkmcnt(0)
	v_cmp_ne_u32_e64 s[0:1], 0, v16
	s_and_b64 s[0:1], s[0:1], s[12:13]
	s_nop 0
	v_cndmask_b32_e64 v16, 0, 1, s[0:1]
	ds_write_b32 v1, v16
	s_branch .LBB14_3
.LBB14_8:
	s_or_b64 exec, exec, s[10:11]
	v_cmp_eq_u32_e32 vcc, 0, v0
	s_and_saveexec_b64 s[0:1], vcc
	s_cbranch_execz .LBB14_10
; %bb.9:
	s_mul_i32 s0, s14, s3
	s_add_i32 s0, s0, s2
	s_ashr_i32 s1, s0, 31
	s_lshl_b64 s[0:1], s[0:1], 2
	s_add_u32 s0, s6, s0
	s_addc_u32 s1, s7, s1
	v_mov_b32_e32 v0, 0
	global_store_dword v0, v2, s[0:1]
.LBB14_10:
	s_endpgm
	.section	.rodata,"a",@progbits
	.p2align	6, 0x0
	.amdhsa_kernel _ZL25flash_attn_mask_to_KV_maxILi1EEvPK7__half2Piiii
		.amdhsa_group_segment_fixed_size 128
		.amdhsa_private_segment_fixed_size 0
		.amdhsa_kernarg_size 288
		.amdhsa_user_sgpr_count 2
		.amdhsa_user_sgpr_dispatch_ptr 0
		.amdhsa_user_sgpr_queue_ptr 0
		.amdhsa_user_sgpr_kernarg_segment_ptr 1
		.amdhsa_user_sgpr_dispatch_id 0
		.amdhsa_user_sgpr_kernarg_preload_length 0
		.amdhsa_user_sgpr_kernarg_preload_offset 0
		.amdhsa_user_sgpr_private_segment_size 0
		.amdhsa_uses_dynamic_stack 0
		.amdhsa_enable_private_segment 0
		.amdhsa_system_sgpr_workgroup_id_x 1
		.amdhsa_system_sgpr_workgroup_id_y 1
		.amdhsa_system_sgpr_workgroup_id_z 0
		.amdhsa_system_sgpr_workgroup_info 0
		.amdhsa_system_vgpr_workitem_id 0
		.amdhsa_next_free_vgpr 18
		.amdhsa_next_free_sgpr 20
		.amdhsa_accum_offset 20
		.amdhsa_reserve_vcc 1
		.amdhsa_float_round_mode_32 0
		.amdhsa_float_round_mode_16_64 0
		.amdhsa_float_denorm_mode_32 3
		.amdhsa_float_denorm_mode_16_64 3
		.amdhsa_dx10_clamp 1
		.amdhsa_ieee_mode 1
		.amdhsa_fp16_overflow 0
		.amdhsa_tg_split 0
		.amdhsa_exception_fp_ieee_invalid_op 0
		.amdhsa_exception_fp_denorm_src 0
		.amdhsa_exception_fp_ieee_div_zero 0
		.amdhsa_exception_fp_ieee_overflow 0
		.amdhsa_exception_fp_ieee_underflow 0
		.amdhsa_exception_fp_ieee_inexact 0
		.amdhsa_exception_int_div_zero 0
	.end_amdhsa_kernel
	.section	.text._ZL25flash_attn_mask_to_KV_maxILi1EEvPK7__half2Piiii,"axG",@progbits,_ZL25flash_attn_mask_to_KV_maxILi1EEvPK7__half2Piiii,comdat
.Lfunc_end14:
	.size	_ZL25flash_attn_mask_to_KV_maxILi1EEvPK7__half2Piiii, .Lfunc_end14-_ZL25flash_attn_mask_to_KV_maxILi1EEvPK7__half2Piiii
                                        ; -- End function
	.section	.AMDGPU.csdata,"",@progbits
; Kernel info:
; codeLenInByte = 852
; NumSgprs: 26
; NumVgprs: 18
; NumAgprs: 0
; TotalNumVgprs: 18
; ScratchSize: 0
; MemoryBound: 0
; FloatMode: 240
; IeeeMode: 1
; LDSByteSize: 128 bytes/workgroup (compile time only)
; SGPRBlocks: 3
; VGPRBlocks: 2
; NumSGPRsForWavesPerEU: 26
; NumVGPRsForWavesPerEU: 18
; AccumOffset: 20
; Occupancy: 8
; WaveLimiterHint : 0
; COMPUTE_PGM_RSRC2:SCRATCH_EN: 0
; COMPUTE_PGM_RSRC2:USER_SGPR: 2
; COMPUTE_PGM_RSRC2:TRAP_HANDLER: 0
; COMPUTE_PGM_RSRC2:TGID_X_EN: 1
; COMPUTE_PGM_RSRC2:TGID_Y_EN: 1
; COMPUTE_PGM_RSRC2:TGID_Z_EN: 0
; COMPUTE_PGM_RSRC2:TIDIG_COMP_CNT: 0
; COMPUTE_PGM_RSRC3_GFX90A:ACCUM_OFFSET: 4
; COMPUTE_PGM_RSRC3_GFX90A:TG_SPLIT: 0
	.section	.text._ZL33flash_attn_stream_k_fixup_uniformILi112ELi1ELi8EEvPfPK15HIP_vector_typeIfLj2EEiiiiiiS1_IjLj3EES5_S5_,"axG",@progbits,_ZL33flash_attn_stream_k_fixup_uniformILi112ELi1ELi8EEvPfPK15HIP_vector_typeIfLj2EEiiiiiiS1_IjLj3EES5_S5_,comdat
	.globl	_ZL33flash_attn_stream_k_fixup_uniformILi112ELi1ELi8EEvPfPK15HIP_vector_typeIfLj2EEiiiiiiS1_IjLj3EES5_S5_ ; -- Begin function _ZL33flash_attn_stream_k_fixup_uniformILi112ELi1ELi8EEvPfPK15HIP_vector_typeIfLj2EEiiiiiiS1_IjLj3EES5_S5_
	.p2align	8
	.type	_ZL33flash_attn_stream_k_fixup_uniformILi112ELi1ELi8EEvPfPK15HIP_vector_typeIfLj2EEiiiiiiS1_IjLj3EES5_S5_,@function
_ZL33flash_attn_stream_k_fixup_uniformILi112ELi1ELi8EEvPfPK15HIP_vector_typeIfLj2EEiiiiiiS1_IjLj3EES5_S5_: ; @_ZL33flash_attn_stream_k_fixup_uniformILi112ELi1ELi8EEvPfPK15HIP_vector_typeIfLj2EEiiiiiiS1_IjLj3EES5_S5_
; %bb.0:
	s_load_dwordx8 s[8:15], s[0:1], 0x1c
	s_load_dwordx2 s[6:7], s[0:1], 0x10
	s_load_dwordx4 s[16:19], s[0:1], 0x3c
	s_waitcnt lgkmcnt(0)
	s_mul_hi_u32 s5, s11, s2
	s_add_i32 s5, s2, s5
	s_lshr_b32 s5, s5, s12
	s_mul_i32 s11, s5, s13
	s_sub_i32 s12, s2, s11
	s_mul_hi_u32 s11, s12, s14
	s_add_i32 s11, s12, s11
	s_lshr_b32 s11, s11, s15
	s_mul_i32 s13, s11, s16
	s_sub_i32 s12, s12, s13
	;; [unrolled: 5-line block ×3, first 2 shown]
	s_lshl_b32 s16, s13, 3
	s_add_i32 s17, s17, s3
	s_cmp_lt_i32 s17, s6
	s_cselect_b64 s[12:13], -1, 0
	s_add_i32 s16, s16, s4
	s_cmp_lt_i32 s16, s9
	s_cselect_b64 s[14:15], -1, 0
	s_and_b64 s[12:13], s[12:13], s[14:15]
	s_andn2_b64 vcc, exec, s[12:13]
	s_cbranch_vccnz .LBB15_6
; %bb.1:
	s_mul_i32 s5, s5, s6
	s_load_dwordx4 s[12:15], s[0:1], 0x0
	s_mul_i32 s11, s11, s9
	s_add_i32 s0, s17, s5
	s_mul_i32 s0, s0, s7
	s_add_i32 s1, s16, s11
	s_add_i32 s0, s1, s0
	s_mulk_i32 s0, 0x70
	v_add_u32_e32 v4, s0, v0
	s_waitcnt lgkmcnt(0)
	v_mov_b32_e32 v2, s12
	v_mov_b32_e32 v3, s13
	v_ashrrev_i32_e32 v5, 31, v4
	v_lshl_add_u64 v[2:3], v[4:5], 2, v[2:3]
	global_load_dword v7, v[2:3], off
	s_mul_i32 s5, s2, s10
	s_add_i32 s11, s5, s10
	s_add_i32 s0, s3, s11
	s_lshl_b32 s0, s0, 3
	s_add_i32 s0, s0, s4
	s_add_i32 s0, s0, -8
	s_ashr_i32 s1, s0, 31
	s_lshl_b64 s[0:1], s[0:1], 3
	s_add_u32 s0, s14, s0
	s_addc_u32 s1, s15, s1
	s_load_dword s12, s[0:1], 0x4
	s_add_i32 s6, s11, -2
	s_cmp_lt_i32 s6, s5
	s_cbranch_scc1 .LBB15_4
; %bb.2:
	s_lshl_b32 s6, s8, 5
	s_ashr_i32 s7, s6, 31
	s_lshl_b64 s[6:7], s[6:7], 2
	s_add_u32 s6, s14, s6
	s_addc_u32 s7, s15, s7
	s_add_i32 s2, s2, 1
	s_load_dword s0, s[0:1], 0x0
	s_mul_i32 s1, s10, s2
	s_mul_i32 s2, s3, 0x380
	;; [unrolled: 1-line block ×3, first 2 shown]
	s_mulk_i32 s1, 0x380
	s_add_i32 s2, s10, s2
	s_add_i32 s2, s2, s1
	;; [unrolled: 1-line block ×4, first 2 shown]
	s_lshl_b32 s1, s1, 3
	v_add_u32_e32 v0, s2, v0
	s_add_i32 s1, s4, s1
	s_add_i32 s9, s11, -1
	v_add_u32_e32 v0, 0xfffff900, v0
	s_add_i32 s2, s1, -16
	s_waitcnt lgkmcnt(0)
	v_mov_b32_e32 v6, s12
	v_mov_b32_e32 v5, s0
	s_mov_b32 s4, 0x3fb8aa3b
	s_mov_b32 s8, 0xc2ce8ed0
	;; [unrolled: 1-line block ×3, first 2 shown]
	v_mov_b32_e32 v4, 0x7f800000
	s_mov_b32 s11, 0xc1a00000
.LBB15_3:                               ; =>This Inner Loop Header: Depth=1
	v_ashrrev_i32_e32 v1, 31, v0
	v_lshl_add_u64 v[8:9], v[0:1], 2, s[6:7]
	global_load_dword v1, v[8:9], off
	s_ashr_i32 s3, s2, 31
	s_lshl_b64 s[0:1], s[2:3], 3
	s_add_u32 s0, s14, s0
	s_addc_u32 s1, s15, s1
	s_load_dwordx2 s[12:13], s[0:1], 0x0
	s_waitcnt vmcnt(1)
	v_mov_b32_e32 v8, v7
	v_max_f32_e32 v7, v5, v5
	v_mov_b32_e32 v9, v6
	s_add_i32 s9, s9, -1
	s_waitcnt lgkmcnt(0)
	v_max_f32_e64 v6, s12, s12
	v_max_f32_e32 v6, v7, v6
	v_sub_f32_e32 v10, s12, v6
	v_sub_f32_e32 v7, v5, v6
	v_mul_f32_e32 v11, 0x3fb8aa3b, v10
	v_mov_b32_e32 v5, v6
	v_mul_f32_e32 v6, 0x3fb8aa3b, v7
	v_fma_f32 v14, v10, s4, -v11
	v_rndne_f32_e32 v15, v11
	v_fma_f32 v12, v7, s4, -v6
	v_rndne_f32_e32 v13, v6
	v_fmac_f32_e32 v14, 0x32a5705f, v10
	v_sub_f32_e32 v11, v11, v15
	v_fmac_f32_e32 v12, 0x32a5705f, v7
	v_sub_f32_e32 v6, v6, v13
	v_add_f32_e32 v11, v11, v14
	v_cvt_i32_f32_e32 v15, v15
	v_add_f32_e32 v6, v6, v12
	v_exp_f32_e32 v11, v11
	v_cvt_i32_f32_e32 v13, v13
	v_exp_f32_e32 v6, v6
	v_cmp_ngt_f32_e32 vcc, s8, v10
	v_ldexp_f32 v11, v11, v15
	v_cmp_ngt_f32_e64 s[0:1], s8, v7
	v_ldexp_f32 v6, v6, v13
	v_cndmask_b32_e32 v11, 0, v11, vcc
	v_cmp_nlt_f32_e32 vcc, s10, v10
	v_cndmask_b32_e64 v6, 0, v6, s[0:1]
	v_cmp_nlt_f32_e64 s[0:1], s10, v7
	v_cndmask_b32_e32 v11, v4, v11, vcc
	v_cmp_le_f32_e32 vcc, s11, v10
	v_cndmask_b32_e64 v6, v4, v6, s[0:1]
	v_cmp_le_f32_e64 s[0:1], s11, v7
	v_cndmask_b32_e32 v7, 0, v11, vcc
	s_add_i32 s2, s2, -8
	v_cndmask_b32_e64 v10, 0, v6, s[0:1]
	v_mul_f32_e32 v6, s13, v7
	v_add_u32_e32 v0, 0xfffffc80, v0
	s_cmp_le_i32 s9, s5
	v_fmac_f32_e32 v6, v9, v10
	s_waitcnt vmcnt(0)
	v_mul_f32_e32 v7, v1, v7
	v_fmac_f32_e32 v7, v8, v10
	s_cbranch_scc0 .LBB15_3
	s_branch .LBB15_5
.LBB15_4:
	s_waitcnt lgkmcnt(0)
	v_mov_b32_e32 v6, s12
.LBB15_5:
	s_waitcnt vmcnt(0)
	v_div_scale_f32 v0, s[0:1], v6, v6, v7
	v_rcp_f32_e32 v1, v0
	v_div_scale_f32 v4, vcc, v7, v6, v7
	v_fma_f32 v5, -v0, v1, 1.0
	v_fmac_f32_e32 v1, v5, v1
	v_mul_f32_e32 v5, v4, v1
	v_fma_f32 v8, -v0, v5, v4
	v_fmac_f32_e32 v5, v8, v1
	v_fma_f32 v0, -v0, v5, v4
	v_div_fmas_f32 v0, v0, v1, v5
	v_div_fixup_f32 v0, v0, v6, v7
	global_store_dword v[2:3], v0, off
.LBB15_6:
	s_endpgm
	.section	.rodata,"a",@progbits
	.p2align	6, 0x0
	.amdhsa_kernel _ZL33flash_attn_stream_k_fixup_uniformILi112ELi1ELi8EEvPfPK15HIP_vector_typeIfLj2EEiiiiiiS1_IjLj3EES5_S5_
		.amdhsa_group_segment_fixed_size 0
		.amdhsa_private_segment_fixed_size 0
		.amdhsa_kernarg_size 76
		.amdhsa_user_sgpr_count 2
		.amdhsa_user_sgpr_dispatch_ptr 0
		.amdhsa_user_sgpr_queue_ptr 0
		.amdhsa_user_sgpr_kernarg_segment_ptr 1
		.amdhsa_user_sgpr_dispatch_id 0
		.amdhsa_user_sgpr_kernarg_preload_length 0
		.amdhsa_user_sgpr_kernarg_preload_offset 0
		.amdhsa_user_sgpr_private_segment_size 0
		.amdhsa_uses_dynamic_stack 0
		.amdhsa_enable_private_segment 0
		.amdhsa_system_sgpr_workgroup_id_x 1
		.amdhsa_system_sgpr_workgroup_id_y 1
		.amdhsa_system_sgpr_workgroup_id_z 1
		.amdhsa_system_sgpr_workgroup_info 0
		.amdhsa_system_vgpr_workitem_id 0
		.amdhsa_next_free_vgpr 16
		.amdhsa_next_free_sgpr 20
		.amdhsa_accum_offset 16
		.amdhsa_reserve_vcc 1
		.amdhsa_float_round_mode_32 0
		.amdhsa_float_round_mode_16_64 0
		.amdhsa_float_denorm_mode_32 3
		.amdhsa_float_denorm_mode_16_64 3
		.amdhsa_dx10_clamp 1
		.amdhsa_ieee_mode 1
		.amdhsa_fp16_overflow 0
		.amdhsa_tg_split 0
		.amdhsa_exception_fp_ieee_invalid_op 0
		.amdhsa_exception_fp_denorm_src 0
		.amdhsa_exception_fp_ieee_div_zero 0
		.amdhsa_exception_fp_ieee_overflow 0
		.amdhsa_exception_fp_ieee_underflow 0
		.amdhsa_exception_fp_ieee_inexact 0
		.amdhsa_exception_int_div_zero 0
	.end_amdhsa_kernel
	.section	.text._ZL33flash_attn_stream_k_fixup_uniformILi112ELi1ELi8EEvPfPK15HIP_vector_typeIfLj2EEiiiiiiS1_IjLj3EES5_S5_,"axG",@progbits,_ZL33flash_attn_stream_k_fixup_uniformILi112ELi1ELi8EEvPfPK15HIP_vector_typeIfLj2EEiiiiiiS1_IjLj3EES5_S5_,comdat
.Lfunc_end15:
	.size	_ZL33flash_attn_stream_k_fixup_uniformILi112ELi1ELi8EEvPfPK15HIP_vector_typeIfLj2EEiiiiiiS1_IjLj3EES5_S5_, .Lfunc_end15-_ZL33flash_attn_stream_k_fixup_uniformILi112ELi1ELi8EEvPfPK15HIP_vector_typeIfLj2EEiiiiiiS1_IjLj3EES5_S5_
                                        ; -- End function
	.section	.AMDGPU.csdata,"",@progbits
; Kernel info:
; codeLenInByte = 820
; NumSgprs: 26
; NumVgprs: 16
; NumAgprs: 0
; TotalNumVgprs: 16
; ScratchSize: 0
; MemoryBound: 0
; FloatMode: 240
; IeeeMode: 1
; LDSByteSize: 0 bytes/workgroup (compile time only)
; SGPRBlocks: 3
; VGPRBlocks: 1
; NumSGPRsForWavesPerEU: 26
; NumVGPRsForWavesPerEU: 16
; AccumOffset: 16
; Occupancy: 8
; WaveLimiterHint : 0
; COMPUTE_PGM_RSRC2:SCRATCH_EN: 0
; COMPUTE_PGM_RSRC2:USER_SGPR: 2
; COMPUTE_PGM_RSRC2:TRAP_HANDLER: 0
; COMPUTE_PGM_RSRC2:TGID_X_EN: 1
; COMPUTE_PGM_RSRC2:TGID_Y_EN: 1
; COMPUTE_PGM_RSRC2:TGID_Z_EN: 1
; COMPUTE_PGM_RSRC2:TIDIG_COMP_CNT: 0
; COMPUTE_PGM_RSRC3_GFX90A:ACCUM_OFFSET: 3
; COMPUTE_PGM_RSRC3_GFX90A:TG_SPLIT: 0
	.section	.text._ZL33flash_attn_stream_k_fixup_generalILi112ELi1ELi8EEvPfPK15HIP_vector_typeIfLj2EEiiiiS1_IjLj3EES5_S5_S5_,"axG",@progbits,_ZL33flash_attn_stream_k_fixup_generalILi112ELi1ELi8EEvPfPK15HIP_vector_typeIfLj2EEiiiiS1_IjLj3EES5_S5_S5_,comdat
	.globl	_ZL33flash_attn_stream_k_fixup_generalILi112ELi1ELi8EEvPfPK15HIP_vector_typeIfLj2EEiiiiS1_IjLj3EES5_S5_S5_ ; -- Begin function _ZL33flash_attn_stream_k_fixup_generalILi112ELi1ELi8EEvPfPK15HIP_vector_typeIfLj2EEiiiiS1_IjLj3EES5_S5_S5_
	.p2align	8
	.type	_ZL33flash_attn_stream_k_fixup_generalILi112ELi1ELi8EEvPfPK15HIP_vector_typeIfLj2EEiiiiS1_IjLj3EES5_S5_S5_,@function
_ZL33flash_attn_stream_k_fixup_generalILi112ELi1ELi8EEvPfPK15HIP_vector_typeIfLj2EEiiiiS1_IjLj3EES5_S5_S5_: ; @_ZL33flash_attn_stream_k_fixup_generalILi112ELi1ELi8EEvPfPK15HIP_vector_typeIfLj2EEiiiiS1_IjLj3EES5_S5_S5_
; %bb.0:
	s_load_dwordx4 s[12:15], s[0:1], 0x10
	s_load_dword s5, s[0:1], 0x50
	s_mov_b32 s8, 0
	s_waitcnt lgkmcnt(0)
	s_mul_hi_i32 s9, s15, s2
	s_cmp_lg_u64 s[8:9], 0
	s_mul_i32 s8, s15, s2
	s_cbranch_scc0 .LBB16_21
; %bb.1:
	v_cvt_f32_u32_e32 v1, s5
	v_cvt_f32_ubyte0_e32 v2, 0
	s_sub_u32 s10, 0, s5
	s_subb_u32 s11, 0, 0
	v_fmamk_f32 v1, v2, 0x4f800000, v1
	v_rcp_f32_e32 v1, v1
	s_nop 0
	v_mul_f32_e32 v1, 0x5f7ffffc, v1
	v_mul_f32_e32 v2, 0x2f800000, v1
	v_trunc_f32_e32 v2, v2
	v_fmamk_f32 v1, v2, 0xcf800000, v1
	v_cvt_u32_f32_e32 v2, v2
	v_cvt_u32_f32_e32 v1, v1
	v_readfirstlane_b32 s16, v2
	v_readfirstlane_b32 s17, v1
	s_mul_i32 s18, s10, s16
	s_mul_hi_u32 s20, s10, s17
	s_mul_i32 s19, s11, s17
	s_add_i32 s18, s20, s18
	s_add_i32 s18, s18, s19
	s_mul_i32 s21, s10, s17
	s_mul_hi_u32 s19, s17, s18
	s_mul_i32 s20, s17, s18
	s_mul_hi_u32 s17, s17, s21
	s_add_u32 s17, s17, s20
	s_addc_u32 s19, 0, s19
	s_mul_hi_u32 s22, s16, s21
	s_mul_i32 s21, s16, s21
	s_add_u32 s17, s17, s21
	s_mul_hi_u32 s20, s16, s18
	s_addc_u32 s17, s19, s22
	s_addc_u32 s19, s20, 0
	s_mul_i32 s18, s16, s18
	s_add_u32 s17, s17, s18
	s_addc_u32 s18, 0, s19
	v_add_co_u32_e32 v1, vcc, s17, v1
	s_cmp_lg_u64 vcc, 0
	s_addc_u32 s16, s16, s18
	v_readfirstlane_b32 s18, v1
	s_mul_i32 s17, s10, s16
	s_mul_hi_u32 s19, s10, s18
	s_add_i32 s17, s19, s17
	s_mul_i32 s11, s11, s18
	s_add_i32 s17, s17, s11
	s_mul_i32 s10, s10, s18
	s_mul_hi_u32 s19, s16, s10
	s_mul_i32 s20, s16, s10
	s_mul_i32 s22, s18, s17
	s_mul_hi_u32 s10, s18, s10
	s_mul_hi_u32 s21, s18, s17
	s_add_u32 s10, s10, s22
	s_addc_u32 s18, 0, s21
	s_add_u32 s10, s10, s20
	s_mul_hi_u32 s11, s16, s17
	s_addc_u32 s10, s18, s19
	s_addc_u32 s11, s11, 0
	s_mul_i32 s17, s16, s17
	s_add_u32 s10, s10, s17
	s_addc_u32 s11, 0, s11
	v_add_co_u32_e32 v1, vcc, s10, v1
	s_cmp_lg_u64 vcc, 0
	s_addc_u32 s18, s16, s11
	s_ashr_i32 s10, s9, 31
	s_add_u32 s16, s8, s10
	s_mov_b32 s11, s10
	s_addc_u32 s17, s9, s10
	s_xor_b64 s[16:17], s[16:17], s[10:11]
	v_readfirstlane_b32 s20, v1
	s_mul_i32 s19, s16, s18
	s_mul_hi_u32 s21, s16, s20
	s_mul_hi_u32 s9, s16, s18
	s_add_u32 s19, s21, s19
	s_addc_u32 s9, 0, s9
	s_mul_hi_u32 s22, s17, s20
	s_mul_i32 s20, s17, s20
	s_add_u32 s19, s19, s20
	s_mul_hi_u32 s21, s17, s18
	s_addc_u32 s9, s9, s22
	s_addc_u32 s19, s21, 0
	s_mul_i32 s18, s17, s18
	s_add_u32 s9, s9, s18
	s_addc_u32 s18, 0, s19
	s_add_u32 s19, s9, 1
	s_addc_u32 s20, s18, 0
	s_add_u32 s21, s9, 2
	s_mul_i32 s23, s5, s18
	s_mul_hi_u32 s24, s5, s9
	s_addc_u32 s22, s18, 0
	s_add_i32 s24, s24, s23
	s_mul_i32 s23, s5, s9
	v_mov_b32_e32 v1, s23
	v_sub_co_u32_e32 v1, vcc, s16, v1
	s_cmp_lg_u64 vcc, 0
	s_subb_u32 s16, s17, s24
	v_subrev_co_u32_e32 v2, vcc, s5, v1
	s_cmp_lg_u64 vcc, 0
	s_subb_u32 s17, s16, 0
	v_readfirstlane_b32 s23, v2
	s_cmp_ge_u32 s23, s5
	s_cselect_b32 s23, -1, 0
	s_cmp_eq_u32 s17, 0
	s_cselect_b32 s17, s23, -1
	s_cmp_lg_u32 s17, 0
	s_cselect_b32 s17, s22, s20
	v_readfirstlane_b32 s20, v1
	s_cselect_b32 s19, s21, s19
	s_cmp_ge_u32 s20, s5
	s_cselect_b32 s20, -1, 0
	s_cmp_eq_u32 s16, 0
	s_cselect_b32 s16, s20, -1
	s_cmp_lg_u32 s16, 0
	s_cselect_b32 s17, s17, s18
	s_cselect_b32 s16, s19, s9
	s_xor_b64 s[16:17], s[16:17], s[10:11]
	s_sub_u32 s20, s16, s10
	s_load_dwordx4 s[16:19], s[0:1], 0x44
	s_cbranch_execnz .LBB16_3
.LBB16_2:
	v_cvt_f32_u32_e32 v1, s5
	s_sub_i32 s6, 0, s5
	v_rcp_iflag_f32_e32 v1, v1
	s_nop 0
	v_mul_f32_e32 v1, 0x4f7ffffe, v1
	v_cvt_u32_f32_e32 v1, v1
	s_nop 0
	v_readfirstlane_b32 s7, v1
	s_mul_i32 s6, s6, s7
	s_mul_hi_u32 s6, s7, s6
	s_add_i32 s7, s7, s6
	s_mul_hi_u32 s6, s8, s7
	s_mul_i32 s9, s6, s5
	s_sub_i32 s8, s8, s9
	s_add_i32 s7, s6, 1
	s_sub_i32 s9, s8, s5
	s_cmp_ge_u32 s8, s5
	s_cselect_b32 s6, s7, s6
	s_cselect_b32 s8, s9, s8
	s_add_i32 s7, s6, 1
	s_cmp_ge_u32 s8, s5
	s_cselect_b32 s20, s7, s6
.LBB16_3:
	s_add_i32 s6, s2, 1
	s_mul_hi_i32 s9, s15, s6
	s_mov_b32 s8, 0
	s_cmp_lg_u64 s[8:9], 0
	s_mul_i32 s8, s15, s6
	s_cbranch_scc0 .LBB16_22
; %bb.4:
	v_cvt_f32_u32_e32 v1, s5
	v_cvt_f32_ubyte0_e32 v2, 0
	s_sub_u32 s10, 0, s5
	s_subb_u32 s11, 0, 0
	v_fmamk_f32 v1, v2, 0x4f800000, v1
	v_rcp_f32_e32 v1, v1
	s_nop 0
	v_mul_f32_e32 v1, 0x5f7ffffc, v1
	v_mul_f32_e32 v2, 0x2f800000, v1
	v_trunc_f32_e32 v2, v2
	v_fmamk_f32 v1, v2, 0xcf800000, v1
	v_cvt_u32_f32_e32 v2, v2
	v_cvt_u32_f32_e32 v1, v1
	s_waitcnt lgkmcnt(0)
	v_readfirstlane_b32 s19, v2
	v_readfirstlane_b32 s21, v1
	s_mul_i32 s22, s10, s19
	s_mul_hi_u32 s24, s10, s21
	s_mul_i32 s23, s11, s21
	s_add_i32 s22, s24, s22
	s_add_i32 s22, s22, s23
	s_mul_i32 s25, s10, s21
	s_mul_hi_u32 s23, s21, s22
	s_mul_i32 s24, s21, s22
	s_mul_hi_u32 s21, s21, s25
	s_add_u32 s21, s21, s24
	s_addc_u32 s23, 0, s23
	s_mul_hi_u32 s26, s19, s25
	s_mul_i32 s25, s19, s25
	s_add_u32 s21, s21, s25
	s_mul_hi_u32 s24, s19, s22
	s_addc_u32 s21, s23, s26
	s_addc_u32 s23, s24, 0
	s_mul_i32 s22, s19, s22
	s_add_u32 s21, s21, s22
	s_addc_u32 s22, 0, s23
	v_add_co_u32_e32 v1, vcc, s21, v1
	s_cmp_lg_u64 vcc, 0
	s_addc_u32 s19, s19, s22
	v_readfirstlane_b32 s22, v1
	s_mul_i32 s21, s10, s19
	s_mul_hi_u32 s23, s10, s22
	s_add_i32 s21, s23, s21
	s_mul_i32 s11, s11, s22
	s_add_i32 s21, s21, s11
	s_mul_i32 s10, s10, s22
	s_mul_hi_u32 s23, s19, s10
	s_mul_i32 s24, s19, s10
	s_mul_i32 s26, s22, s21
	s_mul_hi_u32 s10, s22, s10
	s_mul_hi_u32 s25, s22, s21
	s_add_u32 s10, s10, s26
	s_addc_u32 s22, 0, s25
	s_add_u32 s10, s10, s24
	s_mul_hi_u32 s11, s19, s21
	s_addc_u32 s10, s22, s23
	s_addc_u32 s11, s11, 0
	s_mul_i32 s21, s19, s21
	s_add_u32 s10, s10, s21
	s_addc_u32 s11, 0, s11
	v_add_co_u32_e32 v1, vcc, s10, v1
	s_cmp_lg_u64 vcc, 0
	s_addc_u32 s19, s19, s11
	s_ashr_i32 s10, s9, 31
	s_add_u32 s22, s8, s10
	s_mov_b32 s11, s10
	s_addc_u32 s23, s9, s10
	s_xor_b64 s[22:23], s[22:23], s[10:11]
	v_readfirstlane_b32 s21, v1
	s_mul_i32 s11, s22, s19
	s_mul_hi_u32 s24, s22, s21
	s_mul_hi_u32 s9, s22, s19
	s_add_u32 s11, s24, s11
	s_addc_u32 s9, 0, s9
	s_mul_hi_u32 s25, s23, s21
	s_mul_i32 s21, s23, s21
	s_add_u32 s11, s11, s21
	s_mul_hi_u32 s24, s23, s19
	s_addc_u32 s9, s9, s25
	s_addc_u32 s11, s24, 0
	s_mul_i32 s19, s23, s19
	s_add_u32 s9, s9, s19
	s_addc_u32 s11, 0, s11
	s_mul_i32 s11, s5, s11
	s_mul_hi_u32 s24, s5, s9
	s_add_i32 s24, s24, s11
	s_mul_i32 s11, s5, s9
	v_mov_b32_e32 v1, s11
	s_add_u32 s19, s9, 1
	s_add_u32 s21, s9, 2
	v_sub_co_u32_e32 v1, vcc, s22, v1
	s_cmp_lg_u64 vcc, 0
	s_subb_u32 s11, s23, s24
	v_subrev_co_u32_e32 v2, vcc, s5, v1
	s_cmp_lg_u64 vcc, 0
	s_subb_u32 s22, s11, 0
	v_cmp_le_u32_e32 vcc, s5, v2
	s_cmp_eq_u32 s22, 0
	v_mov_b32_e32 v3, s19
	v_cndmask_b32_e64 v2, 0, -1, vcc
	s_cselect_b64 vcc, -1, 0
	v_cndmask_b32_e32 v2, -1, v2, vcc
	v_mov_b32_e32 v4, s21
	v_cmp_ne_u32_e32 vcc, 0, v2
	s_cmp_eq_u32 s11, 0
	s_nop 0
	v_cndmask_b32_e32 v2, v3, v4, vcc
	v_cmp_le_u32_e32 vcc, s5, v1
	v_mov_b32_e32 v3, s9
	s_nop 0
	v_cndmask_b32_e64 v1, 0, -1, vcc
	s_cselect_b64 vcc, -1, 0
	v_cndmask_b32_e32 v1, -1, v1, vcc
	v_cmp_ne_u32_e32 vcc, 0, v1
	s_nop 1
	v_cndmask_b32_e32 v1, v3, v2, vcc
	v_xor_b32_e32 v1, s10, v1
	v_subrev_co_u32_e32 v2, vcc, s10, v1
	s_cbranch_execnz .LBB16_6
.LBB16_5:
	v_cvt_f32_u32_e32 v1, s5
	s_sub_i32 s6, 0, s5
	s_mov_b32 s7, 0
	v_rcp_iflag_f32_e32 v1, v1
	s_nop 0
	v_mul_f32_e32 v1, 0x4f7ffffe, v1
	v_cvt_u32_f32_e32 v1, v1
	s_nop 0
	v_readfirstlane_b32 s9, v1
	s_mul_i32 s6, s6, s9
	s_mul_hi_u32 s6, s9, s6
	s_add_i32 s9, s9, s6
	s_mul_hi_u32 s6, s8, s9
	s_mul_i32 s10, s6, s5
	s_sub_i32 s8, s8, s10
	s_add_i32 s9, s6, 1
	s_sub_i32 s10, s8, s5
	s_cmp_ge_u32 s8, s5
	s_cselect_b32 s6, s9, s6
	s_cselect_b32 s8, s10, s8
	s_add_i32 s9, s6, 1
	s_cmp_ge_u32 s8, s5
	s_cselect_b32 s6, s9, s6
	v_mov_b64_e32 v[2:3], s[6:7]
.LBB16_6:
	s_waitcnt lgkmcnt(0)
	s_mul_hi_u32 s6, s20, s16
	s_add_i32 s6, s6, s20
	v_mul_hi_u32 v1, v2, s16
	s_lshr_b32 s19, s6, s17
	v_add_u32_e32 v1, v1, v2
	s_mul_i32 s6, s19, s18
	v_lshrrev_b32_e32 v1, s17, v1
	s_cmp_eq_u32 s6, s20
	v_cmp_eq_u32_e64 s[6:7], s19, v1
	v_mul_lo_u32 v1, v1, s18
	v_cmp_eq_u32_e32 vcc, s20, v2
	s_cselect_b64 s[10:11], -1, 0
	v_cmp_ne_u32_e64 s[8:9], v1, v2
	s_and_b64 s[6:7], s[6:7], s[8:9]
	s_or_b64 s[8:9], vcc, s[10:11]
	s_or_b64 s[6:7], s[8:9], s[6:7]
	s_and_b64 vcc, exec, s[6:7]
	s_cbranch_vccnz .LBB16_24
; %bb.7:
	s_load_dwordx8 s[24:31], s[0:1], 0x20
	s_load_dword s6, s[0:1], 0x40
	s_waitcnt lgkmcnt(0)
	s_mul_hi_u32 s7, s20, s24
	s_add_i32 s7, s7, s20
	s_lshr_b32 s7, s7, s25
	s_mul_i32 s8, s7, s26
	s_sub_i32 s8, s20, s8
	s_mul_hi_u32 s9, s8, s27
	s_add_i32 s9, s8, s9
	s_lshr_b32 s21, s9, s28
	s_mul_i32 s9, s21, s29
	s_sub_i32 s8, s8, s9
	;; [unrolled: 5-line block ×3, first 2 shown]
	s_mul_hi_u32 s8, s6, s16
	s_add_i32 s6, s6, s8
	s_lshr_b32 s22, s6, s17
	s_lshl_b32 s23, s9, 3
	s_add_i32 s22, s22, s3
	s_cmp_lt_i32 s22, s12
	s_cselect_b64 s[8:9], -1, 0
	s_add_i32 s23, s23, s4
	s_cmp_lt_i32 s23, s14
	s_cselect_b64 s[10:11], -1, 0
	s_and_b64 s[8:9], s[8:9], s[10:11]
	s_andn2_b64 vcc, exec, s[8:9]
	s_mov_b32 s6, 0
	s_cbranch_vccnz .LBB16_24
; %bb.8:
	s_load_dwordx4 s[8:11], s[0:1], 0x0
	s_lshl_b32 s1, s3, 3
	s_lshl_b32 s0, s5, 5
	s_add_i32 s24, s1, s4
	s_mov_b32 s1, s6
	s_lshl_b64 s[0:1], s[0:1], 2
	s_waitcnt lgkmcnt(0)
	v_mov_b32_e32 v2, s8
	s_add_u32 s8, s10, s0
	s_mul_i32 s7, s7, s12
	v_mov_b32_e32 v3, s9
	s_addc_u32 s9, s11, s1
	s_mul_i32 s21, s21, s14
	s_add_i32 s0, s22, s7
	s_mul_i32 s0, s0, s13
	s_add_i32 s1, s23, s21
	s_add_i32 s0, s1, s0
	s_mulk_i32 s0, 0x70
	v_add_u32_e32 v4, s0, v0
	v_ashrrev_i32_e32 v5, 31, v4
	v_lshl_add_u64 v[2:3], v[4:5], 2, v[2:3]
	global_load_dword v5, v[2:3], off
	s_mulk_i32 s24, 0x70
	v_add_u32_e32 v4, s24, v0
	v_cvt_f32_u32_e32 v0, s5
	v_cvt_f32_ubyte0_e32 v1, 0
	s_add_i32 s0, s3, s2
	s_lshl_b32 s0, s0, 3
	v_fmamk_f32 v0, v1, 0x4f800000, v0
	v_rcp_f32_e32 v0, v0
	v_cvt_f32_u32_e32 v1, s5
	s_add_i32 s0, s0, s4
	s_ashr_i32 s1, s0, 31
	s_lshl_b64 s[0:1], s[0:1], 3
	v_mul_f32_e32 v0, 0x5f7ffffc, v0
	v_rcp_iflag_f32_e32 v1, v1
	s_add_u32 s0, s10, s0
	v_mul_f32_e32 v6, 0x2f800000, v0
	s_addc_u32 s1, s11, s1
	v_trunc_f32_e32 v7, v6
	s_load_dwordx2 s[0:1], s[0:1], 0x0
	v_fmamk_f32 v0, v7, 0xcf800000, v0
	v_cvt_u32_f32_e32 v6, v0
	v_mul_f32_e32 v0, 0x4f7ffffe, v1
	v_cvt_u32_f32_e32 v7, v7
	v_cvt_u32_f32_e32 v9, v0
	s_add_i32 s13, s2, -1
	s_add_i32 s12, s5, s3
	s_waitcnt lgkmcnt(0)
	v_mov_b32_e32 v8, s1
	v_mov_b32_e32 v10, s0
	;; [unrolled: 1-line block ×3, first 2 shown]
	s_mov_b32 s14, 0x3fb8aa3b
	s_mov_b32 s20, 0xc2ce8ed0
	;; [unrolled: 1-line block ×4, first 2 shown]
	v_mov_b32_e32 v12, 0x7f800000
	s_mul_hi_i32 s7, s13, s15
	s_cmp_lg_u64 s[6:7], 0
	s_mul_i32 s2, s13, s15
	s_cbranch_scc0 .LBB16_15
.LBB16_9:
	s_sub_u32 s0, 0, s5
	v_readfirstlane_b32 s3, v6
	v_readfirstlane_b32 s25, v7
	s_subb_u32 s1, 0, 0
	s_mul_hi_u32 s24, s0, s3
	s_mul_i32 s26, s0, s25
	s_mul_i32 s23, s1, s3
	s_add_i32 s24, s24, s26
	s_add_i32 s24, s24, s23
	s_mul_i32 s27, s0, s3
	s_mul_hi_u32 s23, s3, s24
	s_mul_i32 s26, s3, s24
	s_mul_hi_u32 s3, s3, s27
	s_add_u32 s3, s3, s26
	s_addc_u32 s23, 0, s23
	s_mul_hi_u32 s28, s25, s27
	s_mul_i32 s27, s25, s27
	s_add_u32 s3, s3, s27
	s_mul_hi_u32 s26, s25, s24
	s_addc_u32 s3, s23, s28
	s_addc_u32 s23, s26, 0
	s_mul_i32 s24, s25, s24
	s_add_u32 s3, s3, s24
	s_addc_u32 s23, 0, s23
	v_add_co_u32_e32 v0, vcc, s3, v6
	s_cmp_lg_u64 vcc, 0
	s_addc_u32 s3, s25, s23
	v_readfirstlane_b32 s24, v0
	s_mul_i32 s23, s0, s3
	s_mul_hi_u32 s25, s0, s24
	s_add_i32 s23, s25, s23
	s_mul_i32 s1, s1, s24
	s_add_i32 s23, s23, s1
	s_mul_i32 s0, s0, s24
	s_mul_hi_u32 s25, s3, s0
	s_mul_i32 s26, s3, s0
	s_mul_i32 s28, s24, s23
	s_mul_hi_u32 s0, s24, s0
	s_mul_hi_u32 s27, s24, s23
	s_add_u32 s0, s0, s28
	s_addc_u32 s24, 0, s27
	s_add_u32 s0, s0, s26
	s_mul_hi_u32 s1, s3, s23
	s_addc_u32 s0, s24, s25
	s_addc_u32 s1, s1, 0
	s_mul_i32 s23, s3, s23
	s_add_u32 s0, s0, s23
	s_addc_u32 s1, 0, s1
	v_add_co_u32_e32 v0, vcc, s0, v0
	s_cmp_lg_u64 vcc, 0
	s_addc_u32 s3, s3, s1
	s_ashr_i32 s0, s7, 31
	s_add_u32 s24, s2, s0
	s_mov_b32 s1, s0
	s_addc_u32 s25, s7, s0
	s_xor_b64 s[24:25], s[24:25], s[0:1]
	v_readfirstlane_b32 s23, v0
	s_mul_i32 s7, s24, s3
	s_mul_hi_u32 s26, s24, s23
	s_mul_hi_u32 s1, s24, s3
	s_add_u32 s7, s26, s7
	s_addc_u32 s1, 0, s1
	s_mul_hi_u32 s27, s25, s23
	s_mul_i32 s23, s25, s23
	s_add_u32 s7, s7, s23
	s_mul_hi_u32 s26, s25, s3
	s_addc_u32 s1, s1, s27
	s_addc_u32 s7, s26, 0
	s_mul_i32 s3, s25, s3
	s_add_u32 s1, s1, s3
	s_addc_u32 s3, 0, s7
	s_mul_i32 s3, s5, s3
	s_mul_hi_u32 s26, s5, s1
	s_add_i32 s26, s26, s3
	s_mul_i32 s3, s5, s1
	v_mov_b32_e32 v0, s3
	s_add_u32 s7, s1, 1
	s_add_u32 s23, s1, 2
	v_sub_co_u32_e32 v0, vcc, s24, v0
	s_cmp_lg_u64 vcc, 0
	s_subb_u32 s3, s25, s26
	v_subrev_co_u32_e32 v1, vcc, s5, v0
	s_cmp_lg_u64 vcc, 0
	s_subb_u32 s24, s3, 0
	v_cmp_le_u32_e32 vcc, s5, v1
	s_cmp_eq_u32 s24, 0
	v_mov_b32_e32 v13, s7
	v_cndmask_b32_e64 v1, 0, -1, vcc
	s_cselect_b64 vcc, -1, 0
	v_cndmask_b32_e32 v1, -1, v1, vcc
	v_mov_b32_e32 v14, s23
	v_cmp_ne_u32_e32 vcc, 0, v1
	s_cmp_eq_u32 s3, 0
	s_nop 0
	v_cndmask_b32_e32 v1, v13, v14, vcc
	v_cmp_le_u32_e32 vcc, s5, v0
	v_mov_b32_e32 v13, s1
	s_nop 0
	v_cndmask_b32_e64 v0, 0, -1, vcc
	s_cselect_b64 vcc, -1, 0
	v_cndmask_b32_e32 v0, -1, v0, vcc
	v_cmp_ne_u32_e32 vcc, 0, v0
	s_nop 1
	v_cndmask_b32_e32 v0, v13, v1, vcc
	v_xor_b32_e32 v0, s0, v0
	v_subrev_co_u32_e32 v0, vcc, s0, v0
	s_cbranch_execnz .LBB16_11
.LBB16_10:
	s_sub_i32 s0, 0, s5
	v_mul_lo_u32 v0, s0, v9
	v_mul_hi_u32 v0, v9, v0
	v_add_u32_e32 v0, v9, v0
	v_mul_hi_u32 v0, s2, v0
	v_mul_lo_u32 v13, v0, s5
	v_sub_u32_e32 v13, s2, v13
	v_add_u32_e32 v1, 1, v0
	v_subrev_u32_e32 v14, s5, v13
	v_cmp_le_u32_e32 vcc, s5, v13
	s_nop 1
	v_cndmask_b32_e32 v13, v13, v14, vcc
	v_cndmask_b32_e32 v0, v0, v1, vcc
	v_add_u32_e32 v1, 1, v0
	v_cmp_le_u32_e32 vcc, s5, v13
	s_nop 1
	v_cndmask_b32_e32 v0, v0, v1, vcc
.LBB16_11:
	v_cmp_ne_u32_e32 vcc, v11, v0
	s_cbranch_vccz .LBB16_14
; %bb.12:
	s_add_i32 s0, s12, s13
	s_lshl_b32 s0, s0, 3
	v_mul_hi_u32 v1, v0, s16
	s_add_i32 s0, s0, s4
	s_mov_b32 s1, s6
	v_add_u32_e32 v1, v1, v0
	s_lshl_b64 s[0:1], s[0:1], 3
	v_lshrrev_b32_e32 v1, s17, v1
	s_add_u32 s2, s10, s0
	v_mul_lo_u32 v13, v1, s18
	s_addc_u32 s3, s11, s1
	v_cmp_eq_u32_e32 vcc, v13, v0
	v_cmp_gt_u32_e64 s[0:1], s19, v1
	s_or_b64 s[0:1], s[0:1], vcc
	s_and_b64 vcc, exec, s[0:1]
	s_cbranch_vccnz .LBB16_16
; %bb.13:
	s_add_i32 s7, s13, -1
	s_mov_b64 s[0:1], 0
	s_branch .LBB16_17
.LBB16_14:
                                        ; implicit-def: $sgpr0_sgpr1
                                        ; implicit-def: $vgpr14
                                        ; implicit-def: $vgpr1
                                        ; implicit-def: $vgpr13
                                        ; implicit-def: $sgpr7
                                        ; implicit-def: $vgpr0
	s_branch .LBB16_18
.LBB16_15:
                                        ; implicit-def: $vgpr0_vgpr1
	s_branch .LBB16_10
.LBB16_16:
	s_mov_b64 s[0:1], -1
	s_mov_b32 s7, s13
	v_mov_b32_e32 v0, v11
.LBB16_17:
	s_mul_i32 s23, s13, 0x380
	v_add_u32_e32 v14, s23, v4
	v_ashrrev_i32_e32 v15, 31, v14
	v_lshl_add_u64 v[14:15], v[14:15], 2, s[8:9]
	global_load_dword v14, v[14:15], off
	s_load_dwordx2 s[2:3], s[2:3], 0x0
	v_max_f32_e32 v1, v10, v10
	s_waitcnt lgkmcnt(0)
	v_max_f32_e64 v13, s2, s2
	v_max_f32_e32 v1, v1, v13
	v_sub_f32_e32 v13, v10, v1
	v_sub_f32_e32 v15, s2, v1
	v_mul_f32_e32 v16, 0x3fb8aa3b, v13
	v_mul_f32_e32 v17, 0x3fb8aa3b, v15
	v_fma_f32 v18, v13, s14, -v16
	v_rndne_f32_e32 v19, v16
	v_fma_f32 v20, v15, s14, -v17
	v_rndne_f32_e32 v21, v17
	v_fmac_f32_e32 v18, 0x32a5705f, v13
	v_sub_f32_e32 v16, v16, v19
	v_fmac_f32_e32 v20, 0x32a5705f, v15
	v_sub_f32_e32 v17, v17, v21
	v_add_f32_e32 v16, v16, v18
	v_cvt_i32_f32_e32 v19, v19
	v_add_f32_e32 v17, v17, v20
	v_exp_f32_e32 v16, v16
	v_cvt_i32_f32_e32 v21, v21
	v_exp_f32_e32 v17, v17
	v_cmp_ngt_f32_e32 vcc, s20, v13
	v_ldexp_f32 v16, v16, v19
	v_ldexp_f32 v17, v17, v21
	v_cndmask_b32_e32 v16, 0, v16, vcc
	v_cmp_ngt_f32_e32 vcc, s20, v15
	s_nop 1
	v_cndmask_b32_e32 v17, 0, v17, vcc
	v_cmp_nlt_f32_e32 vcc, s21, v13
	s_nop 1
	v_cndmask_b32_e32 v16, v12, v16, vcc
	v_cmp_nlt_f32_e32 vcc, s21, v15
	s_nop 1
	v_cndmask_b32_e32 v17, v12, v17, vcc
	v_cmp_le_f32_e32 vcc, s22, v13
	s_nop 1
	v_cndmask_b32_e32 v16, 0, v16, vcc
	v_cmp_le_f32_e32 vcc, s22, v15
	s_nop 1
	v_cndmask_b32_e32 v15, 0, v17, vcc
	v_mul_f32_e32 v13, s3, v15
	v_fmac_f32_e32 v13, v8, v16
	s_waitcnt vmcnt(0)
	v_mul_f32_e32 v14, v14, v15
	v_fmac_f32_e32 v14, v5, v16
	s_cbranch_execnz .LBB16_19
.LBB16_18:
	s_add_i32 s7, s13, -1
	s_mov_b64 s[0:1], 0
	v_mov_b32_e32 v0, v11
	v_mov_b32_e32 v13, v8
	;; [unrolled: 1-line block ×3, first 2 shown]
	s_waitcnt vmcnt(0)
	v_mov_b32_e32 v14, v5
.LBB16_19:
	s_andn2_b64 vcc, exec, s[0:1]
	s_cbranch_vccz .LBB16_23
; %bb.20:
	v_mov_b32_e32 v11, v0
	s_mov_b32 s13, s7
	v_mov_b32_e32 v8, v13
	v_mov_b32_e32 v10, v1
	s_waitcnt vmcnt(0)
	v_mov_b32_e32 v5, v14
	s_mul_hi_i32 s7, s13, s15
	s_cmp_lg_u64 s[6:7], 0
	s_mul_i32 s2, s13, s15
	s_cbranch_scc1 .LBB16_9
	s_branch .LBB16_15
.LBB16_21:
                                        ; implicit-def: $sgpr20_sgpr21
	s_load_dwordx4 s[16:19], s[0:1], 0x44
	s_branch .LBB16_2
.LBB16_22:
                                        ; implicit-def: $vgpr2_vgpr3
	s_branch .LBB16_5
.LBB16_23:
	v_div_scale_f32 v0, s[0:1], v13, v13, v14
	v_rcp_f32_e32 v1, v0
	v_div_scale_f32 v4, vcc, v14, v13, v14
	s_waitcnt vmcnt(0)
	v_fma_f32 v5, -v0, v1, 1.0
	v_fmac_f32_e32 v1, v5, v1
	v_mul_f32_e32 v5, v4, v1
	v_fma_f32 v6, -v0, v5, v4
	v_fmac_f32_e32 v5, v6, v1
	v_fma_f32 v0, -v0, v5, v4
	v_div_fmas_f32 v0, v0, v1, v5
	v_div_fixup_f32 v0, v0, v13, v14
	global_store_dword v[2:3], v0, off
.LBB16_24:
	s_endpgm
	.section	.rodata,"a",@progbits
	.p2align	6, 0x0
	.amdhsa_kernel _ZL33flash_attn_stream_k_fixup_generalILi112ELi1ELi8EEvPfPK15HIP_vector_typeIfLj2EEiiiiS1_IjLj3EES5_S5_S5_
		.amdhsa_group_segment_fixed_size 0
		.amdhsa_private_segment_fixed_size 0
		.amdhsa_kernarg_size 336
		.amdhsa_user_sgpr_count 2
		.amdhsa_user_sgpr_dispatch_ptr 0
		.amdhsa_user_sgpr_queue_ptr 0
		.amdhsa_user_sgpr_kernarg_segment_ptr 1
		.amdhsa_user_sgpr_dispatch_id 0
		.amdhsa_user_sgpr_kernarg_preload_length 0
		.amdhsa_user_sgpr_kernarg_preload_offset 0
		.amdhsa_user_sgpr_private_segment_size 0
		.amdhsa_uses_dynamic_stack 0
		.amdhsa_enable_private_segment 0
		.amdhsa_system_sgpr_workgroup_id_x 1
		.amdhsa_system_sgpr_workgroup_id_y 1
		.amdhsa_system_sgpr_workgroup_id_z 1
		.amdhsa_system_sgpr_workgroup_info 0
		.amdhsa_system_vgpr_workitem_id 0
		.amdhsa_next_free_vgpr 22
		.amdhsa_next_free_sgpr 32
		.amdhsa_accum_offset 24
		.amdhsa_reserve_vcc 1
		.amdhsa_float_round_mode_32 0
		.amdhsa_float_round_mode_16_64 0
		.amdhsa_float_denorm_mode_32 3
		.amdhsa_float_denorm_mode_16_64 3
		.amdhsa_dx10_clamp 1
		.amdhsa_ieee_mode 1
		.amdhsa_fp16_overflow 0
		.amdhsa_tg_split 0
		.amdhsa_exception_fp_ieee_invalid_op 0
		.amdhsa_exception_fp_denorm_src 0
		.amdhsa_exception_fp_ieee_div_zero 0
		.amdhsa_exception_fp_ieee_overflow 0
		.amdhsa_exception_fp_ieee_underflow 0
		.amdhsa_exception_fp_ieee_inexact 0
		.amdhsa_exception_int_div_zero 0
	.end_amdhsa_kernel
	.section	.text._ZL33flash_attn_stream_k_fixup_generalILi112ELi1ELi8EEvPfPK15HIP_vector_typeIfLj2EEiiiiS1_IjLj3EES5_S5_S5_,"axG",@progbits,_ZL33flash_attn_stream_k_fixup_generalILi112ELi1ELi8EEvPfPK15HIP_vector_typeIfLj2EEiiiiS1_IjLj3EES5_S5_S5_,comdat
.Lfunc_end16:
	.size	_ZL33flash_attn_stream_k_fixup_generalILi112ELi1ELi8EEvPfPK15HIP_vector_typeIfLj2EEiiiiS1_IjLj3EES5_S5_S5_, .Lfunc_end16-_ZL33flash_attn_stream_k_fixup_generalILi112ELi1ELi8EEvPfPK15HIP_vector_typeIfLj2EEiiiiS1_IjLj3EES5_S5_S5_
                                        ; -- End function
	.section	.AMDGPU.csdata,"",@progbits
; Kernel info:
; codeLenInByte = 2856
; NumSgprs: 38
; NumVgprs: 22
; NumAgprs: 0
; TotalNumVgprs: 22
; ScratchSize: 0
; MemoryBound: 0
; FloatMode: 240
; IeeeMode: 1
; LDSByteSize: 0 bytes/workgroup (compile time only)
; SGPRBlocks: 4
; VGPRBlocks: 2
; NumSGPRsForWavesPerEU: 38
; NumVGPRsForWavesPerEU: 22
; AccumOffset: 24
; Occupancy: 8
; WaveLimiterHint : 0
; COMPUTE_PGM_RSRC2:SCRATCH_EN: 0
; COMPUTE_PGM_RSRC2:USER_SGPR: 2
; COMPUTE_PGM_RSRC2:TRAP_HANDLER: 0
; COMPUTE_PGM_RSRC2:TGID_X_EN: 1
; COMPUTE_PGM_RSRC2:TGID_Y_EN: 1
; COMPUTE_PGM_RSRC2:TGID_Z_EN: 1
; COMPUTE_PGM_RSRC2:TIDIG_COMP_CNT: 0
; COMPUTE_PGM_RSRC3_GFX90A:ACCUM_OFFSET: 5
; COMPUTE_PGM_RSRC3_GFX90A:TG_SPLIT: 0
	.section	.text._ZL15flash_attn_tileILi112ELi112ELi16ELi4ELb0EEvPKcS1_S1_S1_S1_PKiPfP15HIP_vector_typeIfLj2EEffffjfiS5_IjLj3EEiiiiiiiiiiiliiliiiiil,"axG",@progbits,_ZL15flash_attn_tileILi112ELi112ELi16ELi4ELb0EEvPKcS1_S1_S1_S1_PKiPfP15HIP_vector_typeIfLj2EEffffjfiS5_IjLj3EEiiiiiiiiiiiliiliiiiil,comdat
	.globl	_ZL15flash_attn_tileILi112ELi112ELi16ELi4ELb0EEvPKcS1_S1_S1_S1_PKiPfP15HIP_vector_typeIfLj2EEffffjfiS5_IjLj3EEiiiiiiiiiiiliiliiiiil ; -- Begin function _ZL15flash_attn_tileILi112ELi112ELi16ELi4ELb0EEvPKcS1_S1_S1_S1_PKiPfP15HIP_vector_typeIfLj2EEffffjfiS5_IjLj3EEiiiiiiiiiiiliiliiiiil
	.p2align	8
	.type	_ZL15flash_attn_tileILi112ELi112ELi16ELi4ELb0EEvPKcS1_S1_S1_S1_PKiPfP15HIP_vector_typeIfLj2EEffffjfiS5_IjLj3EEiiiiiiiiiiiliiliiiiil,@function
_ZL15flash_attn_tileILi112ELi112ELi16ELi4ELb0EEvPKcS1_S1_S1_S1_PKiPfP15HIP_vector_typeIfLj2EEffffjfiS5_IjLj3EEiiiiiiiiiiiliiliiiiil: ; @_ZL15flash_attn_tileILi112ELi112ELi16ELi4ELb0EEvPKcS1_S1_S1_S1_PKiPfP15HIP_vector_typeIfLj2EEffffjfiS5_IjLj3EEiiiiiiiiiiiliiliiiiil
; %bb.0:
	s_load_dwordx4 s[64:67], s[0:1], 0x5c
	s_load_dwordx2 s[70:71], s[0:1], 0x80
	s_load_dwordx16 s[48:63], s[0:1], 0x0
	s_mov_b64 s[72:73], 0
	s_waitcnt lgkmcnt(0)
	s_ashr_i32 s5, s67, 31
	s_lshr_b32 s5, s5, 30
	s_add_i32 s5, s67, s5
	s_ashr_i32 s5, s5, 2
	v_cvt_f32_u32_e32 v1, s5
	s_sub_i32 s6, 0, s5
	v_rcp_iflag_f32_e32 v1, v1
	s_nop 0
	v_mul_f32_e32 v1, 0x4f7ffffe, v1
	v_cvt_u32_f32_e32 v1, v1
	s_nop 0
	v_readfirstlane_b32 s7, v1
	s_mul_i32 s6, s6, s7
	s_mul_hi_u32 s6, s7, s6
	s_add_i32 s7, s7, s6
	s_mul_hi_u32 s6, s4, s7
	s_mul_i32 s7, s6, s5
	s_sub_i32 s7, s4, s7
	s_add_i32 s8, s6, 1
	s_sub_i32 s9, s7, s5
	s_cmp_ge_u32 s7, s5
	s_cselect_b32 s6, s8, s6
	s_cselect_b32 s7, s9, s7
	s_add_i32 s8, s6, 1
	s_cmp_ge_u32 s7, s5
	s_cselect_b32 s74, s8, s6
	s_abs_i32 s5, s71
	v_cvt_f32_u32_e32 v1, s5
	s_lshl_b32 s4, s4, 2
	s_mul_i32 s8, s74, s67
	s_sub_i32 s9, 0, s5
	v_rcp_iflag_f32_e32 v1, v1
	s_sub_i32 s68, s4, s8
	s_abs_i32 s7, s67
	s_xor_b32 s6, s67, s71
	v_mul_f32_e32 v1, 0x4f7ffffe, v1
	v_cvt_u32_f32_e32 v1, v1
	s_ashr_i32 s6, s6, 31
	v_readfirstlane_b32 s4, v1
	s_mul_i32 s9, s9, s4
	s_mul_hi_u32 s8, s4, s9
	s_add_i32 s4, s4, s8
	s_mul_hi_u32 s4, s7, s4
	s_mul_i32 s8, s4, s5
	s_sub_i32 s7, s7, s8
	s_add_i32 s9, s4, 1
	s_sub_i32 s8, s7, s5
	s_cmp_ge_u32 s7, s5
	s_cselect_b32 s4, s9, s4
	s_cselect_b32 s7, s8, s7
	s_add_i32 s8, s4, 1
	s_cmp_ge_u32 s7, s5
	s_cselect_b32 s4, s8, s4
	s_xor_b32 s4, s4, s6
	s_sub_i32 s15, s4, s6
	s_abs_i32 s14, s15
	v_cvt_f32_u32_e32 v1, s14
	s_load_dwordx2 s[4:5], s[0:1], 0xb8
	s_cmp_eq_u64 s[54:55], 0
	v_rcp_iflag_f32_e32 v1, v1
	s_nop 0
	v_mul_f32_e32 v1, 0x4f7ffffe, v1
	v_cvt_u32_f32_e32 v1, v1
	s_nop 0
	v_readfirstlane_b32 s16, v1
	s_cbranch_scc1 .LBB17_2
; %bb.1:
	s_waitcnt lgkmcnt(0)
	s_abs_i32 s4, s4
	v_cvt_f32_u32_e32 v1, s4
	s_sub_i32 s10, 0, s4
	s_abs_i32 s9, s74
	s_ashr_i32 s8, s74, 31
	v_rcp_iflag_f32_e32 v1, v1
	s_load_dwordx2 s[6:7], s[0:1], 0xc8
	v_mul_f32_e32 v1, 0x4f7ffffe, v1
	v_cvt_u32_f32_e32 v1, v1
	s_nop 0
	v_readfirstlane_b32 s11, v1
	s_mul_i32 s10, s10, s11
	s_mul_hi_u32 s10, s11, s10
	s_add_i32 s11, s11, s10
	s_mul_hi_u32 s10, s9, s11
	s_mul_i32 s10, s10, s4
	s_sub_i32 s9, s9, s10
	s_sub_i32 s10, s9, s4
	s_cmp_ge_u32 s9, s4
	s_cselect_b32 s9, s10, s9
	s_sub_i32 s10, s9, s4
	s_cmp_ge_u32 s9, s4
	s_cselect_b32 s4, s10, s9
	s_xor_b32 s4, s4, s8
	s_sub_i32 s4, s4, s8
	s_ashr_i32 s8, s4, 31
	s_waitcnt lgkmcnt(0)
	s_mul_i32 s7, s4, s7
	s_mul_hi_u32 s9, s4, s6
	s_add_i32 s7, s9, s7
	s_mul_i32 s8, s8, s6
	s_add_i32 s7, s7, s8
	s_mul_i32 s4, s4, s6
	s_add_u32 s72, s54, s4
	s_addc_u32 s73, s55, s7
.LBB17_2:
	s_load_dwordx4 s[8:11], s[0:1], 0x70
	s_waitcnt lgkmcnt(0)
	s_load_dword s4, s[0:1], 0x40
	s_lshl_b32 s33, s2, 4
	v_and_b32_e32 v152, 0x3ff, v0
	v_bfe_u32 v153, v0, 10, 10
	s_mul_i32 s6, s74, s10
	s_ashr_i32 s10, s6, 31
	s_mul_i32 s7, s68, s9
	s_add_u32 s6, s48, s6
	s_addc_u32 s10, s49, s10
	s_ashr_i32 s11, s7, 31
	s_add_u32 s6, s6, s7
	s_addc_u32 s7, s10, s11
	s_ashr_i32 s11, s9, 31
	s_mov_b32 s10, s9
	s_lshr_b64 s[10:11], s[10:11], 2
	s_ashr_i32 s9, s8, 31
	v_lshlrev_b32_e32 v104, 2, v152
	v_cmp_gt_u32_e64 s[48:49], 28, v152
	s_lshr_b64 s[8:9], s[8:9], 2
	v_lshlrev_b32_e32 v2, 1, v152
	v_lshl_add_u32 v8, v153, 1, s33
	v_lshlrev_b32_e32 v0, 2, v104
	s_mul_i32 s17, s11, 12
	s_mul_hi_u32 s18, s10, 12
	s_mul_i32 s19, s10, 12
	s_and_saveexec_b64 s[12:13], s[48:49]
	s_cbranch_execz .LBB17_4
; %bb.3:
	v_mul_hi_u32 v1, v8, s64
	v_add_u32_e32 v1, v8, v1
	v_lshrrev_b32_e32 v1, s65, v1
	v_mul_lo_u32 v1, v1, s66
	v_sub_u32_e32 v1, v8, v1
	v_mad_u64_u32 v[4:5], s[20:21], s8, v1, 0
	v_mov_b32_e32 v6, v5
	v_mad_u64_u32 v[6:7], s[20:21], s9, v1, v[6:7]
	v_mov_b32_e32 v5, v6
	s_lshl_b64 s[20:21], s[10:11], 2
	v_lshlrev_b64 v[14:15], 2, v[4:5]
	s_add_u32 s20, s6, s20
	v_lshl_add_u64 v[4:5], s[6:7], 0, v[14:15]
	v_mov_b32_e32 v1, 0
	s_addc_u32 s21, s7, s21
	v_lshl_add_u64 v[16:17], v[4:5], 0, v[0:1]
	v_lshl_add_u64 v[4:5], s[20:21], 0, v[14:15]
	s_lshl_b64 s[20:21], s[10:11], 3
	s_add_u32 s20, s6, s20
	s_addc_u32 s21, s7, s21
	v_lshl_add_u64 v[18:19], v[4:5], 0, v[0:1]
	global_load_dwordx4 v[4:7], v[16:17], off
	global_load_dwordx4 v[10:13], v[18:19], off
	v_lshl_add_u64 v[16:17], s[20:21], 0, v[14:15]
	s_add_i32 s21, s18, s17
	s_add_u32 s20, s6, s19
	s_addc_u32 s21, s7, s21
	v_lshl_add_u64 v[18:19], s[20:21], 0, v[14:15]
	v_lshl_add_u64 v[16:17], v[16:17], 0, v[0:1]
	v_lshl_add_u64 v[18:19], v[18:19], 0, v[0:1]
	global_load_dwordx4 v[14:17], v[16:17], off
	v_mul_u32_u24_e32 v1, 0x1c0, v153
	global_load_dwordx4 v[18:21], v[18:19], off
	v_or_b32_e32 v1, v1, v2
	v_lshlrev_b32_e32 v1, 2, v1
	s_waitcnt vmcnt(3) lgkmcnt(0)
	v_pk_mul_f32 v[4:5], v[4:5], s[4:5] op_sel_hi:[1,0]
	v_pk_mul_f32 v[6:7], v[6:7], s[4:5] op_sel_hi:[1,0]
	s_waitcnt vmcnt(2)
	v_pk_mul_f32 v[10:11], v[10:11], s[4:5] op_sel_hi:[1,0]
	v_pk_mul_f32 v[12:13], v[12:13], s[4:5] op_sel_hi:[1,0]
	v_cvt_f16_f32_e32 v3, v5
	v_cvt_f16_f32_e32 v4, v4
	;; [unrolled: 1-line block ×5, first 2 shown]
	s_waitcnt vmcnt(1)
	v_pk_mul_f32 v[14:15], v[14:15], s[4:5] op_sel_hi:[1,0]
	v_pk_mul_f32 v[16:17], v[16:17], s[4:5] op_sel_hi:[1,0]
	s_waitcnt vmcnt(0)
	v_pk_mul_f32 v[18:19], v[18:19], s[4:5] op_sel_hi:[1,0]
	v_pk_mul_f32 v[20:21], v[20:21], s[4:5] op_sel_hi:[1,0]
	v_cvt_f16_f32_e32 v10, v10
	v_cvt_f16_f32_e32 v7, v13
	;; [unrolled: 1-line block ×11, first 2 shown]
	v_pack_b32_f16 v5, v6, v5
	v_pack_b32_f16 v4, v4, v3
	;; [unrolled: 1-line block ×8, first 2 shown]
	ds_write2_b64 v1, v[4:5], v[6:7] offset1:28
	ds_write2_b64 v1, v[10:11], v[12:13] offset0:56 offset1:84
.LBB17_4:
	s_or_b64 exec, exec, s[12:13]
	v_lshlrev_b32_e32 v9, 3, v153
	v_or_b32_e32 v3, 4, v9
	v_lshrrev_b32_e32 v151, 2, v3
	s_and_saveexec_b64 s[12:13], s[48:49]
	s_cbranch_execnz .LBB17_13
; %bb.5:
	s_or_b64 exec, exec, s[12:13]
	v_or_b32_e32 v150, 5, v9
	s_and_saveexec_b64 s[12:13], s[48:49]
	s_cbranch_execnz .LBB17_14
.LBB17_6:
	s_or_b64 exec, exec, s[12:13]
	v_or_b32_e32 v127, 6, v9
	s_and_saveexec_b64 s[12:13], s[48:49]
	s_cbranch_execnz .LBB17_15
.LBB17_7:
	s_or_b64 exec, exec, s[12:13]
	v_or_b32_e32 v105, 7, v9
	s_and_saveexec_b64 s[10:11], s[48:49]
	s_cbranch_execz .LBB17_9
.LBB17_8:
	v_lshrrev_b32_e32 v1, 2, v105
	v_add_u32_e32 v1, s33, v1
	v_mul_hi_u32 v3, v1, s64
	v_add_u32_e32 v3, v1, v3
	v_lshrrev_b32_e32 v3, s65, v3
	v_mul_lo_u32 v3, v3, s66
	v_sub_u32_e32 v1, v1, v3
	v_mad_u64_u32 v[4:5], s[12:13], s8, v1, 0
	v_mov_b32_e32 v6, v5
	s_add_i32 s18, s18, s17
	v_mad_u64_u32 v[6:7], s[8:9], s9, v1, v[6:7]
	s_add_u32 s6, s6, s19
	v_mov_b32_e32 v5, v6
	s_addc_u32 s7, s7, s18
	v_lshl_add_u64 v[4:5], v[4:5], 2, s[6:7]
	v_mov_b32_e32 v1, 0
	v_lshl_add_u64 v[0:1], v[4:5], 0, v[0:1]
	global_load_dwordx4 v[4:7], v[0:1], off
	s_waitcnt vmcnt(0) lgkmcnt(0)
	v_pk_mul_f32 v[0:1], v[4:5], s[4:5] op_sel_hi:[1,0]
	v_pk_mul_f32 v[4:5], v[6:7], s[4:5] op_sel_hi:[1,0]
	v_cvt_f16_f32_e32 v3, v1
	v_cvt_f16_f32_e32 v1, v5
	v_cvt_f16_f32_e32 v4, v4
	v_cvt_f16_f32_e32 v0, v0
	v_mul_u32_u24_e32 v5, 56, v105
	v_add_lshl_u32 v2, v5, v2, 2
	v_pack_b32_f16 v1, v4, v1
	v_pack_b32_f16 v0, v0, v3
	ds_write_b64 v2, v[0:1]
.LBB17_9:
	s_or_b64 exec, exec, s[10:11]
	s_cmp_eq_u64 s[58:59], 0
	s_waitcnt lgkmcnt(0)
	s_barrier
	s_cbranch_scc1 .LBB17_11
; %bb.10:
	s_load_dword s4, s[0:1], 0xd0
	s_mov_b32 s7, 0
	s_waitcnt lgkmcnt(0)
	s_mul_i32 s4, s4, s74
	s_add_i32 s6, s4, s2
	s_lshl_b64 s[6:7], s[6:7], 2
	s_add_u32 s6, s58, s6
	s_addc_u32 s7, s59, s7
	s_load_dword s70, s[6:7], 0x0
.LBB17_11:
	s_lshl_b32 s58, s3, 5
	s_waitcnt lgkmcnt(0)
	s_cmp_lt_i32 s58, s70
	v_mbcnt_lo_u32_b32 v10, -1, 0
	s_cbranch_scc1 .LBB17_16
; %bb.12:
	v_mbcnt_hi_u32_b32 v168, -1, v10
	v_and_b32_e32 v0, 0x60, v168
	s_mov_b32 s2, 0
	v_add_u32_e32 v185, 32, v0
	v_xor_b32_e32 v189, 16, v168
	v_xor_b32_e32 v190, 8, v168
	;; [unrolled: 1-line block ×5, first 2 shown]
	s_mov_b64 s[6:7], 0
	s_mov_b32 s4, 0xfeffffff
	s_branch .LBB17_17
.LBB17_13:
	v_add_u32_e32 v1, s33, v151
	v_mul_hi_u32 v4, v1, s64
	v_add_u32_e32 v4, v1, v4
	v_lshrrev_b32_e32 v4, s65, v4
	v_mul_lo_u32 v4, v4, s66
	v_sub_u32_e32 v1, v1, v4
	v_mad_u64_u32 v[4:5], s[20:21], s8, v1, 0
	v_mov_b32_e32 v6, v5
	v_mad_u64_u32 v[6:7], s[20:21], s9, v1, v[6:7]
	v_mov_b32_e32 v5, v6
	v_lshl_add_u64 v[4:5], v[4:5], 2, s[6:7]
	v_mov_b32_e32 v1, 0
	v_lshl_add_u64 v[4:5], v[4:5], 0, v[0:1]
	global_load_dwordx4 v[4:7], v[4:5], off
	v_mul_u32_u24_e32 v3, 56, v3
	v_add_lshl_u32 v3, v3, v2, 2
	s_waitcnt vmcnt(0) lgkmcnt(0)
	v_pk_mul_f32 v[4:5], v[4:5], s[4:5] op_sel_hi:[1,0]
	v_pk_mul_f32 v[6:7], v[6:7], s[4:5] op_sel_hi:[1,0]
	v_cvt_f16_f32_e32 v1, v5
	v_cvt_f16_f32_e32 v5, v7
	;; [unrolled: 1-line block ×4, first 2 shown]
	v_pack_b32_f16 v5, v6, v5
	v_pack_b32_f16 v4, v4, v1
	ds_write_b64 v3, v[4:5]
	s_or_b64 exec, exec, s[12:13]
	v_or_b32_e32 v150, 5, v9
	s_and_saveexec_b64 s[12:13], s[48:49]
	s_cbranch_execz .LBB17_6
.LBB17_14:
	v_lshrrev_b32_e32 v1, 2, v150
	v_add_u32_e32 v1, s33, v1
	v_mul_hi_u32 v3, v1, s64
	v_add_u32_e32 v3, v1, v3
	v_lshrrev_b32_e32 v3, s65, v3
	v_mul_lo_u32 v3, v3, s66
	v_sub_u32_e32 v1, v1, v3
	v_mad_u64_u32 v[4:5], s[20:21], s8, v1, 0
	v_mov_b32_e32 v6, v5
	v_mad_u64_u32 v[6:7], s[20:21], s9, v1, v[6:7]
	s_lshl_b64 s[20:21], s[10:11], 2
	s_add_u32 s20, s6, s20
	v_mov_b32_e32 v5, v6
	s_addc_u32 s21, s7, s21
	v_lshl_add_u64 v[4:5], v[4:5], 2, s[20:21]
	v_mov_b32_e32 v1, 0
	v_lshl_add_u64 v[4:5], v[4:5], 0, v[0:1]
	global_load_dwordx4 v[4:7], v[4:5], off
	s_waitcnt vmcnt(0) lgkmcnt(0)
	v_pk_mul_f32 v[4:5], v[4:5], s[4:5] op_sel_hi:[1,0]
	v_pk_mul_f32 v[6:7], v[6:7], s[4:5] op_sel_hi:[1,0]
	v_cvt_f16_f32_e32 v1, v5
	v_cvt_f16_f32_e32 v3, v7
	;; [unrolled: 1-line block ×4, first 2 shown]
	v_mul_u32_u24_e32 v6, 56, v150
	v_add_lshl_u32 v6, v6, v2, 2
	v_pack_b32_f16 v5, v5, v3
	v_pack_b32_f16 v4, v4, v1
	ds_write_b64 v6, v[4:5]
	s_or_b64 exec, exec, s[12:13]
	v_or_b32_e32 v127, 6, v9
	s_and_saveexec_b64 s[12:13], s[48:49]
	s_cbranch_execz .LBB17_7
.LBB17_15:
	v_lshrrev_b32_e32 v1, 2, v127
	v_add_u32_e32 v1, s33, v1
	v_mul_hi_u32 v3, v1, s64
	v_add_u32_e32 v3, v1, v3
	v_lshrrev_b32_e32 v3, s65, v3
	v_mul_lo_u32 v3, v3, s66
	v_sub_u32_e32 v1, v1, v3
	v_mad_u64_u32 v[4:5], s[20:21], s8, v1, 0
	v_mov_b32_e32 v6, v5
	s_lshl_b64 s[10:11], s[10:11], 3
	v_mad_u64_u32 v[6:7], s[20:21], s9, v1, v[6:7]
	s_add_u32 s10, s6, s10
	v_mov_b32_e32 v5, v6
	s_addc_u32 s11, s7, s11
	v_lshl_add_u64 v[4:5], v[4:5], 2, s[10:11]
	v_mov_b32_e32 v1, 0
	v_lshl_add_u64 v[4:5], v[4:5], 0, v[0:1]
	global_load_dwordx4 v[4:7], v[4:5], off
	s_waitcnt vmcnt(0) lgkmcnt(0)
	v_pk_mul_f32 v[4:5], v[4:5], s[4:5] op_sel_hi:[1,0]
	v_pk_mul_f32 v[6:7], v[6:7], s[4:5] op_sel_hi:[1,0]
	v_cvt_f16_f32_e32 v1, v5
	v_cvt_f16_f32_e32 v3, v7
	;; [unrolled: 1-line block ×4, first 2 shown]
	v_mul_u32_u24_e32 v6, 56, v127
	v_add_lshl_u32 v6, v6, v2, 2
	v_pack_b32_f16 v5, v5, v3
	v_pack_b32_f16 v4, v4, v1
	ds_write_b64 v6, v[4:5]
	s_or_b64 exec, exec, s[12:13]
	v_or_b32_e32 v105, 7, v9
	s_and_saveexec_b64 s[10:11], s[48:49]
	s_cbranch_execnz .LBB17_8
	s_branch .LBB17_9
.LBB17_16:
	s_mov_b64 s[6:7], -1
                                        ; implicit-def: $sgpr4
                                        ; implicit-def: $sgpr2
                                        ; implicit-def: $vgpr168
                                        ; implicit-def: $vgpr185
                                        ; implicit-def: $vgpr189
                                        ; implicit-def: $vgpr190
                                        ; implicit-def: $vgpr188
                                        ; implicit-def: $vgpr187
                                        ; implicit-def: $vgpr186
.LBB17_17:
	s_andn2_b64 vcc, exec, s[6:7]
	v_mov_b32_e32 v7, s4
	v_mov_b32_e32 v107, s2
	;; [unrolled: 1-line block ×32, first 2 shown]
	s_cbranch_vccnz .LBB17_45
; %bb.18:
	s_load_dwordx2 s[6:7], s[0:1], 0x8c
	s_load_dwordx4 s[8:11], s[0:1], 0x98
	s_sub_i32 s2, 0, s14
	s_mul_i32 s2, s2, s16
	s_mul_hi_u32 s2, s16, s2
	s_waitcnt lgkmcnt(0)
	s_ashr_i32 s69, s6, 2
	s_ashr_i32 s59, s10, 2
	s_ashr_i32 s10, s5, 1
	s_ashr_i32 s5, s74, 31
	s_mul_i32 s6, s74, s9
	s_mul_hi_u32 s9, s74, s8
	s_abs_i32 s4, s68
	s_add_i32 s16, s16, s2
	s_add_i32 s6, s9, s6
	s_mul_i32 s9, s5, s8
	s_mul_hi_u32 s2, s4, s16
	s_ashr_i32 s16, s68, 31
	s_ashr_i32 s15, s15, 31
	s_add_i32 s6, s6, s9
	s_mul_i32 s8, s74, s8
	s_add_u32 s8, s50, s8
	s_addc_u32 s6, s51, s6
	s_xor_b32 s9, s16, s15
	s_mul_i32 s15, s2, s14
	s_sub_i32 s4, s4, s15
	v_lshl_add_u32 v0, v153, 5, v152
	s_add_i32 s15, s2, 1
	s_sub_i32 s16, s4, s14
	v_cmp_gt_u32_e32 vcc, 32, v0
	v_lshrrev_b32_e32 v1, 1, v152
	v_lshrrev_b32_e32 v2, 2, v152
	v_mul_lo_u32 v114, s69, v0
	v_and_b32_e32 v0, 4, v104
	s_cmp_ge_u32 s4, s14
	v_lshl_add_u32 v1, v153, 4, v1
	v_add_u32_e32 v3, v9, v2
	v_lshlrev_b32_e32 v2, 7, v152
	v_lshlrev_b32_e32 v4, 2, v0
	s_cselect_b32 s2, s15, s2
	v_add_u32_e32 v171, 0x3800, v2
	v_add_u32_e32 v173, 0x3860, v2
	v_lshl_or_b32 v2, v1, 7, v4
	s_cselect_b32 s4, s16, s4
	s_add_i32 s15, s2, 1
	v_add_u32_e32 v174, 0x3840, v2
	v_and_b32_e32 v2, 12, v104
	s_cmp_ge_u32 s4, s14
	v_lshlrev_b32_e32 v5, 2, v2
	s_cselect_b32 s2, s15, s2
	v_lshl_or_b32 v6, v3, 7, v5
	s_load_dwordx2 s[12:13], s[0:1], 0xa8
	s_xor_b32 s2, s2, s9
	v_add_u32_e32 v175, 0x3800, v6
	v_mul_hi_u32 v6, s64, v8
	s_sub_i32 s2, s2, s9
	v_add_u32_e32 v6, v8, v6
	s_mul_i32 s4, s2, s7
	v_lshrrev_b32_e32 v6, s65, v6
	s_ashr_i32 s7, s4, 31
	v_mul_lo_u32 v6, v6, s66
	s_add_u32 s71, s8, s4
	v_sub_u32_e32 v6, v8, v6
	s_addc_u32 s75, s6, s7
	s_waitcnt lgkmcnt(0)
	s_mul_i32 s4, s74, s13
	s_mul_hi_u32 s6, s74, s12
	v_mul_lo_u32 v176, v6, s10
	v_add_u32_e32 v6, 1, v8
	s_add_i32 s4, s6, s4
	s_mul_i32 s5, s5, s12
	v_mul_hi_u32 v7, s64, v6
	s_add_i32 s4, s4, s5
	s_mul_i32 s5, s74, s12
	v_add_u32_e32 v7, v6, v7
	s_add_u32 s5, s52, s5
	s_mul_i32 s2, s2, s11
	v_lshrrev_b32_e32 v7, s65, v7
	s_addc_u32 s4, s53, s4
	s_ashr_i32 s6, s2, 31
	v_mul_lo_u32 v7, v7, s66
	s_add_u32 s76, s5, s2
	v_sub_u32_e32 v6, v6, v7
	v_lshrrev_b32_e32 v7, 3, v152
	s_addc_u32 s77, s4, s6
	v_cmp_gt_u32_e64 s[4:5], 32, v1
	v_mul_lo_u32 v116, s69, v1
	v_mul_lo_u32 v177, v6, s10
	v_mov_b32_e32 v6, 0x4840
	v_cmp_gt_u32_e64 s[8:9], 16, v1
	v_lshl_add_u32 v7, v153, 2, v7
	v_mul_u32_u24_e32 v8, 0xe0, v1
	v_mul_lo_u32 v122, s59, v1
	v_mul_u32_u24_e32 v1, 0xe0, v3
	s_movk_i32 s14, 0x3880
	v_and_b32_e32 v126, 28, v104
	v_cmp_gt_u32_e64 s[6:7], 32, v3
	s_movk_i32 s2, 0x3800
	v_mov_b32_e32 v119, 0
	v_mul_lo_u32 v120, s69, v3
	v_lshl_add_u32 v178, v153, 9, v6
	v_lshlrev_b32_e32 v6, 4, v152
	v_cmp_gt_u32_e64 s[10:11], 16, v3
	v_or_b32_e32 v4, v8, v4
	v_add3_u32 v181, v1, v5, s14
	v_mul_lo_u32 v124, s59, v3
	v_mul_u32_u24_e32 v1, 0xe0, v7
	v_lshlrev_b32_e32 v3, 2, v126
	v_mul_lo_u32 v128, s59, v7
	s_add_u32 s50, s0, 0xd0
	v_mov_b32_e32 v8, 0xfeffffff
	v_mul_u32_u24_e32 v172, 0x700, v153
	v_ashrrev_i32_e32 v115, 31, v114
	v_ashrrev_i32_e32 v117, 31, v116
	;; [unrolled: 1-line block ×3, first 2 shown]
	v_cmp_gt_u32_e64 s[12:13], 16, v7
	v_lshlrev_b32_e32 v179, 3, v152
	v_add_u32_e32 v180, 0x38c0, v4
	v_ashrrev_i32_e32 v123, 31, v122
	v_ashrrev_i32_e32 v125, 31, v124
	v_add3_u32 v182, v1, v3, s2
	v_ashrrev_i32_e32 v129, 31, v128
	s_addc_u32 s51, s1, 0
	v_mbcnt_hi_u32_b32 v168, -1, v10
	s_mov_b32 s2, 0x40051340
	s_mov_b32 s64, 0x3fb8aa3b
	;; [unrolled: 1-line block ×4, first 2 shown]
	v_add_u32_e32 v183, v178, v6
	v_lshlrev_b32_e32 v118, 2, v0
	v_lshlrev_b32_e32 v130, 2, v2
	v_mov_b32_e32 v184, 0x7f800000
	v_mov_b32_e32 v155, v119
	;; [unrolled: 1-line block ×32, first 2 shown]
.LBB17_19:                              ; =>This Inner Loop Header: Depth=1
	s_mul_hi_i32 s15, s58, s69
	s_mul_i32 s14, s58, s69
	s_lshl_b64 s[14:15], s[14:15], 2
	s_add_u32 s14, s71, s14
	s_addc_u32 s15, s75, s15
	v_lshl_add_u64 v[20:21], v[114:115], 2, s[14:15]
	s_and_saveexec_b64 s[16:17], vcc
	s_cbranch_execnz .LBB17_37
; %bb.20:                               ;   in Loop: Header=BB17_19 Depth=1
	s_or_b64 exec, exec, s[16:17]
	v_lshl_add_u64 v[16:17], v[116:117], 2, s[14:15]
	s_and_saveexec_b64 s[16:17], s[4:5]
	s_cbranch_execnz .LBB17_38
.LBB17_21:                              ;   in Loop: Header=BB17_19 Depth=1
	s_or_b64 exec, exec, s[16:17]
	v_lshl_add_u64 v[18:19], v[120:121], 2, s[14:15]
	s_and_saveexec_b64 s[14:15], s[6:7]
	s_cbranch_execz .LBB17_23
.LBB17_22:                              ;   in Loop: Header=BB17_19 Depth=1
	v_mov_b32_e32 v131, v119
	v_lshl_add_u64 v[0:1], v[18:19], 0, v[130:131]
	global_load_dwordx4 v[0:3], v[0:1], off
	s_waitcnt vmcnt(0)
	ds_write_b128 v175, v[0:3]
.LBB17_23:                              ;   in Loop: Header=BB17_19 Depth=1
	s_or_b64 exec, exec, s[14:15]
	v_mov_b32_e32 v0, 0
	s_waitcnt lgkmcnt(0)
	s_barrier
	ds_read_b128 v[22:25], v171
	ds_read_b128 v[2:5], v172
	ds_read_b128 v[26:29], v172 offset:224
	ds_read_b128 v[30:33], v172 offset:448
	;; [unrolled: 1-line block ×7, first 2 shown]
	s_waitcnt lgkmcnt(7)
	;;#ASMSTART
	v_dot2_f32_f16 v0, v22, v2, v0
	;;#ASMEND
	v_mov_b32_e32 v1, 0
	;;#ASMSTART
	v_dot2_f32_f16 v0, v23, v3, v0
	;;#ASMEND
	v_mov_b32_e32 v2, 0
	;; [unrolled: 4-line block ×3, first 2 shown]
	;;#ASMSTART
	v_dot2_f32_f16 v0, v25, v5, v0
	;;#ASMEND
	s_waitcnt lgkmcnt(6)
	;;#ASMSTART
	v_dot2_f32_f16 v1, v22, v26, v1
	;;#ASMEND
	v_mov_b32_e32 v4, 0
	;;#ASMSTART
	v_dot2_f32_f16 v1, v23, v27, v1
	;;#ASMEND
	v_mov_b32_e32 v5, 0
	;; [unrolled: 4-line block ×3, first 2 shown]
	;;#ASMSTART
	v_dot2_f32_f16 v1, v25, v29, v1
	;;#ASMEND
	s_waitcnt lgkmcnt(5)
	;;#ASMSTART
	v_dot2_f32_f16 v2, v22, v30, v2
	;;#ASMEND
	v_mov_b32_e32 v7, 0
	;;#ASMSTART
	v_dot2_f32_f16 v2, v23, v31, v2
	;;#ASMEND
	s_nop 0
	;;#ASMSTART
	v_dot2_f32_f16 v2, v24, v32, v2
	;;#ASMEND
	s_nop 0
	;;#ASMSTART
	v_dot2_f32_f16 v2, v25, v33, v2
	;;#ASMEND
	s_waitcnt lgkmcnt(4)
	;;#ASMSTART
	v_dot2_f32_f16 v3, v22, v34, v3
	;;#ASMEND
	s_nop 0
	;;#ASMSTART
	v_dot2_f32_f16 v3, v23, v35, v3
	;;#ASMEND
	s_nop 0
	;;#ASMSTART
	v_dot2_f32_f16 v3, v24, v36, v3
	;;#ASMEND
	s_nop 0
	;;#ASMSTART
	v_dot2_f32_f16 v3, v25, v37, v3
	;;#ASMEND
	s_waitcnt lgkmcnt(3)
	;;#ASMSTART
	v_dot2_f32_f16 v4, v22, v38, v4
	;;#ASMEND
	s_nop 0
	;; [unrolled: 16-line block ×5, first 2 shown]
	;;#ASMSTART
	v_dot2_f32_f16 v7, v23, v51, v7
	;;#ASMEND
	s_nop 0
	;;#ASMSTART
	v_dot2_f32_f16 v7, v24, v52, v7
	;;#ASMEND
	s_nop 0
	;;#ASMSTART
	v_dot2_f32_f16 v7, v25, v53, v7
	;;#ASMEND
	ds_read_b128 v[22:25], v171 offset:16
	ds_read_b128 v[26:29], v172 offset:16
	;; [unrolled: 1-line block ×9, first 2 shown]
	s_waitcnt lgkmcnt(7)
	;;#ASMSTART
	v_dot2_f32_f16 v0, v22, v26, v0
	;;#ASMEND
	s_nop 0
	;;#ASMSTART
	v_dot2_f32_f16 v0, v23, v27, v0
	;;#ASMEND
	s_nop 0
	;;#ASMSTART
	v_dot2_f32_f16 v0, v24, v28, v0
	;;#ASMEND
	s_nop 0
	;;#ASMSTART
	v_dot2_f32_f16 v0, v25, v29, v0
	;;#ASMEND
	s_waitcnt lgkmcnt(6)
	;;#ASMSTART
	v_dot2_f32_f16 v1, v22, v30, v1
	;;#ASMEND
	s_nop 0
	;;#ASMSTART
	v_dot2_f32_f16 v1, v23, v31, v1
	;;#ASMEND
	s_nop 0
	;;#ASMSTART
	v_dot2_f32_f16 v1, v24, v32, v1
	;;#ASMEND
	s_nop 0
	;;#ASMSTART
	v_dot2_f32_f16 v1, v25, v33, v1
	;;#ASMEND
	;; [unrolled: 16-line block ×8, first 2 shown]
	ds_read_b128 v[22:25], v171 offset:32
	ds_read_b128 v[26:29], v172 offset:32
	;; [unrolled: 1-line block ×9, first 2 shown]
	s_waitcnt lgkmcnt(7)
	;;#ASMSTART
	v_dot2_f32_f16 v0, v22, v26, v0
	;;#ASMEND
	s_nop 0
	;;#ASMSTART
	v_dot2_f32_f16 v0, v23, v27, v0
	;;#ASMEND
	s_nop 0
	;;#ASMSTART
	v_dot2_f32_f16 v0, v24, v28, v0
	;;#ASMEND
	s_nop 0
	;;#ASMSTART
	v_dot2_f32_f16 v0, v25, v29, v0
	;;#ASMEND
	s_waitcnt lgkmcnt(6)
	;;#ASMSTART
	v_dot2_f32_f16 v1, v22, v30, v1
	;;#ASMEND
	s_nop 0
	;;#ASMSTART
	v_dot2_f32_f16 v1, v23, v31, v1
	;;#ASMEND
	s_nop 0
	;;#ASMSTART
	v_dot2_f32_f16 v1, v24, v32, v1
	;;#ASMEND
	s_nop 0
	;;#ASMSTART
	v_dot2_f32_f16 v1, v25, v33, v1
	;;#ASMEND
	;; [unrolled: 16-line block ×8, first 2 shown]
	ds_read_b128 v[22:25], v171 offset:48
	ds_read_b128 v[26:29], v172 offset:48
	;; [unrolled: 1-line block ×9, first 2 shown]
	s_waitcnt lgkmcnt(7)
	;;#ASMSTART
	v_dot2_f32_f16 v0, v22, v26, v0
	;;#ASMEND
	s_nop 0
	;;#ASMSTART
	v_dot2_f32_f16 v0, v23, v27, v0
	;;#ASMEND
	s_nop 0
	;;#ASMSTART
	v_dot2_f32_f16 v0, v24, v28, v0
	;;#ASMEND
	s_nop 0
	;;#ASMSTART
	v_dot2_f32_f16 v0, v25, v29, v0
	;;#ASMEND
	s_waitcnt lgkmcnt(6)
	;;#ASMSTART
	v_dot2_f32_f16 v1, v22, v30, v1
	;;#ASMEND
	s_nop 0
	;;#ASMSTART
	v_dot2_f32_f16 v1, v23, v31, v1
	;;#ASMEND
	s_nop 0
	;;#ASMSTART
	v_dot2_f32_f16 v1, v24, v32, v1
	;;#ASMEND
	s_nop 0
	;;#ASMSTART
	v_dot2_f32_f16 v1, v25, v33, v1
	;;#ASMEND
	;; [unrolled: 16-line block ×8, first 2 shown]
	ds_read_b128 v[22:25], v171 offset:64
	ds_read_b128 v[26:29], v172 offset:64
	;; [unrolled: 1-line block ×9, first 2 shown]
	s_waitcnt lgkmcnt(7)
	;;#ASMSTART
	v_dot2_f32_f16 v0, v22, v26, v0
	;;#ASMEND
	s_nop 0
	;;#ASMSTART
	v_dot2_f32_f16 v0, v23, v27, v0
	;;#ASMEND
	s_nop 0
	;;#ASMSTART
	v_dot2_f32_f16 v0, v24, v28, v0
	;;#ASMEND
	s_nop 0
	;;#ASMSTART
	v_dot2_f32_f16 v0, v25, v29, v0
	;;#ASMEND
	s_waitcnt lgkmcnt(6)
	;;#ASMSTART
	v_dot2_f32_f16 v1, v22, v30, v1
	;;#ASMEND
	s_nop 0
	;;#ASMSTART
	v_dot2_f32_f16 v1, v23, v31, v1
	;;#ASMEND
	s_nop 0
	;;#ASMSTART
	v_dot2_f32_f16 v1, v24, v32, v1
	;;#ASMEND
	s_nop 0
	;;#ASMSTART
	v_dot2_f32_f16 v1, v25, v33, v1
	;;#ASMEND
	;; [unrolled: 16-line block ×8, first 2 shown]
	ds_read_b128 v[22:25], v171 offset:80
	ds_read_b128 v[26:29], v172 offset:80
	;; [unrolled: 1-line block ×9, first 2 shown]
	s_waitcnt lgkmcnt(7)
	;;#ASMSTART
	v_dot2_f32_f16 v0, v22, v26, v0
	;;#ASMEND
	s_nop 0
	;;#ASMSTART
	v_dot2_f32_f16 v0, v23, v27, v0
	;;#ASMEND
	s_nop 0
	;;#ASMSTART
	v_dot2_f32_f16 v0, v24, v28, v0
	;;#ASMEND
	s_nop 0
	;;#ASMSTART
	v_dot2_f32_f16 v0, v25, v29, v0
	;;#ASMEND
	s_waitcnt lgkmcnt(6)
	;;#ASMSTART
	v_dot2_f32_f16 v1, v22, v30, v1
	;;#ASMEND
	s_nop 0
	;;#ASMSTART
	v_dot2_f32_f16 v1, v23, v31, v1
	;;#ASMEND
	s_nop 0
	;;#ASMSTART
	v_dot2_f32_f16 v1, v24, v32, v1
	;;#ASMEND
	s_nop 0
	;;#ASMSTART
	v_dot2_f32_f16 v1, v25, v33, v1
	;;#ASMEND
	;; [unrolled: 16-line block ×8, first 2 shown]
	ds_read_b128 v[22:25], v171 offset:96
	ds_read_b128 v[26:29], v172 offset:96
	;; [unrolled: 1-line block ×9, first 2 shown]
	s_waitcnt lgkmcnt(7)
	;;#ASMSTART
	v_dot2_f32_f16 v0, v22, v26, v0
	;;#ASMEND
	s_nop 0
	;;#ASMSTART
	v_dot2_f32_f16 v0, v23, v27, v0
	;;#ASMEND
	s_nop 0
	;;#ASMSTART
	v_dot2_f32_f16 v0, v24, v28, v0
	;;#ASMEND
	s_nop 0
	;;#ASMSTART
	v_dot2_f32_f16 v0, v25, v29, v0
	;;#ASMEND
	s_waitcnt lgkmcnt(6)
	;;#ASMSTART
	v_dot2_f32_f16 v1, v22, v30, v1
	;;#ASMEND
	s_nop 0
	;;#ASMSTART
	v_dot2_f32_f16 v1, v23, v31, v1
	;;#ASMEND
	s_nop 0
	;;#ASMSTART
	v_dot2_f32_f16 v1, v24, v32, v1
	;;#ASMEND
	s_nop 0
	;;#ASMSTART
	v_dot2_f32_f16 v1, v25, v33, v1
	;;#ASMEND
	;; [unrolled: 16-line block ×8, first 2 shown]
	s_barrier
	s_and_saveexec_b64 s[14:15], vcc
	s_cbranch_execnz .LBB17_39
; %bb.24:                               ;   in Loop: Header=BB17_19 Depth=1
	s_or_b64 exec, exec, s[14:15]
	s_and_saveexec_b64 s[14:15], s[4:5]
	s_cbranch_execnz .LBB17_40
.LBB17_25:                              ;   in Loop: Header=BB17_19 Depth=1
	s_or_b64 exec, exec, s[14:15]
	s_and_saveexec_b64 s[14:15], s[6:7]
	s_cbranch_execz .LBB17_27
.LBB17_26:                              ;   in Loop: Header=BB17_19 Depth=1
	v_mov_b32_e32 v131, v119
	v_lshl_add_u64 v[16:17], v[18:19], 0, v[130:131]
	global_load_dwordx4 v[16:19], v[16:17], off offset:112
	s_waitcnt vmcnt(0)
	ds_write_b128 v175, v[16:19]
.LBB17_27:                              ;   in Loop: Header=BB17_19 Depth=1
	s_or_b64 exec, exec, s[14:15]
	s_waitcnt lgkmcnt(0)
	s_barrier
	ds_read_b128 v[16:19], v171
	ds_read_b128 v[20:23], v172 offset:112
	ds_read_b128 v[24:27], v172 offset:336
	;; [unrolled: 1-line block ×8, first 2 shown]
	s_waitcnt lgkmcnt(7)
	;;#ASMSTART
	v_dot2_f32_f16 v0, v16, v20, v0
	;;#ASMEND
	v_xor_b32_e32 v189, 16, v168
	;;#ASMSTART
	v_dot2_f32_f16 v0, v17, v21, v0
	;;#ASMEND
	v_xor_b32_e32 v190, 8, v168
	;; [unrolled: 4-line block ×3, first 2 shown]
	;;#ASMSTART
	v_dot2_f32_f16 v0, v19, v23, v0
	;;#ASMEND
	s_waitcnt lgkmcnt(6)
	;;#ASMSTART
	v_dot2_f32_f16 v1, v16, v24, v1
	;;#ASMEND
	v_xor_b32_e32 v187, 2, v168
	;;#ASMSTART
	v_dot2_f32_f16 v1, v17, v25, v1
	;;#ASMEND
	v_xor_b32_e32 v186, 1, v168
	;;#ASMSTART
	v_dot2_f32_f16 v1, v18, v26, v1
	;;#ASMEND
	s_nop 0
	;;#ASMSTART
	v_dot2_f32_f16 v1, v19, v27, v1
	;;#ASMEND
	s_waitcnt lgkmcnt(5)
	;;#ASMSTART
	v_dot2_f32_f16 v2, v16, v28, v2
	;;#ASMEND
	s_nop 0
	;;#ASMSTART
	v_dot2_f32_f16 v2, v17, v29, v2
	;;#ASMEND
	s_nop 0
	;;#ASMSTART
	v_dot2_f32_f16 v2, v18, v30, v2
	;;#ASMEND
	s_nop 0
	;;#ASMSTART
	v_dot2_f32_f16 v2, v19, v31, v2
	;;#ASMEND
	s_waitcnt lgkmcnt(4)
	;;#ASMSTART
	v_dot2_f32_f16 v3, v16, v32, v3
	;;#ASMEND
	s_nop 0
	;;#ASMSTART
	v_dot2_f32_f16 v3, v17, v33, v3
	;;#ASMEND
	s_nop 0
	;; [unrolled: 16-line block ×6, first 2 shown]
	;;#ASMSTART
	v_dot2_f32_f16 v7, v18, v50, v7
	;;#ASMEND
	s_nop 0
	;;#ASMSTART
	v_dot2_f32_f16 v7, v19, v51, v7
	;;#ASMEND
	ds_read_b128 v[16:19], v171 offset:16
	ds_read_b128 v[20:23], v172 offset:128
	ds_read_b128 v[24:27], v172 offset:352
	ds_read_b128 v[28:31], v172 offset:576
	ds_read_b128 v[32:35], v172 offset:800
	ds_read_b128 v[36:39], v172 offset:1024
	ds_read_b128 v[40:43], v172 offset:1248
	ds_read_b128 v[44:47], v172 offset:1472
	ds_read_b128 v[48:51], v172 offset:1696
	s_waitcnt lgkmcnt(7)
	;;#ASMSTART
	v_dot2_f32_f16 v0, v16, v20, v0
	;;#ASMEND
	s_nop 0
	;;#ASMSTART
	v_dot2_f32_f16 v0, v17, v21, v0
	;;#ASMEND
	s_nop 0
	;;#ASMSTART
	v_dot2_f32_f16 v0, v18, v22, v0
	;;#ASMEND
	s_nop 0
	;;#ASMSTART
	v_dot2_f32_f16 v0, v19, v23, v0
	;;#ASMEND
	s_waitcnt lgkmcnt(6)
	;;#ASMSTART
	v_dot2_f32_f16 v1, v16, v24, v1
	;;#ASMEND
	s_nop 0
	;;#ASMSTART
	v_dot2_f32_f16 v1, v17, v25, v1
	;;#ASMEND
	s_nop 0
	;;#ASMSTART
	v_dot2_f32_f16 v1, v18, v26, v1
	;;#ASMEND
	s_nop 0
	;;#ASMSTART
	v_dot2_f32_f16 v1, v19, v27, v1
	;;#ASMEND
	;; [unrolled: 16-line block ×8, first 2 shown]
	ds_read_b128 v[16:19], v171 offset:32
	ds_read_b128 v[20:23], v172 offset:144
	;; [unrolled: 1-line block ×9, first 2 shown]
	s_waitcnt lgkmcnt(7)
	;;#ASMSTART
	v_dot2_f32_f16 v0, v16, v20, v0
	;;#ASMEND
	s_nop 0
	;;#ASMSTART
	v_dot2_f32_f16 v0, v17, v21, v0
	;;#ASMEND
	s_nop 0
	;;#ASMSTART
	v_dot2_f32_f16 v0, v18, v22, v0
	;;#ASMEND
	s_nop 0
	;;#ASMSTART
	v_dot2_f32_f16 v0, v19, v23, v0
	;;#ASMEND
	s_waitcnt lgkmcnt(6)
	;;#ASMSTART
	v_dot2_f32_f16 v1, v16, v24, v1
	;;#ASMEND
	s_nop 0
	;;#ASMSTART
	v_dot2_f32_f16 v1, v17, v25, v1
	;;#ASMEND
	s_nop 0
	;;#ASMSTART
	v_dot2_f32_f16 v1, v18, v26, v1
	;;#ASMEND
	s_nop 0
	;;#ASMSTART
	v_dot2_f32_f16 v1, v19, v27, v1
	;;#ASMEND
	;; [unrolled: 16-line block ×8, first 2 shown]
	ds_read_b128 v[16:19], v171 offset:48
	ds_read_b128 v[20:23], v172 offset:160
	;; [unrolled: 1-line block ×9, first 2 shown]
	s_waitcnt lgkmcnt(7)
	;;#ASMSTART
	v_dot2_f32_f16 v0, v16, v20, v0
	;;#ASMEND
	s_nop 0
	;;#ASMSTART
	v_dot2_f32_f16 v0, v17, v21, v0
	;;#ASMEND
	s_nop 0
	;;#ASMSTART
	v_dot2_f32_f16 v0, v18, v22, v0
	;;#ASMEND
	s_nop 0
	;;#ASMSTART
	v_dot2_f32_f16 v0, v19, v23, v0
	;;#ASMEND
	s_waitcnt lgkmcnt(6)
	;;#ASMSTART
	v_dot2_f32_f16 v1, v16, v24, v1
	;;#ASMEND
	s_nop 0
	;;#ASMSTART
	v_dot2_f32_f16 v1, v17, v25, v1
	;;#ASMEND
	s_nop 0
	;;#ASMSTART
	v_dot2_f32_f16 v1, v18, v26, v1
	;;#ASMEND
	s_nop 0
	;;#ASMSTART
	v_dot2_f32_f16 v1, v19, v27, v1
	;;#ASMEND
	;; [unrolled: 16-line block ×8, first 2 shown]
	ds_read_b128 v[16:19], v171 offset:64
	ds_read_b128 v[20:23], v172 offset:176
	;; [unrolled: 1-line block ×9, first 2 shown]
	s_waitcnt lgkmcnt(7)
	;;#ASMSTART
	v_dot2_f32_f16 v0, v16, v20, v0
	;;#ASMEND
	s_nop 0
	;;#ASMSTART
	v_dot2_f32_f16 v0, v17, v21, v0
	;;#ASMEND
	s_nop 0
	;;#ASMSTART
	v_dot2_f32_f16 v0, v18, v22, v0
	;;#ASMEND
	s_nop 0
	;;#ASMSTART
	v_dot2_f32_f16 v0, v19, v23, v0
	;;#ASMEND
	s_waitcnt lgkmcnt(6)
	;;#ASMSTART
	v_dot2_f32_f16 v1, v16, v24, v1
	;;#ASMEND
	s_nop 0
	;;#ASMSTART
	v_dot2_f32_f16 v1, v17, v25, v1
	;;#ASMEND
	s_nop 0
	;;#ASMSTART
	v_dot2_f32_f16 v1, v18, v26, v1
	;;#ASMEND
	s_nop 0
	;;#ASMSTART
	v_dot2_f32_f16 v1, v19, v27, v1
	;;#ASMEND
	;; [unrolled: 16-line block ×8, first 2 shown]
	ds_read_b128 v[16:19], v171 offset:80
	ds_read_b128 v[20:23], v172 offset:192
	;; [unrolled: 1-line block ×9, first 2 shown]
	s_waitcnt lgkmcnt(7)
	;;#ASMSTART
	v_dot2_f32_f16 v0, v16, v20, v0
	;;#ASMEND
	s_nop 0
	;;#ASMSTART
	v_dot2_f32_f16 v0, v17, v21, v0
	;;#ASMEND
	s_nop 0
	;;#ASMSTART
	v_dot2_f32_f16 v0, v18, v22, v0
	;;#ASMEND
	s_nop 0
	;;#ASMSTART
	v_dot2_f32_f16 v0, v19, v23, v0
	;;#ASMEND
	s_waitcnt lgkmcnt(6)
	;;#ASMSTART
	v_dot2_f32_f16 v1, v16, v24, v1
	;;#ASMEND
	s_nop 0
	;;#ASMSTART
	v_dot2_f32_f16 v1, v17, v25, v1
	;;#ASMEND
	s_nop 0
	;;#ASMSTART
	v_dot2_f32_f16 v1, v18, v26, v1
	;;#ASMEND
	s_nop 0
	;;#ASMSTART
	v_dot2_f32_f16 v1, v19, v27, v1
	;;#ASMEND
	;; [unrolled: 16-line block ×8, first 2 shown]
	ds_read_b128 v[16:19], v171 offset:96
	ds_read_b128 v[20:23], v172 offset:208
	;; [unrolled: 1-line block ×9, first 2 shown]
	s_waitcnt lgkmcnt(7)
	;;#ASMSTART
	v_dot2_f32_f16 v0, v16, v20, v0
	;;#ASMEND
	s_nop 0
	;;#ASMSTART
	v_dot2_f32_f16 v0, v17, v21, v0
	;;#ASMEND
	s_nop 0
	;;#ASMSTART
	v_dot2_f32_f16 v0, v18, v22, v0
	;;#ASMEND
	s_nop 0
	;;#ASMSTART
	v_dot2_f32_f16 v0, v19, v23, v0
	;;#ASMEND
	s_waitcnt lgkmcnt(6)
	;;#ASMSTART
	v_dot2_f32_f16 v1, v16, v24, v1
	;;#ASMEND
	s_nop 0
	;;#ASMSTART
	v_dot2_f32_f16 v1, v17, v25, v1
	;;#ASMEND
	s_nop 0
	;;#ASMSTART
	v_dot2_f32_f16 v1, v18, v26, v1
	;;#ASMEND
	s_nop 0
	;;#ASMSTART
	v_dot2_f32_f16 v1, v19, v27, v1
	;;#ASMEND
	;; [unrolled: 16-line block ×7, first 2 shown]
	s_waitcnt lgkmcnt(0)
	;;#ASMSTART
	v_dot2_f32_f16 v7, v16, v48, v7
	;;#ASMEND
	s_nop 0
	;;#ASMSTART
	v_dot2_f32_f16 v7, v17, v49, v7
	;;#ASMEND
	s_nop 0
	;;#ASMSTART
	v_dot2_f32_f16 v7, v18, v50, v7
	;;#ASMEND
	v_add_u32_e32 v18, s58, v152
	v_add_u32_e32 v16, v18, v176
	v_ashrrev_i32_e32 v17, 31, v16
	v_add_u32_e32 v18, v18, v177
	;;#ASMSTART
	v_dot2_f32_f16 v7, v19, v51, v7
	;;#ASMEND
	v_lshl_add_u64 v[16:17], v[16:17], 1, s[72:73]
	v_ashrrev_i32_e32 v19, 31, v18
	v_lshl_add_u64 v[18:19], v[18:19], 1, s[72:73]
	flat_load_ushort v20, v[16:17]
	flat_load_ushort v21, v[18:19]
	v_and_b32_e32 v16, 0x60, v168
	v_add_u32_e32 v185, 32, v16
	v_cmp_lt_i32_e64 s[14:15], v189, v185
	v_max_f32_e32 v19, v15, v15
	s_waitcnt lgkmcnt(0)
	v_cndmask_b32_e64 v16, v168, v189, s[14:15]
	v_cmp_lt_i32_e64 s[14:15], v190, v185
	v_lshlrev_b32_e32 v22, 2, v16
	s_barrier
	v_cndmask_b32_e64 v16, v168, v190, s[14:15]
	v_cmp_lt_i32_e64 s[14:15], v188, v185
	v_lshlrev_b32_e32 v23, 2, v16
	s_nop 0
	v_cndmask_b32_e64 v16, v168, v188, s[14:15]
	v_cmp_lt_i32_e64 s[14:15], v187, v185
	v_lshlrev_b32_e32 v24, 2, v16
	s_waitcnt vmcnt(0)
	v_cvt_f32_f16_e32 v18, v21
	v_cndmask_b32_e64 v16, v168, v187, s[14:15]
	v_cmp_lt_i32_e64 s[14:15], v186, v185
	v_lshlrev_b32_e32 v25, 2, v16
	s_nop 0
	v_cndmask_b32_e64 v16, v168, v186, s[14:15]
	v_lshlrev_b32_e32 v26, 2, v16
	v_cvt_f32_f16_e32 v16, v20
	v_pk_add_f32 v[20:21], v[2:3], v[16:17] op_sel_hi:[1,0]
	s_nop 0
	v_pk_add_f32 v[2:3], v[20:21], s[2:3] op_sel_hi:[1,0]
	v_pk_add_f32 v[16:17], v[0:1], v[16:17] op_sel_hi:[1,0]
	v_max_f32_e32 v3, v19, v3
	v_max_f32_e32 v19, v14, v14
	v_pk_add_f32 v[0:1], v[16:17], s[2:3] op_sel_hi:[1,0]
	v_max_f32_e32 v2, v19, v2
	v_max_f32_e32 v19, v9, v9
	;; [unrolled: 1-line block ×5, first 2 shown]
	ds_bpermute_b32 v19, v22, v2
	ds_bpermute_b32 v29, v22, v1
	;; [unrolled: 1-line block ×4, first 2 shown]
	s_waitcnt lgkmcnt(3)
	v_max_f32_e32 v19, v19, v19
	v_max_f32_e32 v2, v2, v19
	s_waitcnt lgkmcnt(2)
	v_max_f32_e32 v19, v29, v29
	v_max_f32_e32 v1, v1, v19
	;; [unrolled: 3-line block ×3, first 2 shown]
	ds_bpermute_b32 v19, v23, v2
	ds_bpermute_b32 v29, v23, v1
	s_waitcnt lgkmcnt(2)
	v_max_f32_e32 v27, v27, v27
	ds_bpermute_b32 v28, v23, v0
	v_max_f32_e32 v3, v3, v27
	ds_bpermute_b32 v27, v23, v3
	s_waitcnt lgkmcnt(3)
	v_max_f32_e32 v19, v19, v19
	v_max_f32_e32 v2, v2, v19
	s_waitcnt lgkmcnt(2)
	v_max_f32_e32 v19, v29, v29
	v_max_f32_e32 v1, v1, v19
	;; [unrolled: 3-line block ×3, first 2 shown]
	ds_bpermute_b32 v19, v24, v2
	s_waitcnt lgkmcnt(1)
	v_max_f32_e32 v27, v27, v27
	ds_bpermute_b32 v29, v24, v1
	v_max_f32_e32 v3, v3, v27
	ds_bpermute_b32 v28, v24, v0
	ds_bpermute_b32 v27, v24, v3
	s_waitcnt lgkmcnt(3)
	v_max_f32_e32 v19, v19, v19
	v_max_f32_e32 v2, v2, v19
	s_waitcnt lgkmcnt(2)
	v_max_f32_e32 v19, v29, v29
	v_max_f32_e32 v1, v1, v19
	s_waitcnt lgkmcnt(1)
	v_max_f32_e32 v19, v28, v28
	s_waitcnt lgkmcnt(0)
	v_max_f32_e32 v27, v27, v27
	v_max_f32_e32 v0, v0, v19
	ds_bpermute_b32 v19, v25, v2
	v_max_f32_e32 v3, v3, v27
	ds_bpermute_b32 v29, v25, v1
	ds_bpermute_b32 v27, v25, v3
	;; [unrolled: 1-line block ×3, first 2 shown]
	s_waitcnt lgkmcnt(3)
	v_max_f32_e32 v19, v19, v19
	v_max_f32_e32 v2, v2, v19
	s_waitcnt lgkmcnt(2)
	v_max_f32_e32 v19, v29, v29
	s_waitcnt lgkmcnt(1)
	v_max_f32_e32 v27, v27, v27
	v_max_f32_e32 v1, v1, v19
	s_waitcnt lgkmcnt(0)
	v_max_f32_e32 v19, v28, v28
	v_max_f32_e32 v3, v3, v27
	;; [unrolled: 1-line block ×3, first 2 shown]
	ds_bpermute_b32 v19, v26, v2
	ds_bpermute_b32 v27, v26, v3
	ds_bpermute_b32 v29, v26, v1
	ds_bpermute_b32 v28, v26, v0
	s_waitcnt lgkmcnt(3)
	v_max_f32_e32 v19, v19, v19
	s_waitcnt lgkmcnt(2)
	v_max_f32_e32 v27, v27, v27
	v_max_f32_e32 v2, v2, v19
	s_waitcnt lgkmcnt(1)
	v_max_f32_e32 v19, v29, v29
	v_max_f32_e32 v3, v3, v27
	;; [unrolled: 1-line block ×3, first 2 shown]
	s_waitcnt lgkmcnt(0)
	v_max_f32_e32 v19, v28, v28
	v_max_f32_e32 v0, v0, v19
	v_sub_f32_e32 v19, v21, v3
	v_mul_f32_e32 v21, 0x3fb8aa3b, v19
	v_fma_f32 v27, v19, s64, -v21
	v_rndne_f32_e32 v28, v21
	v_fmac_f32_e32 v27, 0x32a5705f, v19
	v_sub_f32_e32 v21, v21, v28
	v_add_f32_e32 v21, v21, v27
	v_exp_f32_e32 v21, v21
	v_cvt_i32_f32_e32 v27, v28
	v_sub_f32_e32 v20, v20, v2
	v_cmp_ngt_f32_e64 s[14:15], s65, v19
	v_sub_f32_e32 v17, v17, v1
	v_ldexp_f32 v21, v21, v27
	v_mul_f32_e32 v27, 0x3fb8aa3b, v20
	v_fma_f32 v28, v20, s64, -v27
	v_rndne_f32_e32 v29, v27
	v_fmac_f32_e32 v28, 0x32a5705f, v20
	v_sub_f32_e32 v27, v27, v29
	v_add_f32_e32 v27, v27, v28
	v_exp_f32_e32 v27, v27
	v_cvt_i32_f32_e32 v28, v29
	v_cndmask_b32_e64 v21, 0, v21, s[14:15]
	v_cmp_nlt_f32_e64 s[14:15], s78, v19
	v_sub_f32_e32 v16, v16, v0
	v_ldexp_f32 v19, v27, v28
	v_cndmask_b32_e64 v133, v184, v21, s[14:15]
	v_mul_f32_e32 v21, 0x3fb8aa3b, v17
	v_fma_f32 v27, v17, s64, -v21
	v_rndne_f32_e32 v28, v21
	v_fmac_f32_e32 v27, 0x32a5705f, v17
	v_sub_f32_e32 v21, v21, v28
	v_add_f32_e32 v21, v21, v27
	v_exp_f32_e32 v21, v21
	v_cvt_i32_f32_e32 v27, v28
	v_cmp_ngt_f32_e64 s[14:15], s65, v20
	s_nop 1
	v_cndmask_b32_e64 v19, 0, v19, s[14:15]
	v_cmp_nlt_f32_e64 s[14:15], s78, v20
	v_mul_f32_e32 v20, 0x3fb8aa3b, v16
	s_nop 0
	v_cndmask_b32_e64 v132, v184, v19, s[14:15]
	v_ldexp_f32 v19, v21, v27
	v_fma_f32 v21, v16, s64, -v20
	v_rndne_f32_e32 v27, v20
	v_fmac_f32_e32 v21, 0x32a5705f, v16
	v_sub_f32_e32 v20, v20, v27
	v_add_f32_e32 v20, v20, v21
	v_exp_f32_e32 v20, v20
	v_cvt_i32_f32_e32 v21, v27
	v_cmp_ngt_f32_e64 s[14:15], s65, v17
	v_max_f32_e32 v27, v11, v11
	s_nop 0
	v_cndmask_b32_e64 v19, 0, v19, s[14:15]
	v_cmp_nlt_f32_e64 s[14:15], s78, v17
	v_ldexp_f32 v17, v20, v21
	v_cvt_f16_f32_e32 v21, v133
	v_cndmask_b32_e64 v135, v184, v19, s[14:15]
	v_cmp_ngt_f32_e64 s[14:15], s65, v16
	v_cvt_f16_f32_e32 v20, v135
	s_nop 0
	v_cndmask_b32_e64 v17, 0, v17, s[14:15]
	v_cmp_nlt_f32_e64 s[14:15], s78, v16
	s_nop 1
	v_cndmask_b32_e64 v134, v184, v17, s[14:15]
	v_pk_add_f32 v[16:17], v[6:7], v[18:19] op_sel_hi:[1,0]
	v_pk_add_f32 v[18:19], v[4:5], v[18:19] op_sel_hi:[1,0]
	;; [unrolled: 1-line block ×4, first 2 shown]
	v_max_f32_e32 v7, v27, v7
	v_max_f32_e32 v27, v10, v10
	;; [unrolled: 1-line block ×7, first 2 shown]
	ds_bpermute_b32 v28, v22, v7
	ds_bpermute_b32 v27, v22, v6
	;; [unrolled: 1-line block ×4, first 2 shown]
	s_waitcnt lgkmcnt(3)
	v_max_f32_e32 v28, v28, v28
	s_waitcnt lgkmcnt(2)
	v_max_f32_e32 v27, v27, v27
	v_max_f32_e32 v6, v6, v27
	s_waitcnt lgkmcnt(0)
	v_max_f32_e32 v22, v22, v22
	v_max_f32_e32 v5, v5, v22
	;; [unrolled: 1-line block ×5, first 2 shown]
	ds_bpermute_b32 v22, v23, v6
	ds_bpermute_b32 v27, v23, v7
	;; [unrolled: 1-line block ×4, first 2 shown]
	s_waitcnt lgkmcnt(3)
	v_max_f32_e32 v22, v22, v22
	v_max_f32_e32 v6, v6, v22
	s_waitcnt lgkmcnt(2)
	v_max_f32_e32 v27, v27, v27
	s_waitcnt lgkmcnt(0)
	v_max_f32_e32 v22, v23, v23
	v_max_f32_e32 v5, v5, v22
	;; [unrolled: 1-line block ×5, first 2 shown]
	ds_bpermute_b32 v22, v24, v6
	ds_bpermute_b32 v23, v24, v7
	;; [unrolled: 1-line block ×4, first 2 shown]
	s_waitcnt lgkmcnt(3)
	v_max_f32_e32 v22, v22, v22
	v_max_f32_e32 v6, v6, v22
	s_waitcnt lgkmcnt(2)
	v_max_f32_e32 v23, v23, v23
	s_waitcnt lgkmcnt(0)
	v_max_f32_e32 v22, v24, v24
	v_max_f32_e32 v5, v5, v22
	v_max_f32_e32 v22, v27, v27
	v_max_f32_e32 v7, v7, v23
	v_max_f32_e32 v4, v4, v22
	ds_bpermute_b32 v22, v25, v6
	ds_bpermute_b32 v23, v25, v7
	;; [unrolled: 1-line block ×4, first 2 shown]
	s_waitcnt lgkmcnt(3)
	v_max_f32_e32 v22, v22, v22
	s_waitcnt lgkmcnt(2)
	v_max_f32_e32 v23, v23, v23
	v_max_f32_e32 v6, v6, v22
	s_waitcnt lgkmcnt(0)
	v_max_f32_e32 v22, v25, v25
	v_max_f32_e32 v7, v7, v23
	;; [unrolled: 1-line block ×4, first 2 shown]
	ds_bpermute_b32 v23, v26, v7
	v_max_f32_e32 v4, v4, v22
	ds_bpermute_b32 v22, v26, v6
	ds_bpermute_b32 v25, v26, v5
	;; [unrolled: 1-line block ×3, first 2 shown]
	s_waitcnt lgkmcnt(3)
	v_max_f32_e32 v23, v23, v23
	v_max_f32_e32 v7, v7, v23
	s_waitcnt lgkmcnt(2)
	v_max_f32_e32 v22, v22, v22
	v_max_f32_e32 v6, v6, v22
	;; [unrolled: 3-line block ×3, first 2 shown]
	s_waitcnt lgkmcnt(0)
	v_max_f32_e32 v22, v24, v24
	v_sub_f32_e32 v17, v17, v7
	v_max_f32_e32 v4, v4, v22
	v_mul_f32_e32 v22, 0x3fb8aa3b, v17
	v_fma_f32 v23, v17, s64, -v22
	v_rndne_f32_e32 v24, v22
	v_fmac_f32_e32 v23, 0x32a5705f, v17
	v_sub_f32_e32 v22, v22, v24
	v_add_f32_e32 v22, v22, v23
	v_exp_f32_e32 v22, v22
	v_cvt_i32_f32_e32 v23, v24
	v_sub_f32_e32 v16, v16, v6
	v_cmp_ngt_f32_e64 s[14:15], s65, v17
	v_sub_f32_e32 v19, v19, v5
	v_ldexp_f32 v22, v22, v23
	v_mul_f32_e32 v23, 0x3fb8aa3b, v16
	v_fma_f32 v24, v16, s64, -v23
	v_rndne_f32_e32 v25, v23
	v_fmac_f32_e32 v24, 0x32a5705f, v16
	v_sub_f32_e32 v23, v23, v25
	v_add_f32_e32 v23, v23, v24
	v_exp_f32_e32 v23, v23
	v_cvt_i32_f32_e32 v24, v25
	v_cndmask_b32_e64 v22, 0, v22, s[14:15]
	v_cmp_nlt_f32_e64 s[14:15], s78, v17
	v_sub_f32_e32 v18, v18, v4
	v_ldexp_f32 v17, v23, v24
	v_cndmask_b32_e64 v137, v184, v22, s[14:15]
	v_mul_f32_e32 v22, 0x3fb8aa3b, v19
	v_fma_f32 v23, v19, s64, -v22
	v_rndne_f32_e32 v24, v22
	v_fmac_f32_e32 v23, 0x32a5705f, v19
	v_sub_f32_e32 v22, v22, v24
	v_add_f32_e32 v22, v22, v23
	v_exp_f32_e32 v22, v22
	v_cvt_i32_f32_e32 v23, v24
	v_cmp_ngt_f32_e64 s[14:15], s65, v16
	v_cvt_f16_f32_e32 v24, v134
	s_nop 0
	v_cndmask_b32_e64 v17, 0, v17, s[14:15]
	v_cmp_nlt_f32_e64 s[14:15], s78, v16
	v_ldexp_f32 v16, v22, v23
	s_nop 0
	v_cndmask_b32_e64 v136, v184, v17, s[14:15]
	v_mul_f32_e32 v17, 0x3fb8aa3b, v18
	v_fma_f32 v22, v18, s64, -v17
	v_rndne_f32_e32 v23, v17
	v_fmac_f32_e32 v22, 0x32a5705f, v18
	v_sub_f32_e32 v17, v17, v23
	v_add_f32_e32 v17, v17, v22
	v_exp_f32_e32 v17, v17
	v_cvt_i32_f32_e32 v22, v23
	v_cmp_ngt_f32_e64 s[14:15], s65, v19
	v_cvt_f16_f32_e32 v23, v132
	s_nop 0
	v_cndmask_b32_e64 v16, 0, v16, s[14:15]
	v_cmp_nlt_f32_e64 s[14:15], s78, v19
	s_nop 1
	v_cndmask_b32_e64 v139, v184, v16, s[14:15]
	v_ldexp_f32 v16, v17, v22
	v_cmp_ngt_f32_e64 s[14:15], s65, v18
	v_cvt_f16_f32_e32 v17, v137
	s_nop 0
	v_cndmask_b32_e64 v16, 0, v16, s[14:15]
	v_cmp_nlt_f32_e64 s[14:15], s78, v18
	v_cvt_f16_f32_e32 v18, v136
	v_pack_b32_f16 v19, v18, v17
	v_cndmask_b32_e64 v138, v184, v16, s[14:15]
	v_cvt_f16_f32_e32 v16, v139
	v_cvt_f16_f32_e32 v22, v138
	s_mul_hi_i32 s15, s58, s59
	s_mul_i32 s14, s58, s59
	s_lshl_b64 s[14:15], s[14:15], 2
	s_add_u32 s14, s76, s14
	v_pack_b32_f16 v18, v22, v16
	v_pack_b32_f16 v17, v23, v21
	;; [unrolled: 1-line block ×3, first 2 shown]
	s_addc_u32 s15, s77, s15
	ds_write_b128 v183, v[16:19]
	s_and_saveexec_b64 s[16:17], s[8:9]
	s_cbranch_execnz .LBB17_41
; %bb.28:                               ;   in Loop: Header=BB17_19 Depth=1
	s_or_b64 exec, exec, s[16:17]
	s_and_saveexec_b64 s[16:17], s[10:11]
	s_cbranch_execnz .LBB17_42
.LBB17_29:                              ;   in Loop: Header=BB17_19 Depth=1
	s_or_b64 exec, exec, s[16:17]
	v_lshlrev_b32_e32 v148, 2, v126
	s_and_saveexec_b64 s[16:17], s[12:13]
	s_cbranch_execz .LBB17_31
.LBB17_30:                              ;   in Loop: Header=BB17_19 Depth=1
	v_lshl_add_u64 v[16:17], v[128:129], 2, s[14:15]
	v_mov_b32_e32 v149, v119
	v_lshl_add_u64 v[16:17], v[16:17], 0, v[148:149]
	global_load_dwordx4 v[16:19], v[16:17], off
	s_waitcnt vmcnt(0)
	ds_write_b128 v182, v[16:19]
.LBB17_31:                              ;   in Loop: Header=BB17_19 Depth=1
	s_or_b64 exec, exec, s[16:17]
	v_add_u32_e32 v192, 0x3800, v179
	s_waitcnt lgkmcnt(0)
	s_barrier
	ds_read2_b64 v[92:95], v192 offset1:28
	ds_read_b128 v[100:103], v178
	ds_read_b128 v[96:99], v178 offset:16
	ds_read_b128 v[88:91], v178 offset:32
	;; [unrolled: 1-line block ×3, first 2 shown]
	ds_read2_b64 v[84:87], v192 offset0:56 offset1:84
	ds_read2_b64 v[68:71], v192 offset0:112 offset1:140
	ds_read_b128 v[76:79], v178 offset:64
	ds_read_b128 v[72:75], v178 offset:80
	ds_read2_b64 v[56:59], v192 offset0:168 offset1:196
	ds_read_b128 v[64:67], v178 offset:96
	ds_read_b128 v[60:63], v178 offset:112
	;; [unrolled: 3-line block ×3, first 2 shown]
	v_add_u32_e32 v191, 0x4000, v179
	v_pk_add_f32 v[140:141], v[8:9], v[0:1] neg_lo:[0,1] neg_hi:[0,1]
	v_pk_add_f32 v[142:143], v[14:15], v[2:3] neg_lo:[0,1] neg_hi:[0,1]
	;; [unrolled: 1-line block ×4, first 2 shown]
	ds_read2_b64 v[32:35], v191 offset0:24 offset1:52
	ds_read_b128 v[40:43], v178 offset:160
	ds_read_b128 v[36:39], v178 offset:176
	ds_read2_b64 v[20:23], v191 offset0:80 offset1:108
	ds_read_b128 v[28:31], v178 offset:192
	ds_read_b128 v[24:27], v178 offset:208
	;; [unrolled: 3-line block ×3, first 2 shown]
	s_or_b32 s52, s58, 16
	s_mul_hi_i32 s53, s52, s59
	s_mul_i32 s52, s52, s59
	s_lshl_b64 s[52:53], s[52:53], 2
	s_add_u32 s52, s76, s52
	v_cmp_ngt_f32_e64 s[44:45], s65, v141
	v_cmp_nlt_f32_e64 s[46:47], s78, v141
	v_cmp_ngt_f32_e64 s[40:41], s65, v140
	v_cmp_nlt_f32_e64 s[42:43], s78, v140
	;; [unrolled: 2-line block ×8, first 2 shown]
	s_addc_u32 s53, s77, s53
	s_waitcnt lgkmcnt(0)
	s_barrier
	s_and_saveexec_b64 s[54:55], s[8:9]
	s_cbranch_execnz .LBB17_43
; %bb.32:                               ;   in Loop: Header=BB17_19 Depth=1
	s_or_b64 exec, exec, s[54:55]
	s_and_saveexec_b64 s[54:55], s[10:11]
	s_cbranch_execnz .LBB17_44
.LBB17_33:                              ;   in Loop: Header=BB17_19 Depth=1
	s_or_b64 exec, exec, s[54:55]
	s_and_saveexec_b64 s[54:55], s[12:13]
	s_cbranch_execz .LBB17_35
.LBB17_34:                              ;   in Loop: Header=BB17_19 Depth=1
	v_lshl_add_u64 v[194:195], v[128:129], 2, s[52:53]
	v_mov_b32_e32 v149, v119
	v_lshl_add_u64 v[148:149], v[194:195], 0, v[148:149]
	global_load_dwordx4 v[194:197], v[148:149], off
	s_waitcnt vmcnt(0)
	ds_write_b128 v182, v[194:197]
.LBB17_35:                              ;   in Loop: Header=BB17_19 Depth=1
	s_or_b64 exec, exec, s[54:55]
	v_mul_f32_e32 v131, 0x3fb8aa3b, v141
	v_fma_f32 v148, v141, s64, -v131
	v_fmac_f32_e32 v148, 0x32a5705f, v141
	v_rndne_f32_e32 v141, v131
	v_sub_f32_e32 v131, v131, v141
	v_add_f32_e32 v131, v131, v148
	v_mul_f32_e32 v148, 0x3fb8aa3b, v140
	v_fma_f32 v149, v140, s64, -v148
	v_fmac_f32_e32 v149, 0x32a5705f, v140
	v_rndne_f32_e32 v140, v148
	v_exp_f32_e32 v131, v131
	v_cvt_i32_f32_e32 v141, v141
	v_sub_f32_e32 v148, v148, v140
	v_add_f32_e32 v148, v148, v149
	v_exp_f32_e32 v148, v148
	v_cvt_i32_f32_e32 v140, v140
	v_ldexp_f32 v131, v131, v141
	v_cndmask_b32_e64 v131, 0, v131, s[44:45]
	v_cndmask_b32_e64 v141, v184, v131, s[46:47]
	v_ldexp_f32 v131, v148, v140
	v_cndmask_b32_e64 v131, 0, v131, s[40:41]
	v_cndmask_b32_e64 v140, v184, v131, s[42:43]
	v_mul_f32_e32 v131, 0x3fb8aa3b, v143
	v_fma_f32 v148, v143, s64, -v131
	v_fmac_f32_e32 v148, 0x32a5705f, v143
	v_rndne_f32_e32 v143, v131
	v_sub_f32_e32 v131, v131, v143
	v_add_f32_e32 v131, v131, v148
	v_mul_f32_e32 v148, 0x3fb8aa3b, v142
	v_fma_f32 v149, v142, s64, -v148
	v_fmac_f32_e32 v149, 0x32a5705f, v142
	v_rndne_f32_e32 v142, v148
	v_exp_f32_e32 v131, v131
	v_cvt_i32_f32_e32 v143, v143
	v_sub_f32_e32 v148, v148, v142
	v_add_f32_e32 v148, v148, v149
	v_exp_f32_e32 v148, v148
	v_cvt_i32_f32_e32 v142, v142
	v_ldexp_f32 v131, v131, v143
	v_cndmask_b32_e64 v131, 0, v131, s[36:37]
	v_cndmask_b32_e64 v143, v184, v131, s[38:39]
	v_ldexp_f32 v131, v148, v142
	v_cndmask_b32_e64 v131, 0, v131, s[30:31]
	v_cndmask_b32_e64 v142, v184, v131, s[34:35]
	;; [unrolled: 22-line block ×3, first 2 shown]
	v_mul_f32_e32 v131, 0x3fb8aa3b, v147
	v_fma_f32 v148, v147, s64, -v131
	v_fmac_f32_e32 v148, 0x32a5705f, v147
	v_rndne_f32_e32 v147, v131
	v_sub_f32_e32 v131, v131, v147
	v_add_f32_e32 v131, v131, v148
	v_mul_f32_e32 v148, 0x3fb8aa3b, v146
	v_fma_f32 v149, v146, s64, -v148
	v_fmac_f32_e32 v149, 0x32a5705f, v146
	v_rndne_f32_e32 v146, v148
	v_exp_f32_e32 v131, v131
	v_cvt_i32_f32_e32 v147, v147
	v_sub_f32_e32 v148, v148, v146
	v_add_f32_e32 v148, v148, v149
	v_exp_f32_e32 v148, v148
	v_cvt_i32_f32_e32 v146, v146
	v_ldexp_f32 v131, v131, v147
	v_cndmask_b32_e64 v131, 0, v131, s[18:19]
	v_cndmask_b32_e64 v147, v184, v131, s[20:21]
	v_ldexp_f32 v131, v148, v146
	v_cvt_f16_f32_e32 v148, v140
	v_cndmask_b32_e64 v131, 0, v131, s[14:15]
	v_cndmask_b32_e64 v146, v184, v131, s[16:17]
	v_cvt_f16_f32_e32 v131, v141
	v_pk_mul_f16 v149, v148, v169 op_sel_hi:[0,1]
	v_cvt_f16_f32_e32 v169, v142
	v_pk_mul_f16 v148, v148, v170 op_sel_hi:[0,1]
	v_pk_mul_f16 v167, v131, v167 op_sel_hi:[0,1]
	;; [unrolled: 1-line block ×3, first 2 shown]
	v_cvt_f16_f32_e32 v166, v143
	v_pk_mul_f16 v165, v169, v165 op_sel_hi:[0,1]
	v_pk_mul_f16 v164, v169, v164 op_sel_hi:[0,1]
	v_cvt_f16_f32_e32 v169, v144
	v_pk_mul_f16 v162, v166, v162 op_sel_hi:[0,1]
	v_pk_mul_f16 v163, v166, v163 op_sel_hi:[0,1]
	;; [unrolled: 3-line block ×3, first 2 shown]
	v_cvt_f16_f32_e32 v169, v146
	v_cvt_f16_f32_e32 v170, v147
	v_pk_mul_f16 v158, v166, v158 op_sel_hi:[0,1]
	v_pk_mul_f16 v159, v166, v159 op_sel_hi:[0,1]
	;; [unrolled: 1-line block ×6, first 2 shown]
	v_pk_fma_f16 v149, v92, v100, v149 op_sel_hi:[1,0,1]
	v_pk_fma_f16 v166, v92, v100, v167 op_sel:[0,1,0]
	v_pk_fma_f16 v165, v92, v101, v165 op_sel_hi:[1,0,1]
	v_pk_fma_f16 v162, v92, v101, v162 op_sel:[0,1,0]
	;; [unrolled: 2-line block ×128, first 2 shown]
	s_waitcnt lgkmcnt(0)
	s_barrier
	ds_read2_b64 v[8:11], v192 offset1:28
	ds_read_b128 v[12:15], v178 offset:256
	ds_read_b128 v[16:19], v178 offset:272
	;; [unrolled: 1-line block ×4, first 2 shown]
	v_pk_fma_f32 v[112:113], v[112:113], v[140:141], v[134:135]
	v_pk_fma_f32 v[110:111], v[110:111], v[142:143], v[132:133]
	;; [unrolled: 1-line block ×3, first 2 shown]
	s_waitcnt lgkmcnt(3)
	v_pk_fma_f16 v28, v8, v12, v28 op_sel_hi:[1,0,1]
	v_pk_fma_f16 v29, v8, v12, v29 op_sel:[0,1,0]
	v_pk_fma_f16 v30, v8, v13, v30 op_sel_hi:[1,0,1]
	v_pk_fma_f16 v31, v8, v13, v31 op_sel:[0,1,0]
	;; [unrolled: 2-line block ×8, first 2 shown]
	s_waitcnt lgkmcnt(2)
	v_pk_fma_f16 v28, v10, v16, v28 op_sel_hi:[1,0,1]
	v_pk_fma_f16 v29, v10, v16, v29 op_sel:[0,1,0]
	v_pk_fma_f16 v30, v10, v17, v30 op_sel_hi:[1,0,1]
	v_pk_fma_f16 v31, v10, v17, v31 op_sel:[0,1,0]
	;; [unrolled: 2-line block ×6, first 2 shown]
	ds_read2_b64 v[12:15], v192 offset0:56 offset1:84
	v_pk_fma_f16 v36, v11, v18, v37 op_sel_hi:[1,0,1]
	v_pk_fma_f16 v18, v11, v18, v38 op_sel:[0,1,0]
	v_pk_fma_f16 v37, v11, v19, v39 op_sel_hi:[1,0,1]
	v_pk_fma_f16 v9, v11, v19, v9 op_sel:[0,1,0]
	s_waitcnt lgkmcnt(0)
	v_pk_fma_f16 v11, v12, v20, v28 op_sel_hi:[1,0,1]
	v_pk_fma_f16 v19, v12, v20, v29 op_sel:[0,1,0]
	v_pk_fma_f16 v28, v12, v21, v30 op_sel_hi:[1,0,1]
	v_pk_fma_f16 v29, v12, v21, v31 op_sel:[0,1,0]
	;; [unrolled: 2-line block ×10, first 2 shown]
	v_pk_fma_f16 v34, v14, v27, v8 op_sel:[0,1,0]
	v_pk_fma_f16 v35, v15, v24, v10 op_sel_hi:[1,0,1]
	v_pk_fma_f16 v36, v15, v25, v16 op_sel_hi:[1,0,1]
	v_pk_fma_f16 v25, v15, v25, v17 op_sel:[0,1,0]
	ds_read2_b64 v[8:11], v192 offset0:112 offset1:140
	ds_read_b128 v[16:19], v178 offset:320
	v_pk_fma_f16 v30, v14, v26, v30 op_sel_hi:[1,0,1]
	v_pk_fma_f16 v31, v14, v26, v31 op_sel:[0,1,0]
	v_pk_fma_f16 v32, v14, v27, v32 op_sel_hi:[1,0,1]
	v_pk_fma_f16 v24, v15, v24, v12 op_sel:[0,1,0]
	;; [unrolled: 2-line block ×4, first 2 shown]
	ds_read_b128 v[12:15], v178 offset:336
	s_waitcnt lgkmcnt(1)
	v_pk_fma_f16 v23, v8, v16, v23 op_sel_hi:[1,0,1]
	v_pk_fma_f16 v27, v8, v16, v33 op_sel:[0,1,0]
	v_pk_fma_f16 v28, v8, v17, v28 op_sel_hi:[1,0,1]
	v_pk_fma_f16 v29, v8, v17, v29 op_sel:[0,1,0]
	;; [unrolled: 2-line block ×4, first 2 shown]
	v_pk_fma_f16 v20, v9, v18, v20 op_sel_hi:[1,0,1]
	v_pk_fma_f16 v30, v8, v18, v30 op_sel_hi:[1,0,1]
	v_pk_fma_f16 v31, v8, v18, v31 op_sel:[0,1,0]
	v_pk_fma_f16 v32, v8, v19, v32 op_sel_hi:[1,0,1]
	v_pk_fma_f16 v8, v8, v19, v34 op_sel:[0,1,0]
	v_pk_fma_f16 v25, v9, v18, v21 op_sel:[0,1,0]
	v_pk_fma_f16 v34, v9, v19, v22 op_sel_hi:[1,0,1]
	v_pk_fma_f16 v9, v9, v19, v26 op_sel:[0,1,0]
	s_waitcnt lgkmcnt(0)
	v_pk_fma_f16 v26, v10, v12, v23 op_sel_hi:[1,0,1]
	v_pk_fma_f16 v27, v10, v12, v27 op_sel:[0,1,0]
	v_pk_fma_f16 v28, v10, v13, v28 op_sel_hi:[1,0,1]
	v_pk_fma_f16 v29, v10, v13, v29 op_sel:[0,1,0]
	;; [unrolled: 2-line block ×4, first 2 shown]
	v_pk_fma_f16 v36, v11, v14, v20 op_sel_hi:[1,0,1]
	ds_read2_b64 v[16:19], v192 offset0:168 offset1:196
	ds_read_b128 v[20:23], v178 offset:352
	v_pk_fma_f16 v30, v10, v14, v30 op_sel_hi:[1,0,1]
	v_pk_fma_f16 v31, v10, v14, v31 op_sel:[0,1,0]
	v_pk_fma_f16 v32, v10, v15, v32 op_sel_hi:[1,0,1]
	v_pk_fma_f16 v35, v10, v15, v8 op_sel:[0,1,0]
	v_pk_fma_f16 v14, v11, v14, v25 op_sel:[0,1,0]
	v_pk_fma_f16 v25, v11, v15, v34 op_sel_hi:[1,0,1]
	v_pk_fma_f16 v15, v11, v15, v9 op_sel:[0,1,0]
	ds_read_b128 v[8:11], v178 offset:368
	s_waitcnt lgkmcnt(1)
	v_pk_fma_f16 v26, v16, v20, v26 op_sel_hi:[1,0,1]
	v_pk_fma_f16 v27, v16, v20, v27 op_sel:[0,1,0]
	v_pk_fma_f16 v28, v16, v21, v28 op_sel_hi:[1,0,1]
	v_pk_fma_f16 v29, v16, v21, v29 op_sel:[0,1,0]
	;; [unrolled: 2-line block ×8, first 2 shown]
	s_waitcnt lgkmcnt(0)
	v_pk_fma_f16 v26, v18, v8, v26 op_sel_hi:[1,0,1]
	v_pk_fma_f16 v27, v18, v8, v27 op_sel:[0,1,0]
	v_pk_fma_f16 v28, v18, v9, v28 op_sel_hi:[1,0,1]
	v_pk_fma_f16 v29, v18, v9, v29 op_sel:[0,1,0]
	;; [unrolled: 2-line block ×6, first 2 shown]
	v_pk_fma_f16 v36, v19, v10, v21 op_sel_hi:[1,0,1]
	ds_read2_b64 v[12:15], v192 offset0:224 offset1:252
	ds_read_b128 v[20:23], v178 offset:384
	v_pk_fma_f16 v24, v19, v10, v24 op_sel:[0,1,0]
	v_pk_fma_f16 v25, v19, v11, v25 op_sel_hi:[1,0,1]
	v_pk_fma_f16 v17, v19, v11, v17 op_sel:[0,1,0]
	ds_read_b128 v[8:11], v178 offset:400
	s_waitcnt lgkmcnt(1)
	v_pk_fma_f16 v19, v12, v20, v26 op_sel_hi:[1,0,1]
	v_pk_fma_f16 v26, v12, v20, v27 op_sel:[0,1,0]
	v_pk_fma_f16 v27, v12, v21, v28 op_sel_hi:[1,0,1]
	v_pk_fma_f16 v28, v12, v21, v29 op_sel:[0,1,0]
	;; [unrolled: 2-line block ×8, first 2 shown]
	s_waitcnt lgkmcnt(0)
	v_pk_fma_f16 v33, v14, v8, v19 op_sel_hi:[1,0,1]
	v_pk_fma_f16 v26, v14, v8, v26 op_sel:[0,1,0]
	v_pk_fma_f16 v27, v14, v9, v27 op_sel_hi:[1,0,1]
	v_pk_fma_f16 v28, v14, v9, v28 op_sel:[0,1,0]
	;; [unrolled: 2-line block ×6, first 2 shown]
	ds_read2_b64 v[16:19], v191 offset0:24 offset1:52
	ds_read_b128 v[20:23], v178 offset:416
	v_pk_fma_f16 v32, v15, v10, v32 op_sel_hi:[1,0,1]
	v_pk_fma_f16 v24, v15, v10, v24 op_sel:[0,1,0]
	v_pk_fma_f16 v25, v15, v11, v25 op_sel_hi:[1,0,1]
	v_pk_fma_f16 v13, v15, v11, v13 op_sel:[0,1,0]
	ds_read_b128 v[8:11], v178 offset:432
	s_waitcnt lgkmcnt(1)
	v_pk_fma_f16 v15, v16, v20, v33 op_sel_hi:[1,0,1]
	v_pk_fma_f16 v26, v16, v20, v26 op_sel:[0,1,0]
	v_pk_fma_f16 v27, v16, v21, v27 op_sel_hi:[1,0,1]
	v_pk_fma_f16 v28, v16, v21, v28 op_sel:[0,1,0]
	;; [unrolled: 2-line block ×8, first 2 shown]
	s_waitcnt lgkmcnt(0)
	v_pk_fma_f16 v33, v18, v8, v15 op_sel_hi:[1,0,1]
	v_pk_fma_f16 v26, v18, v8, v26 op_sel:[0,1,0]
	v_pk_fma_f16 v27, v18, v9, v27 op_sel_hi:[1,0,1]
	v_pk_fma_f16 v28, v18, v9, v28 op_sel:[0,1,0]
	;; [unrolled: 2-line block ×4, first 2 shown]
	v_pk_fma_f16 v34, v19, v8, v14 op_sel_hi:[1,0,1]
	v_pk_fma_f16 v35, v19, v9, v20 op_sel_hi:[1,0,1]
	v_pk_fma_f16 v36, v19, v9, v21 op_sel:[0,1,0]
	ds_read2_b64 v[12:15], v191 offset0:80 offset1:108
	ds_read_b128 v[20:23], v178 offset:448
	v_pk_fma_f16 v16, v19, v8, v16 op_sel:[0,1,0]
	v_pk_fma_f16 v32, v19, v10, v32 op_sel_hi:[1,0,1]
	v_pk_fma_f16 v24, v19, v10, v24 op_sel:[0,1,0]
	v_pk_fma_f16 v25, v19, v11, v25 op_sel_hi:[1,0,1]
	v_pk_fma_f16 v17, v19, v11, v17 op_sel:[0,1,0]
	ds_read_b128 v[8:11], v178 offset:464
	s_waitcnt lgkmcnt(1)
	v_pk_fma_f16 v19, v12, v20, v33 op_sel_hi:[1,0,1]
	v_pk_fma_f16 v26, v12, v20, v26 op_sel:[0,1,0]
	v_pk_fma_f16 v27, v12, v21, v27 op_sel_hi:[1,0,1]
	v_pk_fma_f16 v28, v12, v21, v28 op_sel:[0,1,0]
	;; [unrolled: 2-line block ×8, first 2 shown]
	s_waitcnt lgkmcnt(0)
	v_pk_fma_f16 v33, v14, v8, v19 op_sel_hi:[1,0,1]
	v_pk_fma_f16 v26, v14, v8, v26 op_sel:[0,1,0]
	v_pk_fma_f16 v27, v14, v9, v27 op_sel_hi:[1,0,1]
	v_pk_fma_f16 v28, v14, v9, v28 op_sel:[0,1,0]
	;; [unrolled: 2-line block ×6, first 2 shown]
	v_pk_fma_f16 v32, v15, v10, v32 op_sel_hi:[1,0,1]
	ds_read2_b64 v[16:19], v191 offset0:136 offset1:164
	ds_read_b128 v[20:23], v178 offset:480
	v_pk_fma_f16 v24, v15, v10, v24 op_sel:[0,1,0]
	v_pk_fma_f16 v25, v15, v11, v25 op_sel_hi:[1,0,1]
	v_pk_fma_f16 v13, v15, v11, v13 op_sel:[0,1,0]
	ds_read_b128 v[8:11], v178 offset:496
	s_waitcnt lgkmcnt(0)
	s_barrier
	s_load_dword s14, s[50:51], 0x4
	v_pk_fma_f16 v15, v16, v20, v33 op_sel_hi:[1,0,1]
	v_pk_fma_f16 v26, v16, v20, v26 op_sel:[0,1,0]
	v_pk_fma_f16 v27, v16, v21, v27 op_sel_hi:[1,0,1]
	v_pk_fma_f16 v28, v16, v21, v28 op_sel:[0,1,0]
	s_waitcnt lgkmcnt(0)
	s_lshl_b32 s14, s14, 5
	v_pk_fma_f16 v29, v16, v22, v29 op_sel_hi:[1,0,1]
	v_pk_fma_f16 v30, v16, v22, v30 op_sel:[0,1,0]
	v_pk_fma_f16 v31, v16, v23, v31 op_sel_hi:[1,0,1]
	v_pk_fma_f16 v12, v16, v23, v12 op_sel:[0,1,0]
	;; [unrolled: 2-line block ×6, first 2 shown]
	s_add_i32 s58, s14, s58
	v_pk_fma_f32 v[106:107], v[106:107], v[146:147], v[136:137]
	v_pk_fma_f16 v169, v18, v8, v15 op_sel_hi:[1,0,1]
	v_pk_fma_f16 v167, v18, v8, v26 op_sel:[0,1,0]
	v_pk_fma_f16 v165, v18, v9, v27 op_sel_hi:[1,0,1]
	v_pk_fma_f16 v162, v18, v9, v28 op_sel:[0,1,0]
	;; [unrolled: 2-line block ×7, first 2 shown]
	v_pk_fma_f16 v157, v19, v11, v24 op_sel_hi:[1,0,1]
	s_cmp_ge_i32 s58, s70
	v_pk_fma_f16 v155, v19, v11, v13 op_sel:[0,1,0]
	s_cbranch_scc1 .LBB17_45
; %bb.36:                               ;   in Loop: Header=BB17_19 Depth=1
	v_mov_b32_e32 v8, v0
	v_mov_b32_e32 v9, v1
	;; [unrolled: 1-line block ×8, first 2 shown]
	s_branch .LBB17_19
.LBB17_37:                              ;   in Loop: Header=BB17_19 Depth=1
	global_load_dwordx4 v[0:3], v[20:21], off offset:96
	s_waitcnt vmcnt(0)
	ds_write_b128 v173, v[0:3]
	s_or_b64 exec, exec, s[16:17]
	v_lshl_add_u64 v[16:17], v[116:117], 2, s[14:15]
	s_and_saveexec_b64 s[16:17], s[4:5]
	s_cbranch_execz .LBB17_21
.LBB17_38:                              ;   in Loop: Header=BB17_19 Depth=1
	v_lshl_add_u64 v[0:1], v[16:17], 0, v[118:119]
	global_load_dwordx4 v[0:3], v[0:1], off offset:64
	s_waitcnt vmcnt(0)
	ds_write_b128 v174, v[0:3]
	s_or_b64 exec, exec, s[16:17]
	v_lshl_add_u64 v[18:19], v[120:121], 2, s[14:15]
	s_and_saveexec_b64 s[14:15], s[6:7]
	s_cbranch_execnz .LBB17_22
	s_branch .LBB17_23
.LBB17_39:                              ;   in Loop: Header=BB17_19 Depth=1
	global_load_dwordx4 v[20:23], v[20:21], off offset:208
	s_waitcnt vmcnt(0)
	ds_write_b128 v173, v[20:23]
	s_or_b64 exec, exec, s[14:15]
	s_and_saveexec_b64 s[14:15], s[4:5]
	s_cbranch_execz .LBB17_25
.LBB17_40:                              ;   in Loop: Header=BB17_19 Depth=1
	v_lshl_add_u64 v[16:17], v[16:17], 0, v[118:119]
	global_load_dwordx4 v[20:23], v[16:17], off offset:176
	s_waitcnt vmcnt(0)
	ds_write_b128 v174, v[20:23]
	s_or_b64 exec, exec, s[14:15]
	s_and_saveexec_b64 s[14:15], s[6:7]
	s_cbranch_execnz .LBB17_26
	s_branch .LBB17_27
.LBB17_41:                              ;   in Loop: Header=BB17_19 Depth=1
	v_lshl_add_u64 v[16:17], v[122:123], 2, s[14:15]
	v_lshl_add_u64 v[16:17], v[16:17], 0, v[118:119]
	global_load_dwordx4 v[16:19], v[16:17], off offset:192
	s_waitcnt vmcnt(0)
	ds_write_b128 v180, v[16:19]
	s_or_b64 exec, exec, s[16:17]
	s_and_saveexec_b64 s[16:17], s[10:11]
	s_cbranch_execz .LBB17_29
.LBB17_42:                              ;   in Loop: Header=BB17_19 Depth=1
	v_lshl_add_u64 v[16:17], v[124:125], 2, s[14:15]
	v_mov_b32_e32 v131, v119
	v_lshl_add_u64 v[16:17], v[16:17], 0, v[130:131]
	global_load_dwordx4 v[16:19], v[16:17], off offset:128
	s_waitcnt vmcnt(0)
	ds_write_b128 v181, v[16:19]
	s_or_b64 exec, exec, s[16:17]
	v_lshlrev_b32_e32 v148, 2, v126
	s_and_saveexec_b64 s[16:17], s[12:13]
	s_cbranch_execnz .LBB17_30
	s_branch .LBB17_31
.LBB17_43:                              ;   in Loop: Header=BB17_19 Depth=1
	v_lshl_add_u64 v[194:195], v[122:123], 2, s[52:53]
	v_lshl_add_u64 v[194:195], v[194:195], 0, v[118:119]
	global_load_dwordx4 v[194:197], v[194:195], off offset:192
	s_waitcnt vmcnt(0)
	ds_write_b128 v180, v[194:197]
	s_or_b64 exec, exec, s[54:55]
	s_and_saveexec_b64 s[54:55], s[10:11]
	s_cbranch_execz .LBB17_33
.LBB17_44:                              ;   in Loop: Header=BB17_19 Depth=1
	v_lshl_add_u64 v[194:195], v[124:125], 2, s[52:53]
	v_mov_b32_e32 v131, v119
	v_lshl_add_u64 v[194:195], v[194:195], 0, v[130:131]
	global_load_dwordx4 v[194:197], v[194:195], off offset:128
	s_waitcnt vmcnt(0)
	ds_write_b128 v181, v[194:197]
	s_or_b64 exec, exec, s[54:55]
	s_and_saveexec_b64 s[54:55], s[12:13]
	s_cbranch_execnz .LBB17_34
	s_branch .LBB17_35
.LBB17_45:
	v_cmp_lt_i32_e32 vcc, v189, v185
	s_cmp_lg_u64 s[56:57], 0
	s_cselect_b64 s[4:5], -1, 0
	v_cndmask_b32_e32 v8, v168, v189, vcc
	v_lshlrev_b32_e32 v17, 2, v8
	ds_bpermute_b32 v12, v17, v110
	ds_bpermute_b32 v13, v17, v111
	v_cmp_lt_i32_e32 vcc, v190, v185
	ds_bpermute_b32 v8, v17, v112
	ds_bpermute_b32 v9, v17, v113
	v_cndmask_b32_e32 v10, v168, v190, vcc
	v_cmp_lt_i32_e32 vcc, v188, v185
	v_lshlrev_b32_e32 v23, 2, v10
	s_waitcnt lgkmcnt(2)
	v_pk_add_f32 v[12:13], v[110:111], v[12:13]
	v_cndmask_b32_e32 v10, v168, v188, vcc
	v_cmp_lt_i32_e32 vcc, v187, v185
	ds_bpermute_b32 v15, v23, v13
	v_lshlrev_b32_e32 v24, 2, v10
	v_cndmask_b32_e32 v14, v168, v187, vcc
	v_lshlrev_b32_e32 v25, 2, v14
	ds_bpermute_b32 v14, v23, v12
	ds_bpermute_b32 v18, v17, v106
	;; [unrolled: 1-line block ×3, first 2 shown]
	s_waitcnt lgkmcnt(4)
	v_pk_add_f32 v[8:9], v[112:113], v[8:9]
	v_cmp_lt_i32_e32 vcc, v186, v185
	s_waitcnt lgkmcnt(2)
	v_pk_add_f32 v[12:13], v[12:13], v[14:15]
	ds_bpermute_b32 v14, v24, v12
	ds_bpermute_b32 v15, v24, v13
	s_waitcnt lgkmcnt(2)
	v_pk_add_f32 v[18:19], v[106:107], v[18:19]
	ds_bpermute_b32 v10, v23, v8
	ds_bpermute_b32 v11, v23, v9
	v_cndmask_b32_e32 v16, v168, v186, vcc
	s_waitcnt lgkmcnt(2)
	v_pk_add_f32 v[12:13], v[12:13], v[14:15]
	ds_bpermute_b32 v14, v17, v108
	ds_bpermute_b32 v15, v17, v109
	;; [unrolled: 1-line block ×3, first 2 shown]
	v_lshlrev_b32_e32 v27, 2, v16
	ds_bpermute_b32 v16, v25, v12
	ds_bpermute_b32 v17, v25, v13
	s_waitcnt lgkmcnt(3)
	v_pk_add_f32 v[14:15], v[108:109], v[14:15]
	ds_bpermute_b32 v20, v23, v14
	ds_bpermute_b32 v21, v23, v15
	ds_bpermute_b32 v23, v23, v19
	v_pk_add_f32 v[8:9], v[8:9], v[10:11]
	ds_bpermute_b32 v10, v24, v8
	ds_bpermute_b32 v11, v24, v9
	s_waitcnt lgkmcnt(3)
	v_pk_add_f32 v[14:15], v[14:15], v[20:21]
	s_waitcnt lgkmcnt(2)
	v_pk_add_f32 v[18:19], v[18:19], v[22:23]
	v_pk_add_f32 v[12:13], v[12:13], v[16:17]
	ds_bpermute_b32 v16, v24, v14
	ds_bpermute_b32 v17, v24, v15
	;; [unrolled: 1-line block ×4, first 2 shown]
	s_waitcnt lgkmcnt(4)
	v_pk_add_f32 v[8:9], v[8:9], v[10:11]
	ds_bpermute_b32 v10, v25, v8
	s_waitcnt lgkmcnt(3)
	v_pk_add_f32 v[14:15], v[14:15], v[16:17]
	ds_bpermute_b32 v11, v25, v9
	;; [unrolled: 3-line block ×3, first 2 shown]
	ds_bpermute_b32 v17, v25, v15
	ds_bpermute_b32 v20, v25, v18
	;; [unrolled: 1-line block ×3, first 2 shown]
	s_waitcnt lgkmcnt(4)
	v_pk_add_f32 v[8:9], v[8:9], v[10:11]
	ds_bpermute_b32 v10, v27, v8
	s_waitcnt lgkmcnt(3)
	v_pk_add_f32 v[14:15], v[14:15], v[16:17]
	ds_bpermute_b32 v11, v27, v9
	;; [unrolled: 3-line block ×3, first 2 shown]
	ds_bpermute_b32 v23, v27, v13
	ds_bpermute_b32 v16, v27, v14
	ds_bpermute_b32 v17, v27, v15
	ds_bpermute_b32 v26, v27, v18
	ds_bpermute_b32 v27, v27, v19
	s_cmp_eq_u32 s3, 0
	s_cselect_b64 s[6:7], -1, 0
	s_and_b64 s[4:5], s[6:7], s[4:5]
	s_waitcnt lgkmcnt(6)
	v_pk_add_f32 v[24:25], v[8:9], v[10:11]
	s_waitcnt lgkmcnt(4)
	v_pk_add_f32 v[22:23], v[12:13], v[22:23]
	;; [unrolled: 2-line block ×4, first 2 shown]
	s_and_b64 vcc, exec, s[4:5]
	s_cbranch_vccz .LBB17_47
; %bb.46:
	s_ashr_i32 s69, s68, 31
	s_lshl_b64 s[4:5], s[68:69], 2
	s_add_u32 s4, s56, s4
	s_addc_u32 s5, s57, s5
	v_mov_b32_e32 v8, 0
	global_load_dwordx4 v[14:17], v8, s[4:5]
	v_max_f32_e32 v8, v1, v1
	v_max_f32_e32 v10, v0, v0
	s_mov_b32 s5, 0x3fb8aa3b
	v_max_f32_e32 v12, v2, v2
	v_max_f32_e32 v11, v3, v3
	s_mov_b32 s4, 0xc2ce8ed0
	s_mov_b32 s2, 0x42b17218
	v_mov_b32_e32 v26, 0x7f800000
	s_waitcnt vmcnt(0)
	v_max_f32_e32 v27, v15, v15
	v_max_f32_e32 v28, v14, v14
	;; [unrolled: 1-line block ×4, first 2 shown]
	v_pk_add_f32 v[0:1], v[0:1], v[8:9] neg_lo:[0,1] neg_hi:[0,1]
	v_max_f32_e32 v30, v16, v16
	v_mul_f32_e32 v31, 0x3fb8aa3b, v1
	v_max_f32_e32 v29, v17, v17
	v_max_f32_e32 v10, v12, v30
	v_pk_add_f32 v[12:13], v[14:15], v[8:9] neg_lo:[0,1] neg_hi:[0,1]
	v_mul_f32_e32 v32, 0x3fb8aa3b, v0
	v_fma_f32 v37, v1, s5, -v31
	v_rndne_f32_e32 v38, v31
	v_max_f32_e32 v11, v11, v29
	v_mul_f32_e32 v33, 0x3fb8aa3b, v13
	v_fma_f32 v39, v0, s5, -v32
	v_rndne_f32_e32 v40, v32
	v_fmac_f32_e32 v37, 0x32a5705f, v1
	v_sub_f32_e32 v31, v31, v38
	v_pk_add_f32 v[2:3], v[2:3], v[10:11] neg_lo:[0,1] neg_hi:[0,1]
	v_mul_f32_e32 v34, 0x3fb8aa3b, v12
	v_fma_f32 v41, v13, s5, -v33
	v_rndne_f32_e32 v42, v33
	v_fmac_f32_e32 v39, 0x32a5705f, v0
	v_sub_f32_e32 v32, v32, v40
	v_add_f32_e32 v31, v31, v37
	v_mul_f32_e32 v35, 0x3fb8aa3b, v3
	v_fma_f32 v43, v12, s5, -v34
	v_rndne_f32_e32 v44, v34
	v_cvt_i32_f32_e32 v38, v38
	v_fmac_f32_e32 v41, 0x32a5705f, v13
	v_sub_f32_e32 v33, v33, v42
	v_add_f32_e32 v32, v32, v39
	v_exp_f32_e32 v31, v31
	v_fma_f32 v45, v3, s5, -v35
	v_rndne_f32_e32 v46, v35
	v_cvt_i32_f32_e32 v40, v40
	v_fmac_f32_e32 v43, 0x32a5705f, v12
	v_sub_f32_e32 v34, v34, v44
	v_add_f32_e32 v33, v33, v41
	v_exp_f32_e32 v32, v32
	v_cvt_i32_f32_e32 v42, v42
	v_fmac_f32_e32 v45, 0x32a5705f, v3
	v_sub_f32_e32 v35, v35, v46
	v_add_f32_e32 v34, v34, v43
	v_exp_f32_e32 v33, v33
	v_cvt_i32_f32_e32 v44, v44
	v_add_f32_e32 v35, v35, v45
	v_exp_f32_e32 v34, v34
	v_cvt_i32_f32_e32 v46, v46
	v_exp_f32_e32 v35, v35
	v_ldexp_f32 v31, v31, v38
	v_cmp_ngt_f32_e32 vcc, s4, v1
	v_ldexp_f32 v32, v32, v40
	v_ldexp_f32 v33, v33, v42
	v_cndmask_b32_e32 v31, 0, v31, vcc
	v_cmp_ngt_f32_e32 vcc, s4, v0
	v_ldexp_f32 v34, v34, v44
	v_mul_f32_e32 v36, 0x3fb8aa3b, v2
	v_cndmask_b32_e32 v32, 0, v32, vcc
	v_cmp_ngt_f32_e32 vcc, s4, v13
	v_ldexp_f32 v35, v35, v46
	v_fma_f32 v47, v2, s5, -v36
	v_cndmask_b32_e32 v33, 0, v33, vcc
	v_cmp_ngt_f32_e32 vcc, s4, v12
	v_rndne_f32_e32 v48, v36
	v_fmac_f32_e32 v47, 0x32a5705f, v2
	v_cndmask_b32_e32 v34, 0, v34, vcc
	v_cmp_ngt_f32_e32 vcc, s4, v3
	v_sub_f32_e32 v36, v36, v48
	v_add_f32_e32 v36, v36, v47
	v_cndmask_b32_e32 v35, 0, v35, vcc
	v_cmp_nlt_f32_e32 vcc, s2, v1
	v_cvt_i32_f32_e32 v48, v48
	v_exp_f32_e32 v36, v36
	v_cndmask_b32_e32 v1, v26, v31, vcc
	v_cmp_nlt_f32_e32 vcc, s2, v0
	s_nop 1
	v_cndmask_b32_e32 v0, v26, v32, vcc
	v_cmp_nlt_f32_e32 vcc, s2, v13
	v_cvt_f16_f32_e32 v31, v0
	v_cvt_f16_f32_e32 v32, v1
	v_cndmask_b32_e32 v13, v26, v33, vcc
	v_cmp_nlt_f32_e32 vcc, s2, v12
	v_pk_mul_f16 v169, v31, v169 op_sel_hi:[0,1]
	v_pk_mul_f16 v170, v31, v170 op_sel_hi:[0,1]
	v_cndmask_b32_e32 v12, v26, v34, vcc
	v_pk_fma_f32 v[24:25], v[24:25], v[0:1], v[12:13]
	v_pk_add_f32 v[12:13], v[16:17], v[10:11] neg_lo:[0,1] neg_hi:[0,1]
	v_pk_mul_f16 v167, v32, v167 op_sel_hi:[0,1]
	v_mul_f32_e32 v1, 0x3fb8aa3b, v13
	v_pk_mul_f16 v166, v32, v166 op_sel_hi:[0,1]
	v_ldexp_f32 v0, v36, v48
	v_cmp_ngt_f32_e32 vcc, s4, v2
	v_fma_f32 v31, v13, s5, -v1
	v_rndne_f32_e32 v32, v1
	v_cndmask_b32_e32 v0, 0, v0, vcc
	v_cmp_nlt_f32_e32 vcc, s2, v2
	v_fmac_f32_e32 v31, 0x32a5705f, v13
	v_sub_f32_e32 v1, v1, v32
	v_cndmask_b32_e32 v0, v26, v0, vcc
	v_add_f32_e32 v1, v1, v31
	v_cvt_f16_f32_e32 v2, v0
	v_exp_f32_e32 v31, v1
	v_cvt_i32_f32_e32 v32, v32
	v_cmp_nlt_f32_e32 vcc, s2, v3
	v_mul_f32_e32 v3, 0x3fb8aa3b, v12
	v_pk_mul_f16 v165, v2, v165 op_sel_hi:[0,1]
	v_pk_mul_f16 v164, v2, v164 op_sel_hi:[0,1]
	v_ldexp_f32 v2, v31, v32
	v_fma_f32 v31, v12, s5, -v3
	v_rndne_f32_e32 v32, v3
	v_fmac_f32_e32 v31, 0x32a5705f, v12
	v_sub_f32_e32 v3, v3, v32
	v_add_f32_e32 v3, v3, v31
	v_exp_f32_e32 v31, v3
	v_cvt_i32_f32_e32 v32, v32
	v_cndmask_b32_e32 v1, v26, v35, vcc
	v_cmp_ngt_f32_e32 vcc, s4, v13
	s_nop 1
	v_cndmask_b32_e32 v2, 0, v2, vcc
	v_cmp_nlt_f32_e32 vcc, s2, v13
	v_cvt_f16_f32_e32 v13, v1
	v_pk_mul_f16 v162, v13, v162 op_sel_hi:[0,1]
	v_cndmask_b32_e32 v3, v26, v2, vcc
	v_ldexp_f32 v2, v31, v32
	v_cmp_ngt_f32_e32 vcc, s4, v12
	v_pk_mul_f16 v163, v13, v163 op_sel_hi:[0,1]
	s_nop 0
	v_cndmask_b32_e32 v2, 0, v2, vcc
	v_cmp_nlt_f32_e32 vcc, s2, v12
	s_nop 1
	v_cndmask_b32_e32 v2, v26, v2, vcc
	v_pk_fma_f32 v[22:23], v[22:23], v[0:1], v[2:3]
	v_max_f32_e32 v0, v5, v5
	v_max_f32_e32 v13, v0, v27
	;; [unrolled: 1-line block ×4, first 2 shown]
	v_pk_add_f32 v[0:1], v[4:5], v[12:13] neg_lo:[0,1] neg_hi:[0,1]
	s_nop 0
	v_mul_f32_e32 v2, 0x3fb8aa3b, v1
	v_fma_f32 v3, v1, s5, -v2
	v_rndne_f32_e32 v4, v2
	v_fmac_f32_e32 v3, 0x32a5705f, v1
	v_sub_f32_e32 v2, v2, v4
	v_add_f32_e32 v2, v2, v3
	v_cvt_i32_f32_e32 v3, v4
	v_mul_f32_e32 v4, 0x3fb8aa3b, v0
	v_fma_f32 v5, v0, s5, -v4
	v_rndne_f32_e32 v27, v4
	v_fmac_f32_e32 v5, 0x32a5705f, v0
	v_sub_f32_e32 v4, v4, v27
	v_exp_f32_e32 v2, v2
	v_add_f32_e32 v4, v4, v5
	v_exp_f32_e32 v4, v4
	v_cvt_i32_f32_e32 v5, v27
	v_ldexp_f32 v2, v2, v3
	v_cmp_ngt_f32_e32 vcc, s4, v1
	s_nop 1
	v_cndmask_b32_e32 v27, 0, v2, vcc
	v_ldexp_f32 v2, v4, v5
	v_cmp_ngt_f32_e32 vcc, s4, v0
	s_nop 1
	v_cndmask_b32_e32 v2, 0, v2, vcc
	v_cmp_nlt_f32_e32 vcc, s2, v0
	s_nop 1
	v_cndmask_b32_e32 v0, v26, v2, vcc
	v_pk_add_f32 v[2:3], v[14:15], v[12:13] neg_lo:[0,1] neg_hi:[0,1]
	v_cvt_f16_f32_e32 v4, v0
	v_mul_f32_e32 v5, 0x3fb8aa3b, v3
	v_fma_f32 v14, v3, s5, -v5
	v_rndne_f32_e32 v15, v5
	v_fmac_f32_e32 v14, 0x32a5705f, v3
	v_sub_f32_e32 v5, v5, v15
	v_add_f32_e32 v5, v5, v14
	v_exp_f32_e32 v5, v5
	v_cvt_i32_f32_e32 v14, v15
	v_pk_mul_f16 v160, v4, v160 op_sel_hi:[0,1]
	v_pk_mul_f16 v161, v4, v161 op_sel_hi:[0,1]
	v_cmp_nlt_f32_e32 vcc, s2, v1
	v_ldexp_f32 v4, v5, v14
	v_mul_f32_e32 v5, 0x3fb8aa3b, v2
	v_fma_f32 v14, v2, s5, -v5
	v_rndne_f32_e32 v15, v5
	v_fmac_f32_e32 v14, 0x32a5705f, v2
	v_sub_f32_e32 v5, v5, v15
	v_add_f32_e32 v5, v5, v14
	v_exp_f32_e32 v5, v5
	v_cvt_i32_f32_e32 v14, v15
	v_cndmask_b32_e32 v1, v26, v27, vcc
	v_cmp_ngt_f32_e32 vcc, s4, v3
	s_nop 1
	v_cndmask_b32_e32 v4, 0, v4, vcc
	v_cmp_nlt_f32_e32 vcc, s2, v3
	s_nop 1
	v_cndmask_b32_e32 v3, v26, v4, vcc
	v_ldexp_f32 v4, v5, v14
	v_cmp_ngt_f32_e32 vcc, s4, v2
	v_cvt_f16_f32_e32 v5, v1
	v_pk_mul_f16 v158, v5, v158 op_sel_hi:[0,1]
	v_cndmask_b32_e32 v4, 0, v4, vcc
	v_cmp_nlt_f32_e32 vcc, s2, v2
	v_pk_mul_f16 v159, v5, v159 op_sel_hi:[0,1]
	s_nop 0
	v_cndmask_b32_e32 v2, v26, v4, vcc
	v_pk_fma_f32 v[20:21], v[20:21], v[0:1], v[2:3]
	v_max_f32_e32 v0, v7, v7
	v_max_f32_e32 v15, v0, v29
	;; [unrolled: 1-line block ×4, first 2 shown]
	v_pk_add_f32 v[0:1], v[6:7], v[14:15] neg_lo:[0,1] neg_hi:[0,1]
	s_nop 0
	v_mul_f32_e32 v2, 0x3fb8aa3b, v1
	v_fma_f32 v3, v1, s5, -v2
	v_rndne_f32_e32 v4, v2
	v_fmac_f32_e32 v3, 0x32a5705f, v1
	v_sub_f32_e32 v2, v2, v4
	v_add_f32_e32 v2, v2, v3
	v_cvt_i32_f32_e32 v3, v4
	v_mul_f32_e32 v4, 0x3fb8aa3b, v0
	v_fma_f32 v5, v0, s5, -v4
	v_rndne_f32_e32 v6, v4
	v_fmac_f32_e32 v5, 0x32a5705f, v0
	v_sub_f32_e32 v4, v4, v6
	v_exp_f32_e32 v2, v2
	v_add_f32_e32 v4, v4, v5
	v_exp_f32_e32 v4, v4
	v_cvt_i32_f32_e32 v5, v6
	v_ldexp_f32 v2, v2, v3
	v_cmp_ngt_f32_e32 vcc, s4, v1
	s_nop 1
	v_cndmask_b32_e32 v6, 0, v2, vcc
	v_ldexp_f32 v2, v4, v5
	v_cmp_ngt_f32_e32 vcc, s4, v0
	s_nop 1
	v_cndmask_b32_e32 v2, 0, v2, vcc
	v_cmp_nlt_f32_e32 vcc, s2, v0
	s_nop 1
	v_cndmask_b32_e32 v0, v26, v2, vcc
	v_pk_add_f32 v[2:3], v[16:17], v[14:15] neg_lo:[0,1] neg_hi:[0,1]
	v_cvt_f16_f32_e32 v4, v0
	v_mul_f32_e32 v5, 0x3fb8aa3b, v3
	v_fma_f32 v7, v3, s5, -v5
	v_rndne_f32_e32 v16, v5
	v_fmac_f32_e32 v7, 0x32a5705f, v3
	v_sub_f32_e32 v5, v5, v16
	v_add_f32_e32 v5, v5, v7
	v_exp_f32_e32 v5, v5
	v_cvt_i32_f32_e32 v7, v16
	v_cmp_nlt_f32_e32 vcc, s2, v1
	v_pk_mul_f16 v156, v4, v156 op_sel_hi:[0,1]
	v_pk_mul_f16 v157, v4, v157 op_sel_hi:[0,1]
	v_ldexp_f32 v4, v5, v7
	v_mul_f32_e32 v5, 0x3fb8aa3b, v2
	v_cndmask_b32_e32 v1, v26, v6, vcc
	v_fma_f32 v6, v2, s5, -v5
	v_rndne_f32_e32 v7, v5
	v_fmac_f32_e32 v6, 0x32a5705f, v2
	v_sub_f32_e32 v5, v5, v7
	v_add_f32_e32 v5, v5, v6
	v_exp_f32_e32 v5, v5
	v_cvt_i32_f32_e32 v6, v7
	v_cmp_ngt_f32_e32 vcc, s4, v3
	s_nop 1
	v_cndmask_b32_e32 v4, 0, v4, vcc
	v_cmp_nlt_f32_e32 vcc, s2, v3
	s_nop 1
	v_cndmask_b32_e32 v3, v26, v4, vcc
	v_ldexp_f32 v4, v5, v6
	v_cvt_f16_f32_e32 v5, v1
	v_cmp_ngt_f32_e32 vcc, s4, v2
	v_pk_mul_f16 v154, v5, v154 op_sel_hi:[0,1]
	s_nop 0
	v_cndmask_b32_e32 v4, 0, v4, vcc
	v_cmp_nlt_f32_e32 vcc, s2, v2
	v_pk_mul_f16 v155, v5, v155 op_sel_hi:[0,1]
	s_nop 0
	v_cndmask_b32_e32 v2, v26, v4, vcc
	v_pk_fma_f32 v[18:19], v[18:19], v[0:1], v[2:3]
	v_mov_b64_e32 v[0:1], v[8:9]
	v_mov_b64_e32 v[2:3], v[10:11]
	;; [unrolled: 1-line block ×4, first 2 shown]
.LBB17_47:
	v_lshlrev_b32_e32 v8, 1, v153
	v_add_u32_e32 v9, s33, v8
	v_cmp_gt_i32_e32 vcc, s66, v9
	s_and_saveexec_b64 s[4:5], vcc
	s_cbranch_execz .LBB17_96
; %bb.48:
	s_load_dword s2, s[0:1], 0xd4
	v_mov_b32_e32 v10, 1.0
	s_waitcnt lgkmcnt(0)
	s_cmp_lg_u32 s2, 1
	s_cselect_b64 s[0:1], -1, 0
	s_cmp_eq_u32 s2, 1
	s_cselect_b64 s[6:7], -1, 0
	s_and_b64 vcc, exec, s[0:1]
	s_cbranch_vccnz .LBB17_50
; %bb.49:
	v_div_scale_f32 v9, s[4:5], v24, v24, 1.0
	v_rcp_f32_e32 v10, v9
	v_div_scale_f32 v11, vcc, 1.0, v24, 1.0
	v_fma_f32 v12, -v9, v10, 1.0
	v_fmac_f32_e32 v10, v12, v10
	v_mul_f32_e32 v12, v11, v10
	v_fma_f32 v13, -v9, v12, v11
	v_fmac_f32_e32 v12, v13, v10
	v_fma_f32 v9, -v9, v12, v11
	v_div_fmas_f32 v9, v9, v10, v12
	v_div_fixup_f32 v10, v9, v24, 1.0
.LBB17_50:
	s_mul_i32 s8, s74, s66
	s_add_i32 s8, s8, s33
	v_add_u32_e32 v8, s8, v8
	v_mul_lo_u32 v11, v8, s67
	v_add_u32_e32 v8, s68, v11
	v_mul_lo_u32 v8, s2, v8
	v_add_u32_e32 v8, s3, v8
	s_and_saveexec_b64 s[4:5], s[48:49]
	s_cbranch_execz .LBB17_52
; %bb.51:
	v_cvt_f32_f16_sdwa v15, v169 dst_sel:DWORD dst_unused:UNUSED_PAD src0_sel:WORD_1
	v_cvt_f32_f16_e32 v14, v169
	v_cvt_f32_f16_sdwa v17, v170 dst_sel:DWORD dst_unused:UNUSED_PAD src0_sel:WORD_1
	v_cvt_f32_f16_e32 v16, v170
	s_movk_i32 s9, 0x70
	v_mad_u64_u32 v[12:13], s[10:11], v8, s9, v[104:105]
	v_mov_b32_e32 v13, 0
	v_lshl_add_u64 v[26:27], v[12:13], 2, s[60:61]
	v_pk_mul_f32 v[12:13], v[10:11], v[14:15] op_sel_hi:[0,1]
	v_pk_mul_f32 v[14:15], v[10:11], v[16:17] op_sel_hi:[0,1]
	global_store_dwordx4 v[26:27], v[12:15], off
.LBB17_52:
	s_or_b64 exec, exec, s[4:5]
	v_cmp_eq_u32_e32 vcc, 0, v152
	s_and_b64 s[4:5], vcc, s[0:1]
	s_and_saveexec_b64 s[0:1], s[4:5]
	s_cbranch_execz .LBB17_54
; %bb.53:
	v_ashrrev_i32_e32 v9, 31, v8
	v_lshl_add_u64 v[8:9], v[8:9], 3, s[62:63]
	v_mov_b32_e32 v12, v0
	v_mov_b32_e32 v13, v24
	global_store_dwordx2 v[8:9], v[12:13], off
.LBB17_54:
	s_or_b64 exec, exec, s[0:1]
	v_cndmask_b32_e64 v0, 0, 1, s[6:7]
	v_cmp_ne_u32_e64 s[0:1], 1, v0
	s_andn2_b64 vcc, exec, s[6:7]
	v_mov_b32_e32 v0, 1.0
	s_cbranch_vccnz .LBB17_56
; %bb.55:
	v_div_scale_f32 v0, s[6:7], v25, v25, 1.0
	v_rcp_f32_e32 v8, v0
	v_div_scale_f32 v9, vcc, 1.0, v25, 1.0
	v_fma_f32 v10, -v0, v8, 1.0
	v_fmac_f32_e32 v8, v10, v8
	v_mul_f32_e32 v10, v9, v8
	v_fma_f32 v12, -v0, v10, v9
	v_fmac_f32_e32 v10, v12, v8
	v_fma_f32 v0, -v0, v10, v9
	v_div_fmas_f32 v0, v0, v8, v10
	v_div_fixup_f32 v0, v0, v25, 1.0
.LBB17_56:
	s_add_i32 s11, s68, 1
	v_add_u32_e32 v8, s11, v11
	v_mul_lo_u32 v8, s2, v8
	v_add_u32_e32 v8, s3, v8
	s_and_saveexec_b64 s[6:7], s[48:49]
	s_cbranch_execnz .LBB17_97
; %bb.57:
	s_or_b64 exec, exec, s[6:7]
	s_and_saveexec_b64 s[6:7], s[4:5]
	s_cbranch_execnz .LBB17_98
.LBB17_58:
	s_or_b64 exec, exec, s[6:7]
	s_and_b64 vcc, exec, s[0:1]
	v_mov_b32_e32 v8, 1.0
	s_cbranch_vccnz .LBB17_60
.LBB17_59:
	v_div_scale_f32 v0, s[6:7], v22, v22, 1.0
	v_rcp_f32_e32 v1, v0
	v_div_scale_f32 v8, vcc, 1.0, v22, 1.0
	v_fma_f32 v9, -v0, v1, 1.0
	v_fmac_f32_e32 v1, v9, v1
	v_mul_f32_e32 v9, v8, v1
	v_fma_f32 v10, -v0, v9, v8
	v_fmac_f32_e32 v9, v10, v1
	v_fma_f32 v0, -v0, v9, v8
	v_div_fmas_f32 v0, v0, v1, v9
	v_div_fixup_f32 v8, v0, v22, 1.0
.LBB17_60:
	s_add_i32 s10, s68, 2
	v_add_u32_e32 v0, s10, v11
	v_mul_lo_u32 v0, s2, v0
	v_add_u32_e32 v0, s3, v0
	s_and_saveexec_b64 s[6:7], s[48:49]
	s_cbranch_execnz .LBB17_99
; %bb.61:
	s_or_b64 exec, exec, s[6:7]
	s_and_saveexec_b64 s[6:7], s[4:5]
	s_cbranch_execnz .LBB17_100
.LBB17_62:
	s_or_b64 exec, exec, s[6:7]
	s_and_b64 vcc, exec, s[0:1]
	v_mov_b32_e32 v2, 1.0
	s_cbranch_vccnz .LBB17_64
.LBB17_63:
	v_div_scale_f32 v0, s[6:7], v23, v23, 1.0
	v_rcp_f32_e32 v1, v0
	v_div_scale_f32 v2, vcc, 1.0, v23, 1.0
	v_fma_f32 v8, -v0, v1, 1.0
	v_fmac_f32_e32 v1, v8, v1
	v_mul_f32_e32 v8, v2, v1
	v_fma_f32 v9, -v0, v8, v2
	v_fmac_f32_e32 v8, v9, v1
	v_fma_f32 v0, -v0, v8, v2
	v_div_fmas_f32 v0, v0, v1, v8
	v_div_fixup_f32 v2, v0, v23, 1.0
.LBB17_64:
	s_add_i32 s9, s68, 3
	v_add_u32_e32 v0, s9, v11
	v_mul_lo_u32 v0, s2, v0
	v_add_u32_e32 v0, s3, v0
	s_and_saveexec_b64 s[6:7], s[48:49]
	s_cbranch_execz .LBB17_66
; %bb.65:
	v_cvt_f32_f16_sdwa v11, v162 dst_sel:DWORD dst_unused:UNUSED_PAD src0_sel:WORD_1
	v_cvt_f32_f16_e32 v10, v162
	v_cvt_f32_f16_sdwa v13, v163 dst_sel:DWORD dst_unused:UNUSED_PAD src0_sel:WORD_1
	v_cvt_f32_f16_e32 v12, v163
	s_movk_i32 s12, 0x70
	v_mad_u64_u32 v[8:9], s[12:13], v0, s12, v[104:105]
	v_mov_b32_e32 v9, 0
	v_lshl_add_u64 v[14:15], v[8:9], 2, s[60:61]
	v_pk_mul_f32 v[8:9], v[2:3], v[10:11] op_sel_hi:[0,1]
	v_pk_mul_f32 v[10:11], v[2:3], v[12:13] op_sel_hi:[0,1]
	global_store_dwordx4 v[14:15], v[8:11], off
.LBB17_66:
	s_or_b64 exec, exec, s[6:7]
	s_and_saveexec_b64 s[6:7], s[4:5]
	s_cbranch_execz .LBB17_68
; %bb.67:
	v_ashrrev_i32_e32 v1, 31, v0
	v_lshl_add_u64 v[0:1], v[0:1], 3, s[62:63]
	v_mov_b32_e32 v22, v3
	global_store_dwordx2 v[0:1], v[22:23], off
.LBB17_68:
	s_or_b64 exec, exec, s[6:7]
	v_add_u32_e32 v0, s33, v151
	v_cmp_gt_i32_e32 vcc, s66, v0
	s_and_b64 exec, exec, vcc
	s_cbranch_execz .LBB17_96
; %bb.69:
	s_and_b64 vcc, exec, s[0:1]
	v_mov_b32_e32 v2, 1.0
	s_cbranch_vccnz .LBB17_71
; %bb.70:
	v_div_scale_f32 v0, s[6:7], v20, v20, 1.0
	v_rcp_f32_e32 v1, v0
	v_div_scale_f32 v2, vcc, 1.0, v20, 1.0
	v_fma_f32 v3, -v0, v1, 1.0
	v_fmac_f32_e32 v1, v3, v1
	v_mul_f32_e32 v3, v2, v1
	v_fma_f32 v8, -v0, v3, v2
	v_fmac_f32_e32 v3, v8, v1
	v_fma_f32 v0, -v0, v3, v2
	v_div_fmas_f32 v0, v0, v1, v3
	v_div_fixup_f32 v2, v0, v20, 1.0
.LBB17_71:
	v_add_u32_e32 v0, s8, v151
	v_mul_lo_u32 v0, v0, s67
	v_add_u32_e32 v0, s68, v0
	v_mul_lo_u32 v0, s2, v0
	v_add_u32_e32 v0, s3, v0
	s_and_saveexec_b64 s[6:7], s[48:49]
	s_cbranch_execz .LBB17_73
; %bb.72:
	v_cvt_f32_f16_sdwa v11, v160 dst_sel:DWORD dst_unused:UNUSED_PAD src0_sel:WORD_1
	v_cvt_f32_f16_e32 v10, v160
	v_cvt_f32_f16_sdwa v13, v161 dst_sel:DWORD dst_unused:UNUSED_PAD src0_sel:WORD_1
	v_cvt_f32_f16_e32 v12, v161
	s_movk_i32 s12, 0x70
	v_mad_u64_u32 v[8:9], s[12:13], v0, s12, v[104:105]
	v_mov_b32_e32 v9, 0
	v_lshl_add_u64 v[14:15], v[8:9], 2, s[60:61]
	v_pk_mul_f32 v[8:9], v[2:3], v[10:11] op_sel_hi:[0,1]
	v_pk_mul_f32 v[10:11], v[2:3], v[12:13] op_sel_hi:[0,1]
	global_store_dwordx4 v[14:15], v[8:11], off
.LBB17_73:
	s_or_b64 exec, exec, s[6:7]
	s_and_saveexec_b64 s[6:7], s[4:5]
	s_cbranch_execz .LBB17_75
; %bb.74:
	v_ashrrev_i32_e32 v1, 31, v0
	v_lshl_add_u64 v[0:1], v[0:1], 3, s[62:63]
	v_mov_b32_e32 v2, v4
	v_mov_b32_e32 v3, v20
	global_store_dwordx2 v[0:1], v[2:3], off
.LBB17_75:
	s_or_b64 exec, exec, s[6:7]
	v_lshrrev_b32_e32 v0, 2, v150
	v_add_u32_e32 v1, s33, v0
	v_cmp_gt_i32_e32 vcc, s66, v1
	s_and_b64 exec, exec, vcc
	s_cbranch_execz .LBB17_96
; %bb.76:
	s_and_b64 vcc, exec, s[0:1]
	v_mov_b32_e32 v2, 1.0
	s_cbranch_vccnz .LBB17_78
; %bb.77:
	v_div_scale_f32 v1, s[6:7], v21, v21, 1.0
	v_rcp_f32_e32 v2, v1
	v_div_scale_f32 v3, vcc, 1.0, v21, 1.0
	v_fma_f32 v4, -v1, v2, 1.0
	v_fmac_f32_e32 v2, v4, v2
	v_mul_f32_e32 v4, v3, v2
	v_fma_f32 v8, -v1, v4, v3
	v_fmac_f32_e32 v4, v8, v2
	v_fma_f32 v1, -v1, v4, v3
	v_div_fmas_f32 v1, v1, v2, v4
	v_div_fixup_f32 v2, v1, v21, 1.0
.LBB17_78:
	v_add_u32_e32 v0, s8, v0
	v_mul_lo_u32 v0, v0, s67
	v_add_u32_e32 v0, s11, v0
	v_mul_lo_u32 v0, s2, v0
	v_add_u32_e32 v0, s3, v0
	s_and_saveexec_b64 s[6:7], s[48:49]
	s_cbranch_execz .LBB17_80
; %bb.79:
	v_cvt_f32_f16_sdwa v11, v158 dst_sel:DWORD dst_unused:UNUSED_PAD src0_sel:WORD_1
	v_cvt_f32_f16_e32 v10, v158
	v_cvt_f32_f16_sdwa v13, v159 dst_sel:DWORD dst_unused:UNUSED_PAD src0_sel:WORD_1
	v_cvt_f32_f16_e32 v12, v159
	s_movk_i32 s11, 0x70
	v_mad_u64_u32 v[8:9], s[12:13], v0, s11, v[104:105]
	v_mov_b32_e32 v9, 0
	v_lshl_add_u64 v[14:15], v[8:9], 2, s[60:61]
	v_pk_mul_f32 v[8:9], v[2:3], v[10:11] op_sel_hi:[0,1]
	v_pk_mul_f32 v[10:11], v[2:3], v[12:13] op_sel_hi:[0,1]
	global_store_dwordx4 v[14:15], v[8:11], off
.LBB17_80:
	s_or_b64 exec, exec, s[6:7]
	s_and_saveexec_b64 s[6:7], s[4:5]
	s_cbranch_execz .LBB17_82
; %bb.81:
	v_ashrrev_i32_e32 v1, 31, v0
	v_lshl_add_u64 v[0:1], v[0:1], 3, s[62:63]
	v_mov_b32_e32 v20, v5
	global_store_dwordx2 v[0:1], v[20:21], off
.LBB17_82:
	s_or_b64 exec, exec, s[6:7]
	v_lshrrev_b32_e32 v0, 2, v127
	v_add_u32_e32 v1, s33, v0
	v_cmp_gt_i32_e32 vcc, s66, v1
	s_and_b64 exec, exec, vcc
	s_cbranch_execz .LBB17_96
; %bb.83:
	s_and_b64 vcc, exec, s[0:1]
	v_mov_b32_e32 v2, 1.0
	s_cbranch_vccnz .LBB17_85
; %bb.84:
	v_div_scale_f32 v1, s[6:7], v18, v18, 1.0
	v_rcp_f32_e32 v2, v1
	v_div_scale_f32 v3, vcc, 1.0, v18, 1.0
	v_fma_f32 v4, -v1, v2, 1.0
	v_fmac_f32_e32 v2, v4, v2
	v_mul_f32_e32 v4, v3, v2
	v_fma_f32 v5, -v1, v4, v3
	v_fmac_f32_e32 v4, v5, v2
	v_fma_f32 v1, -v1, v4, v3
	v_div_fmas_f32 v1, v1, v2, v4
	v_div_fixup_f32 v2, v1, v18, 1.0
.LBB17_85:
	v_add_u32_e32 v0, s8, v0
	v_mul_lo_u32 v0, v0, s67
	v_add_u32_e32 v0, s10, v0
	v_mul_lo_u32 v0, s2, v0
	v_add_u32_e32 v0, s3, v0
	s_and_saveexec_b64 s[6:7], s[48:49]
	s_cbranch_execz .LBB17_87
; %bb.86:
	v_cvt_f32_f16_sdwa v9, v156 dst_sel:DWORD dst_unused:UNUSED_PAD src0_sel:WORD_1
	v_cvt_f32_f16_e32 v8, v156
	v_cvt_f32_f16_sdwa v11, v157 dst_sel:DWORD dst_unused:UNUSED_PAD src0_sel:WORD_1
	v_cvt_f32_f16_e32 v10, v157
	s_movk_i32 s10, 0x70
	v_mad_u64_u32 v[4:5], s[10:11], v0, s10, v[104:105]
	v_mov_b32_e32 v5, 0
	v_lshl_add_u64 v[4:5], v[4:5], 2, s[60:61]
	v_pk_mul_f32 v[8:9], v[2:3], v[8:9] op_sel_hi:[0,1]
	v_pk_mul_f32 v[10:11], v[2:3], v[10:11] op_sel_hi:[0,1]
	global_store_dwordx4 v[4:5], v[8:11], off
.LBB17_87:
	s_or_b64 exec, exec, s[6:7]
	s_and_saveexec_b64 s[6:7], s[4:5]
	s_cbranch_execz .LBB17_89
; %bb.88:
	v_ashrrev_i32_e32 v1, 31, v0
	v_lshl_add_u64 v[0:1], v[0:1], 3, s[62:63]
	v_mov_b32_e32 v2, v6
	v_mov_b32_e32 v3, v18
	global_store_dwordx2 v[0:1], v[2:3], off
.LBB17_89:
	s_or_b64 exec, exec, s[6:7]
	v_lshrrev_b32_e32 v0, 2, v105
	v_add_u32_e32 v1, s33, v0
	v_cmp_gt_i32_e32 vcc, s66, v1
	s_and_b64 exec, exec, vcc
	s_cbranch_execz .LBB17_96
; %bb.90:
	s_and_b64 vcc, exec, s[0:1]
	v_mov_b32_e32 v2, 1.0
	s_cbranch_vccnz .LBB17_92
; %bb.91:
	v_div_scale_f32 v1, s[0:1], v19, v19, 1.0
	v_rcp_f32_e32 v2, v1
	v_div_scale_f32 v3, vcc, 1.0, v19, 1.0
	v_fma_f32 v4, -v1, v2, 1.0
	v_fmac_f32_e32 v2, v4, v2
	v_mul_f32_e32 v4, v3, v2
	v_fma_f32 v5, -v1, v4, v3
	v_fmac_f32_e32 v4, v5, v2
	v_fma_f32 v1, -v1, v4, v3
	v_div_fmas_f32 v1, v1, v2, v4
	v_div_fixup_f32 v2, v1, v19, 1.0
.LBB17_92:
	v_add_u32_e32 v0, s8, v0
	v_mul_lo_u32 v0, v0, s67
	v_add_u32_e32 v0, s9, v0
	v_mul_lo_u32 v0, s2, v0
	v_add_u32_e32 v0, s3, v0
	s_and_saveexec_b64 s[0:1], s[48:49]
	s_cbranch_execz .LBB17_94
; %bb.93:
	v_cvt_f32_f16_sdwa v9, v154 dst_sel:DWORD dst_unused:UNUSED_PAD src0_sel:WORD_1
	v_cvt_f32_f16_e32 v8, v154
	v_cvt_f32_f16_sdwa v11, v155 dst_sel:DWORD dst_unused:UNUSED_PAD src0_sel:WORD_1
	v_cvt_f32_f16_e32 v10, v155
	s_movk_i32 s2, 0x70
	v_mad_u64_u32 v[4:5], s[2:3], v0, s2, v[104:105]
	v_mov_b32_e32 v5, 0
	v_lshl_add_u64 v[4:5], v[4:5], 2, s[60:61]
	v_pk_mul_f32 v[8:9], v[2:3], v[8:9] op_sel_hi:[0,1]
	v_pk_mul_f32 v[10:11], v[2:3], v[10:11] op_sel_hi:[0,1]
	global_store_dwordx4 v[4:5], v[8:11], off
.LBB17_94:
	s_or_b64 exec, exec, s[0:1]
	s_and_b64 exec, exec, s[4:5]
	s_cbranch_execz .LBB17_96
; %bb.95:
	v_ashrrev_i32_e32 v1, 31, v0
	v_lshl_add_u64 v[0:1], v[0:1], 3, s[62:63]
	v_mov_b32_e32 v18, v7
	global_store_dwordx2 v[0:1], v[18:19], off
.LBB17_96:
	s_endpgm
.LBB17_97:
	v_cvt_f32_f16_sdwa v15, v167 dst_sel:DWORD dst_unused:UNUSED_PAD src0_sel:WORD_1
	v_cvt_f32_f16_e32 v14, v167
	v_cvt_f32_f16_sdwa v17, v166 dst_sel:DWORD dst_unused:UNUSED_PAD src0_sel:WORD_1
	v_cvt_f32_f16_e32 v16, v166
	s_movk_i32 s9, 0x70
	v_mad_u64_u32 v[12:13], s[12:13], v8, s9, v[104:105]
	v_mov_b32_e32 v13, 0
	v_lshl_add_u64 v[26:27], v[12:13], 2, s[60:61]
	v_pk_mul_f32 v[12:13], v[0:1], v[14:15] op_sel_hi:[0,1]
	v_pk_mul_f32 v[14:15], v[0:1], v[16:17] op_sel_hi:[0,1]
	global_store_dwordx4 v[26:27], v[12:15], off
	s_or_b64 exec, exec, s[6:7]
	s_and_saveexec_b64 s[6:7], s[4:5]
	s_cbranch_execz .LBB17_58
.LBB17_98:
	v_ashrrev_i32_e32 v9, 31, v8
	v_lshl_add_u64 v[8:9], v[8:9], 3, s[62:63]
	v_mov_b32_e32 v24, v1
	global_store_dwordx2 v[8:9], v[24:25], off
	s_or_b64 exec, exec, s[6:7]
	s_and_b64 vcc, exec, s[0:1]
	v_mov_b32_e32 v8, 1.0
	s_cbranch_vccz .LBB17_59
	s_branch .LBB17_60
.LBB17_99:
	v_cvt_f32_f16_sdwa v15, v165 dst_sel:DWORD dst_unused:UNUSED_PAD src0_sel:WORD_1
	v_cvt_f32_f16_e32 v14, v165
	v_cvt_f32_f16_sdwa v17, v164 dst_sel:DWORD dst_unused:UNUSED_PAD src0_sel:WORD_1
	v_cvt_f32_f16_e32 v16, v164
	s_movk_i32 s9, 0x70
	v_mad_u64_u32 v[12:13], s[12:13], v0, s9, v[104:105]
	v_mov_b32_e32 v13, 0
	v_lshl_add_u64 v[24:25], v[12:13], 2, s[60:61]
	v_pk_mul_f32 v[12:13], v[8:9], v[14:15] op_sel_hi:[0,1]
	v_pk_mul_f32 v[14:15], v[8:9], v[16:17] op_sel_hi:[0,1]
	global_store_dwordx4 v[24:25], v[12:15], off
	s_or_b64 exec, exec, s[6:7]
	s_and_saveexec_b64 s[6:7], s[4:5]
	s_cbranch_execz .LBB17_62
.LBB17_100:
	v_ashrrev_i32_e32 v1, 31, v0
	v_lshl_add_u64 v[0:1], v[0:1], 3, s[62:63]
	v_mov_b32_e32 v8, v2
	v_mov_b32_e32 v9, v22
	global_store_dwordx2 v[0:1], v[8:9], off
	s_or_b64 exec, exec, s[6:7]
	s_and_b64 vcc, exec, s[0:1]
	v_mov_b32_e32 v2, 1.0
	s_cbranch_vccz .LBB17_63
	s_branch .LBB17_64
	.section	.rodata,"a",@progbits
	.p2align	6, 0x0
	.amdhsa_kernel _ZL15flash_attn_tileILi112ELi112ELi16ELi4ELb0EEvPKcS1_S1_S1_S1_PKiPfP15HIP_vector_typeIfLj2EEffffjfiS5_IjLj3EEiiiiiiiiiiiliiliiiiil
		.amdhsa_group_segment_fixed_size 22592
		.amdhsa_private_segment_fixed_size 0
		.amdhsa_kernarg_size 464
		.amdhsa_user_sgpr_count 2
		.amdhsa_user_sgpr_dispatch_ptr 0
		.amdhsa_user_sgpr_queue_ptr 0
		.amdhsa_user_sgpr_kernarg_segment_ptr 1
		.amdhsa_user_sgpr_dispatch_id 0
		.amdhsa_user_sgpr_kernarg_preload_length 0
		.amdhsa_user_sgpr_kernarg_preload_offset 0
		.amdhsa_user_sgpr_private_segment_size 0
		.amdhsa_uses_dynamic_stack 0
		.amdhsa_enable_private_segment 0
		.amdhsa_system_sgpr_workgroup_id_x 1
		.amdhsa_system_sgpr_workgroup_id_y 1
		.amdhsa_system_sgpr_workgroup_id_z 1
		.amdhsa_system_sgpr_workgroup_info 0
		.amdhsa_system_vgpr_workitem_id 1
		.amdhsa_next_free_vgpr 198
		.amdhsa_next_free_sgpr 79
		.amdhsa_accum_offset 200
		.amdhsa_reserve_vcc 1
		.amdhsa_float_round_mode_32 0
		.amdhsa_float_round_mode_16_64 0
		.amdhsa_float_denorm_mode_32 3
		.amdhsa_float_denorm_mode_16_64 3
		.amdhsa_dx10_clamp 1
		.amdhsa_ieee_mode 1
		.amdhsa_fp16_overflow 0
		.amdhsa_tg_split 0
		.amdhsa_exception_fp_ieee_invalid_op 0
		.amdhsa_exception_fp_denorm_src 0
		.amdhsa_exception_fp_ieee_div_zero 0
		.amdhsa_exception_fp_ieee_overflow 0
		.amdhsa_exception_fp_ieee_underflow 0
		.amdhsa_exception_fp_ieee_inexact 0
		.amdhsa_exception_int_div_zero 0
	.end_amdhsa_kernel
	.section	.text._ZL15flash_attn_tileILi112ELi112ELi16ELi4ELb0EEvPKcS1_S1_S1_S1_PKiPfP15HIP_vector_typeIfLj2EEffffjfiS5_IjLj3EEiiiiiiiiiiiliiliiiiil,"axG",@progbits,_ZL15flash_attn_tileILi112ELi112ELi16ELi4ELb0EEvPKcS1_S1_S1_S1_PKiPfP15HIP_vector_typeIfLj2EEffffjfiS5_IjLj3EEiiiiiiiiiiiliiliiiiil,comdat
.Lfunc_end17:
	.size	_ZL15flash_attn_tileILi112ELi112ELi16ELi4ELb0EEvPKcS1_S1_S1_S1_PKiPfP15HIP_vector_typeIfLj2EEffffjfiS5_IjLj3EEiiiiiiiiiiiliiliiiiil, .Lfunc_end17-_ZL15flash_attn_tileILi112ELi112ELi16ELi4ELb0EEvPKcS1_S1_S1_S1_PKiPfP15HIP_vector_typeIfLj2EEffffjfiS5_IjLj3EEiiiiiiiiiiiliiliiiiil
                                        ; -- End function
	.section	.AMDGPU.csdata,"",@progbits
; Kernel info:
; codeLenInByte = 21876
; NumSgprs: 85
; NumVgprs: 198
; NumAgprs: 0
; TotalNumVgprs: 198
; ScratchSize: 0
; MemoryBound: 0
; FloatMode: 240
; IeeeMode: 1
; LDSByteSize: 22592 bytes/workgroup (compile time only)
; SGPRBlocks: 10
; VGPRBlocks: 24
; NumSGPRsForWavesPerEU: 85
; NumVGPRsForWavesPerEU: 198
; AccumOffset: 200
; Occupancy: 2
; WaveLimiterHint : 1
; COMPUTE_PGM_RSRC2:SCRATCH_EN: 0
; COMPUTE_PGM_RSRC2:USER_SGPR: 2
; COMPUTE_PGM_RSRC2:TRAP_HANDLER: 0
; COMPUTE_PGM_RSRC2:TGID_X_EN: 1
; COMPUTE_PGM_RSRC2:TGID_Y_EN: 1
; COMPUTE_PGM_RSRC2:TGID_Z_EN: 1
; COMPUTE_PGM_RSRC2:TIDIG_COMP_CNT: 1
; COMPUTE_PGM_RSRC3_GFX90A:ACCUM_OFFSET: 49
; COMPUTE_PGM_RSRC3_GFX90A:TG_SPLIT: 0
	.section	.text._ZL25flash_attn_mask_to_KV_maxILi16EEvPK7__half2Piiii,"axG",@progbits,_ZL25flash_attn_mask_to_KV_maxILi16EEvPK7__half2Piiii,comdat
	.globl	_ZL25flash_attn_mask_to_KV_maxILi16EEvPK7__half2Piiii ; -- Begin function _ZL25flash_attn_mask_to_KV_maxILi16EEvPK7__half2Piiii
	.p2align	8
	.type	_ZL25flash_attn_mask_to_KV_maxILi16EEvPK7__half2Piiii,@function
_ZL25flash_attn_mask_to_KV_maxILi16EEvPK7__half2Piiii: ; @_ZL25flash_attn_mask_to_KV_maxILi16EEvPK7__half2Piiii
; %bb.0:
	s_load_dwordx4 s[4:7], s[0:1], 0x0
	v_cmp_gt_u32_e32 vcc, 32, v0
	s_and_saveexec_b64 s[8:9], vcc
	s_cbranch_execz .LBB18_2
; %bb.1:
	v_lshlrev_b32_e32 v1, 2, v0
	v_mov_b32_e32 v2, 1
	ds_write_b32 v1, v2
.LBB18_2:
	s_or_b64 exec, exec, s[8:9]
	s_load_dwordx4 s[8:11], s[0:1], 0x10
	s_load_dword s33, s[0:1], 0x20
	v_and_b32_e32 v2, 31, v0
	v_lshlrev_b32_e32 v6, 2, v2
	v_lshrrev_b32_e32 v1, 3, v0
	s_waitcnt lgkmcnt(0)
	s_mul_i32 s1, s2, s9
	s_mul_i32 s0, s3, s10
	s_lshl_b32 s1, s1, 4
	s_add_i32 s0, s0, s1
	s_ashr_i32 s1, s0, 31
	s_lshl_b64 s[0:1], s[0:1], 2
	s_add_u32 s10, s4, s0
	s_addc_u32 s11, s5, s1
	v_cmp_eq_u32_e64 s[0:1], 0, v2
	v_mbcnt_lo_u32_b32 v2, -1, 0
	s_lshl_b32 s8, s8, 8
	s_mov_b64 s[12:13], 0
	v_mov_b32_e32 v3, 0
	s_movk_i32 s76, 0x204
	s_movk_i32 s77, 0x7fff
	;; [unrolled: 1-line block ×3, first 2 shown]
	v_mbcnt_hi_u32_b32 v7, -1, v2
	s_barrier
	s_waitcnt lgkmcnt(0)
                                        ; implicit-def: $sgpr4_sgpr5
	s_branch .LBB18_5
.LBB18_3:                               ;   in Loop: Header=BB18_5 Depth=1
	s_or_b64 exec, exec, s[14:15]
	s_waitcnt lgkmcnt(0)
	s_barrier
	ds_read_b32 v10, v6
	s_waitcnt lgkmcnt(0)
	s_barrier
	ds_bpermute_b32 v2, v2, v10
	v_cmp_ne_u32_e32 vcc, 0, v10
	s_waitcnt lgkmcnt(0)
	v_cmp_ne_u32_e64 s[4:5], 0, v2
	s_and_b64 s[4:5], vcc, s[4:5]
	s_nop 0
	v_cndmask_b32_e64 v2, 0, 1, s[4:5]
	ds_bpermute_b32 v2, v4, v2
	s_waitcnt lgkmcnt(0)
	v_cmp_ne_u32_e32 vcc, 0, v2
	s_and_b64 s[4:5], vcc, s[4:5]
	v_cndmask_b32_e64 v2, 0, 1, s[4:5]
	ds_bpermute_b32 v2, v5, v2
	s_waitcnt lgkmcnt(0)
	v_cmp_ne_u32_e32 vcc, 0, v2
	s_and_b64 s[4:5], vcc, s[4:5]
	;; [unrolled: 5-line block ×3, first 2 shown]
	v_cndmask_b32_e64 v2, 0, 1, s[4:5]
	ds_bpermute_b32 v2, v9, v2
	s_xor_b64 s[4:5], s[4:5], -1
	s_waitcnt lgkmcnt(0)
	v_cmp_eq_u32_e32 vcc, 0, v2
	s_or_b64 s[4:5], vcc, s[4:5]
.LBB18_4:                               ;   in Loop: Header=BB18_5 Depth=1
	s_and_b64 s[14:15], exec, s[4:5]
	s_or_b64 s[12:13], s[14:15], s[12:13]
	v_mov_b32_e32 v2, s8
	s_mov_b32 s8, s79
	s_andn2_b64 exec, exec, s[12:13]
	s_cbranch_execz .LBB18_68
.LBB18_5:                               ; =>This Inner Loop Header: Depth=1
	s_add_i32 s79, s8, 0xffffff00
	s_or_b64 s[4:5], s[4:5], exec
	s_cmp_lt_i32 s79, 0
	s_cbranch_scc1 .LBB18_4
; %bb.6:                                ;   in Loop: Header=BB18_5 Depth=1
	s_lshr_b32 s4, s79, 1
	v_add_u32_e32 v2, s4, v0
	v_lshl_add_u64 v[4:5], v[2:3], 2, s[10:11]
	global_load_dword v4, v[4:5], off
	s_mov_b64 s[14:15], 0
	s_waitcnt vmcnt(0)
	v_cmp_class_f16_e64 s[4:5], v4, s76
	v_and_b32_sdwa v4, s77, v4 dst_sel:DWORD dst_unused:UNUSED_PAD src0_sel:DWORD src1_sel:WORD_1
	v_cmp_eq_f16_e32 vcc, s78, v4
	s_and_b64 s[16:17], s[4:5], vcc
	s_and_saveexec_b64 s[4:5], s[16:17]
	s_cbranch_execz .LBB18_66
; %bb.7:                                ;   in Loop: Header=BB18_5 Depth=1
	v_add_u32_e32 v4, s9, v2
	v_ashrrev_i32_e32 v5, 31, v4
	v_lshl_add_u64 v[8:9], v[4:5], 2, s[10:11]
	global_load_dword v2, v[8:9], off
	s_mov_b64 s[16:17], 0
	s_waitcnt vmcnt(0)
	v_cmp_class_f16_e64 s[18:19], v2, s76
	s_and_saveexec_b64 s[14:15], s[18:19]
	s_cbranch_execz .LBB18_65
; %bb.8:                                ;   in Loop: Header=BB18_5 Depth=1
	v_cmp_class_f16_sdwa s[20:21], v2, s76 src0_sel:WORD_1 src1_sel:DWORD
	s_mov_b64 s[18:19], 0
	s_and_saveexec_b64 s[16:17], s[20:21]
	s_cbranch_execz .LBB18_64
; %bb.9:                                ;   in Loop: Header=BB18_5 Depth=1
	v_add_u32_e32 v4, s9, v4
	v_ashrrev_i32_e32 v5, 31, v4
	v_lshl_add_u64 v[8:9], v[4:5], 2, s[10:11]
	global_load_dword v2, v[8:9], off
	s_mov_b64 s[20:21], 0
	s_waitcnt vmcnt(0)
	v_cmp_class_f16_e64 s[22:23], v2, s76
	s_and_saveexec_b64 s[18:19], s[22:23]
	s_cbranch_execz .LBB18_63
; %bb.10:                               ;   in Loop: Header=BB18_5 Depth=1
	v_cmp_class_f16_sdwa s[24:25], v2, s76 src0_sel:WORD_1 src1_sel:DWORD
	s_mov_b64 s[22:23], 0
	s_and_saveexec_b64 s[20:21], s[24:25]
	s_cbranch_execz .LBB18_62
; %bb.11:                               ;   in Loop: Header=BB18_5 Depth=1
	v_add_u32_e32 v4, s9, v4
	v_ashrrev_i32_e32 v5, 31, v4
	v_lshl_add_u64 v[8:9], v[4:5], 2, s[10:11]
	global_load_dword v2, v[8:9], off
	s_mov_b64 s[24:25], 0
	s_waitcnt vmcnt(0)
	v_cmp_class_f16_e64 s[26:27], v2, s76
	s_and_saveexec_b64 s[22:23], s[26:27]
	s_cbranch_execz .LBB18_61
; %bb.12:                               ;   in Loop: Header=BB18_5 Depth=1
	v_cmp_class_f16_sdwa s[28:29], v2, s76 src0_sel:WORD_1 src1_sel:DWORD
	s_mov_b64 s[26:27], 0
	s_and_saveexec_b64 s[24:25], s[28:29]
	s_cbranch_execz .LBB18_60
; %bb.13:                               ;   in Loop: Header=BB18_5 Depth=1
	;; [unrolled: 15-line block ×13, first 2 shown]
	v_add_u32_e32 v4, s9, v4
	v_ashrrev_i32_e32 v5, 31, v4
	v_lshl_add_u64 v[4:5], v[4:5], 2, s[10:11]
	global_load_dword v2, v[4:5], off
	s_waitcnt vmcnt(0)
	v_cmp_class_f16_e64 s[80:81], v2, s76
	s_and_saveexec_b64 s[74:75], s[80:81]
; %bb.36:                               ;   in Loop: Header=BB18_5 Depth=1
	v_cmp_class_f16_sdwa s[72:73], v2, s76 src0_sel:WORD_1 src1_sel:DWORD
	s_and_b64 s[72:73], s[72:73], exec
; %bb.37:                               ;   in Loop: Header=BB18_5 Depth=1
	s_or_b64 exec, exec, s[74:75]
	s_and_b64 s[72:73], s[72:73], exec
.LBB18_38:                              ;   in Loop: Header=BB18_5 Depth=1
	s_or_b64 exec, exec, s[70:71]
	s_and_b64 s[70:71], s[72:73], exec
.LBB18_39:                              ;   in Loop: Header=BB18_5 Depth=1
	s_or_b64 exec, exec, s[68:69]
	s_and_b64 s[68:69], s[70:71], exec
.LBB18_40:                              ;   in Loop: Header=BB18_5 Depth=1
	s_or_b64 exec, exec, s[66:67]
	s_and_b64 s[66:67], s[68:69], exec
.LBB18_41:                              ;   in Loop: Header=BB18_5 Depth=1
	s_or_b64 exec, exec, s[64:65]
	s_and_b64 s[64:65], s[66:67], exec
.LBB18_42:                              ;   in Loop: Header=BB18_5 Depth=1
	s_or_b64 exec, exec, s[62:63]
	s_and_b64 s[62:63], s[64:65], exec
.LBB18_43:                              ;   in Loop: Header=BB18_5 Depth=1
	s_or_b64 exec, exec, s[60:61]
	s_and_b64 s[60:61], s[62:63], exec
.LBB18_44:                              ;   in Loop: Header=BB18_5 Depth=1
	s_or_b64 exec, exec, s[58:59]
	s_and_b64 s[58:59], s[60:61], exec
.LBB18_45:                              ;   in Loop: Header=BB18_5 Depth=1
	s_or_b64 exec, exec, s[56:57]
	s_and_b64 s[56:57], s[58:59], exec
.LBB18_46:                              ;   in Loop: Header=BB18_5 Depth=1
	s_or_b64 exec, exec, s[54:55]
	s_and_b64 s[54:55], s[56:57], exec
.LBB18_47:                              ;   in Loop: Header=BB18_5 Depth=1
	s_or_b64 exec, exec, s[52:53]
	s_and_b64 s[52:53], s[54:55], exec
.LBB18_48:                              ;   in Loop: Header=BB18_5 Depth=1
	s_or_b64 exec, exec, s[50:51]
	s_and_b64 s[50:51], s[52:53], exec
.LBB18_49:                              ;   in Loop: Header=BB18_5 Depth=1
	s_or_b64 exec, exec, s[48:49]
	s_and_b64 s[48:49], s[50:51], exec
.LBB18_50:                              ;   in Loop: Header=BB18_5 Depth=1
	s_or_b64 exec, exec, s[46:47]
	s_and_b64 s[46:47], s[48:49], exec
.LBB18_51:                              ;   in Loop: Header=BB18_5 Depth=1
	s_or_b64 exec, exec, s[44:45]
	s_and_b64 s[44:45], s[46:47], exec
.LBB18_52:                              ;   in Loop: Header=BB18_5 Depth=1
	s_or_b64 exec, exec, s[42:43]
	s_and_b64 s[42:43], s[44:45], exec
.LBB18_53:                              ;   in Loop: Header=BB18_5 Depth=1
	s_or_b64 exec, exec, s[40:41]
	s_and_b64 s[40:41], s[42:43], exec
.LBB18_54:                              ;   in Loop: Header=BB18_5 Depth=1
	s_or_b64 exec, exec, s[38:39]
	s_and_b64 s[38:39], s[40:41], exec
.LBB18_55:                              ;   in Loop: Header=BB18_5 Depth=1
	s_or_b64 exec, exec, s[36:37]
	s_and_b64 s[36:37], s[38:39], exec
.LBB18_56:                              ;   in Loop: Header=BB18_5 Depth=1
	s_or_b64 exec, exec, s[34:35]
	s_and_b64 s[34:35], s[36:37], exec
.LBB18_57:                              ;   in Loop: Header=BB18_5 Depth=1
	s_or_b64 exec, exec, s[30:31]
	s_and_b64 s[30:31], s[34:35], exec
.LBB18_58:                              ;   in Loop: Header=BB18_5 Depth=1
	s_or_b64 exec, exec, s[28:29]
	s_and_b64 s[28:29], s[30:31], exec
.LBB18_59:                              ;   in Loop: Header=BB18_5 Depth=1
	s_or_b64 exec, exec, s[26:27]
	s_and_b64 s[26:27], s[28:29], exec
.LBB18_60:                              ;   in Loop: Header=BB18_5 Depth=1
	s_or_b64 exec, exec, s[24:25]
	s_and_b64 s[24:25], s[26:27], exec
.LBB18_61:                              ;   in Loop: Header=BB18_5 Depth=1
	s_or_b64 exec, exec, s[22:23]
	s_and_b64 s[22:23], s[24:25], exec
.LBB18_62:                              ;   in Loop: Header=BB18_5 Depth=1
	s_or_b64 exec, exec, s[20:21]
	s_and_b64 s[20:21], s[22:23], exec
.LBB18_63:                              ;   in Loop: Header=BB18_5 Depth=1
	s_or_b64 exec, exec, s[18:19]
	s_and_b64 s[18:19], s[20:21], exec
.LBB18_64:                              ;   in Loop: Header=BB18_5 Depth=1
	s_or_b64 exec, exec, s[16:17]
	s_and_b64 s[16:17], s[18:19], exec
.LBB18_65:                              ;   in Loop: Header=BB18_5 Depth=1
	s_or_b64 exec, exec, s[14:15]
	s_and_b64 s[14:15], s[16:17], exec
.LBB18_66:                              ;   in Loop: Header=BB18_5 Depth=1
	s_or_b64 exec, exec, s[4:5]
	v_and_b32_e32 v2, 0x60, v7
	v_add_u32_e32 v9, 32, v2
	v_xor_b32_e32 v2, 16, v7
	v_cmp_lt_i32_e32 vcc, v2, v9
	v_cndmask_b32_e64 v4, 0, 1, s[14:15]
	v_xor_b32_e32 v11, 1, v7
	v_cndmask_b32_e32 v2, v7, v2, vcc
	v_lshlrev_b32_e32 v2, 2, v2
	ds_bpermute_b32 v4, v2, v4
	s_waitcnt lgkmcnt(0)
	v_cmp_ne_u32_e32 vcc, 0, v4
	v_xor_b32_e32 v4, 8, v7
	s_and_b64 s[4:5], s[14:15], vcc
	v_cmp_lt_i32_e32 vcc, v4, v9
	v_cndmask_b32_e64 v5, 0, 1, s[4:5]
	s_nop 0
	v_cndmask_b32_e32 v4, v7, v4, vcc
	v_lshlrev_b32_e32 v4, 2, v4
	ds_bpermute_b32 v5, v4, v5
	s_waitcnt lgkmcnt(0)
	v_cmp_ne_u32_e32 vcc, 0, v5
	v_xor_b32_e32 v5, 4, v7
	s_and_b64 s[4:5], vcc, s[4:5]
	v_cmp_lt_i32_e32 vcc, v5, v9
	v_cndmask_b32_e64 v8, 0, 1, s[4:5]
	s_nop 0
	v_cndmask_b32_e32 v5, v7, v5, vcc
	v_lshlrev_b32_e32 v5, 2, v5
	ds_bpermute_b32 v8, v5, v8
	s_waitcnt lgkmcnt(0)
	v_cmp_ne_u32_e32 vcc, 0, v8
	v_xor_b32_e32 v8, 2, v7
	s_and_b64 s[4:5], vcc, s[4:5]
	v_cmp_lt_i32_e32 vcc, v8, v9
	v_cndmask_b32_e64 v10, 0, 1, s[4:5]
	s_nop 0
	v_cndmask_b32_e32 v8, v7, v8, vcc
	v_lshlrev_b32_e32 v8, 2, v8
	ds_bpermute_b32 v10, v8, v10
	s_waitcnt lgkmcnt(0)
	v_cmp_ne_u32_e32 vcc, 0, v10
	s_and_b64 s[4:5], vcc, s[4:5]
	v_cmp_lt_i32_e32 vcc, v11, v9
	v_cndmask_b32_e64 v10, 0, 1, s[4:5]
	s_nop 0
	v_cndmask_b32_e32 v9, v7, v11, vcc
	v_lshlrev_b32_e32 v9, 2, v9
	ds_bpermute_b32 v10, v9, v10
	s_and_saveexec_b64 s[14:15], s[0:1]
	s_cbranch_execz .LBB18_3
; %bb.67:                               ;   in Loop: Header=BB18_5 Depth=1
	s_waitcnt lgkmcnt(0)
	v_cmp_ne_u32_e32 vcc, 0, v10
	s_and_b64 s[4:5], vcc, s[4:5]
	v_cndmask_b32_e64 v10, 0, 1, s[4:5]
	ds_write_b32 v1, v10
	s_branch .LBB18_3
.LBB18_68:
	s_or_b64 exec, exec, s[12:13]
	v_cmp_eq_u32_e32 vcc, 0, v0
	s_and_saveexec_b64 s[0:1], vcc
	s_cbranch_execz .LBB18_70
; %bb.69:
	s_mul_i32 s0, s33, s3
	s_add_i32 s0, s0, s2
	s_ashr_i32 s1, s0, 31
	s_lshl_b64 s[0:1], s[0:1], 2
	s_add_u32 s0, s6, s0
	s_addc_u32 s1, s7, s1
	v_mov_b32_e32 v0, 0
	global_store_dword v0, v2, s[0:1]
.LBB18_70:
	s_endpgm
	.section	.rodata,"a",@progbits
	.p2align	6, 0x0
	.amdhsa_kernel _ZL25flash_attn_mask_to_KV_maxILi16EEvPK7__half2Piiii
		.amdhsa_group_segment_fixed_size 128
		.amdhsa_private_segment_fixed_size 0
		.amdhsa_kernarg_size 288
		.amdhsa_user_sgpr_count 2
		.amdhsa_user_sgpr_dispatch_ptr 0
		.amdhsa_user_sgpr_queue_ptr 0
		.amdhsa_user_sgpr_kernarg_segment_ptr 1
		.amdhsa_user_sgpr_dispatch_id 0
		.amdhsa_user_sgpr_kernarg_preload_length 0
		.amdhsa_user_sgpr_kernarg_preload_offset 0
		.amdhsa_user_sgpr_private_segment_size 0
		.amdhsa_uses_dynamic_stack 0
		.amdhsa_enable_private_segment 0
		.amdhsa_system_sgpr_workgroup_id_x 1
		.amdhsa_system_sgpr_workgroup_id_y 1
		.amdhsa_system_sgpr_workgroup_id_z 0
		.amdhsa_system_sgpr_workgroup_info 0
		.amdhsa_system_vgpr_workitem_id 0
		.amdhsa_next_free_vgpr 12
		.amdhsa_next_free_sgpr 82
		.amdhsa_accum_offset 12
		.amdhsa_reserve_vcc 1
		.amdhsa_float_round_mode_32 0
		.amdhsa_float_round_mode_16_64 0
		.amdhsa_float_denorm_mode_32 3
		.amdhsa_float_denorm_mode_16_64 3
		.amdhsa_dx10_clamp 1
		.amdhsa_ieee_mode 1
		.amdhsa_fp16_overflow 0
		.amdhsa_tg_split 0
		.amdhsa_exception_fp_ieee_invalid_op 0
		.amdhsa_exception_fp_denorm_src 0
		.amdhsa_exception_fp_ieee_div_zero 0
		.amdhsa_exception_fp_ieee_overflow 0
		.amdhsa_exception_fp_ieee_underflow 0
		.amdhsa_exception_fp_ieee_inexact 0
		.amdhsa_exception_int_div_zero 0
	.end_amdhsa_kernel
	.section	.text._ZL25flash_attn_mask_to_KV_maxILi16EEvPK7__half2Piiii,"axG",@progbits,_ZL25flash_attn_mask_to_KV_maxILi16EEvPK7__half2Piiii,comdat
.Lfunc_end18:
	.size	_ZL25flash_attn_mask_to_KV_maxILi16EEvPK7__half2Piiii, .Lfunc_end18-_ZL25flash_attn_mask_to_KV_maxILi16EEvPK7__half2Piiii
                                        ; -- End function
	.section	.AMDGPU.csdata,"",@progbits
; Kernel info:
; codeLenInByte = 2020
; NumSgprs: 88
; NumVgprs: 12
; NumAgprs: 0
; TotalNumVgprs: 12
; ScratchSize: 0
; MemoryBound: 0
; FloatMode: 240
; IeeeMode: 1
; LDSByteSize: 128 bytes/workgroup (compile time only)
; SGPRBlocks: 10
; VGPRBlocks: 1
; NumSGPRsForWavesPerEU: 88
; NumVGPRsForWavesPerEU: 12
; AccumOffset: 12
; Occupancy: 8
; WaveLimiterHint : 0
; COMPUTE_PGM_RSRC2:SCRATCH_EN: 0
; COMPUTE_PGM_RSRC2:USER_SGPR: 2
; COMPUTE_PGM_RSRC2:TRAP_HANDLER: 0
; COMPUTE_PGM_RSRC2:TGID_X_EN: 1
; COMPUTE_PGM_RSRC2:TGID_Y_EN: 1
; COMPUTE_PGM_RSRC2:TGID_Z_EN: 0
; COMPUTE_PGM_RSRC2:TIDIG_COMP_CNT: 0
; COMPUTE_PGM_RSRC3_GFX90A:ACCUM_OFFSET: 2
; COMPUTE_PGM_RSRC3_GFX90A:TG_SPLIT: 0
	.section	.text._ZL33flash_attn_stream_k_fixup_uniformILi112ELi16ELi4EEvPfPK15HIP_vector_typeIfLj2EEiiiiiiS1_IjLj3EES5_S5_,"axG",@progbits,_ZL33flash_attn_stream_k_fixup_uniformILi112ELi16ELi4EEvPfPK15HIP_vector_typeIfLj2EEiiiiiiS1_IjLj3EES5_S5_,comdat
	.globl	_ZL33flash_attn_stream_k_fixup_uniformILi112ELi16ELi4EEvPfPK15HIP_vector_typeIfLj2EEiiiiiiS1_IjLj3EES5_S5_ ; -- Begin function _ZL33flash_attn_stream_k_fixup_uniformILi112ELi16ELi4EEvPfPK15HIP_vector_typeIfLj2EEiiiiiiS1_IjLj3EES5_S5_
	.p2align	8
	.type	_ZL33flash_attn_stream_k_fixup_uniformILi112ELi16ELi4EEvPfPK15HIP_vector_typeIfLj2EEiiiiiiS1_IjLj3EES5_S5_,@function
_ZL33flash_attn_stream_k_fixup_uniformILi112ELi16ELi4EEvPfPK15HIP_vector_typeIfLj2EEiiiiiiS1_IjLj3EES5_S5_: ; @_ZL33flash_attn_stream_k_fixup_uniformILi112ELi16ELi4EEvPfPK15HIP_vector_typeIfLj2EEiiiiiiS1_IjLj3EES5_S5_
; %bb.0:
	s_load_dwordx8 s[8:15], s[0:1], 0x1c
	s_load_dwordx2 s[6:7], s[0:1], 0x10
	s_load_dwordx4 s[16:19], s[0:1], 0x3c
	s_waitcnt lgkmcnt(0)
	s_mul_hi_u32 s5, s11, s2
	s_add_i32 s5, s2, s5
	s_lshr_b32 s5, s5, s12
	s_mul_i32 s11, s5, s13
	s_sub_i32 s12, s2, s11
	s_mul_hi_u32 s11, s12, s14
	s_add_i32 s11, s12, s11
	s_lshr_b32 s11, s11, s15
	s_mul_i32 s13, s11, s16
	s_sub_i32 s12, s12, s13
	;; [unrolled: 5-line block ×3, first 2 shown]
	s_lshl_b32 s12, s16, 4
	s_lshl_b32 s17, s13, 2
	s_add_i32 s12, s12, s3
	s_cmp_lt_i32 s12, s6
	s_cselect_b64 s[12:13], -1, 0
	s_add_i32 s17, s17, s4
	s_cmp_lt_i32 s17, s9
	s_cselect_b64 s[14:15], -1, 0
	s_and_b64 s[12:13], s[12:13], s[14:15]
	s_andn2_b64 vcc, exec, s[12:13]
	s_cbranch_vccnz .LBB19_6
; %bb.1:
	s_load_dwordx4 s[12:15], s[0:1], 0x0
	s_mul_i32 s0, s5, s6
	s_mul_i32 s11, s11, s9
	s_add_i32 s0, s0, s3
	s_mul_i32 s0, s0, s7
	s_add_i32 s5, s17, s11
	;; [unrolled: 2-line block ×3, first 2 shown]
	s_mulk_i32 s1, 0x700
	s_mulk_i32 s0, 0x70
	s_add_i32 s0, s0, s1
	v_add_u32_e32 v4, s0, v0
	s_waitcnt lgkmcnt(0)
	v_mov_b32_e32 v2, s12
	v_mov_b32_e32 v3, s13
	v_ashrrev_i32_e32 v5, 31, v4
	v_lshl_add_u64 v[2:3], v[4:5], 2, v[2:3]
	global_load_dword v7, v[2:3], off
	s_mul_i32 s5, s2, s10
	s_lshl_b32 s11, s3, 2
	s_add_i32 s9, s5, s10
	s_add_i32 s0, s11, s4
	s_lshl_b32 s1, s9, 6
	s_add_i32 s0, s0, s1
	s_sub_i32 s0, s0, 64
	s_ashr_i32 s1, s0, 31
	s_lshl_b64 s[0:1], s[0:1], 3
	s_add_u32 s0, s14, s0
	s_addc_u32 s1, s15, s1
	s_load_dword s12, s[0:1], 0x4
	s_add_i32 s6, s9, -2
	s_cmp_lt_i32 s6, s5
	s_cbranch_scc1 .LBB19_4
; %bb.2:
	s_lshl_b32 s6, s8, 8
	s_ashr_i32 s7, s6, 31
	s_lshl_b64 s[6:7], s[6:7], 2
	s_add_u32 s6, s14, s6
	s_addc_u32 s7, s15, s7
	s_add_i32 s2, s2, 1
	s_load_dword s0, s[0:1], 0x0
	s_mul_i32 s1, s10, s2
	s_lshl_b32 s2, s1, 6
	s_add_i32 s2, s4, s2
	s_mulk_i32 s3, 0x1c0
	s_mulk_i32 s4, 0x70
	s_lshl_b32 s8, s8, 6
	s_mulk_i32 s1, 0x1c00
	s_add_i32 s3, s4, s3
	s_add_i32 s2, s2, s8
	;; [unrolled: 1-line block ×4, first 2 shown]
	v_add_u32_e32 v0, s3, v0
	s_add_i32 s9, s9, -1
	s_addk_i32 s2, 0xff80
	v_add_u32_e32 v0, 0xffffc800, v0
	s_waitcnt lgkmcnt(0)
	v_mov_b32_e32 v6, s12
	v_mov_b32_e32 v5, s0
	s_mov_b32 s4, 0x3fb8aa3b
	s_mov_b32 s8, 0xc2ce8ed0
	;; [unrolled: 1-line block ×3, first 2 shown]
	v_mov_b32_e32 v4, 0x7f800000
	s_mov_b32 s11, 0xc1a00000
.LBB19_3:                               ; =>This Inner Loop Header: Depth=1
	v_ashrrev_i32_e32 v1, 31, v0
	v_lshl_add_u64 v[8:9], v[0:1], 2, s[6:7]
	global_load_dword v1, v[8:9], off
	s_ashr_i32 s3, s2, 31
	s_lshl_b64 s[0:1], s[2:3], 3
	s_add_u32 s0, s14, s0
	s_addc_u32 s1, s15, s1
	s_load_dwordx2 s[12:13], s[0:1], 0x0
	s_waitcnt vmcnt(1)
	v_mov_b32_e32 v8, v7
	v_max_f32_e32 v7, v5, v5
	v_mov_b32_e32 v9, v6
	s_add_i32 s9, s9, -1
	s_waitcnt lgkmcnt(0)
	v_max_f32_e64 v6, s12, s12
	v_max_f32_e32 v6, v7, v6
	v_sub_f32_e32 v10, s12, v6
	v_sub_f32_e32 v7, v5, v6
	v_mul_f32_e32 v11, 0x3fb8aa3b, v10
	v_mov_b32_e32 v5, v6
	v_mul_f32_e32 v6, 0x3fb8aa3b, v7
	v_fma_f32 v14, v10, s4, -v11
	v_rndne_f32_e32 v15, v11
	v_fma_f32 v12, v7, s4, -v6
	v_rndne_f32_e32 v13, v6
	v_fmac_f32_e32 v14, 0x32a5705f, v10
	v_sub_f32_e32 v11, v11, v15
	v_fmac_f32_e32 v12, 0x32a5705f, v7
	v_sub_f32_e32 v6, v6, v13
	v_add_f32_e32 v11, v11, v14
	v_cvt_i32_f32_e32 v15, v15
	v_add_f32_e32 v6, v6, v12
	v_exp_f32_e32 v11, v11
	v_cvt_i32_f32_e32 v13, v13
	v_exp_f32_e32 v6, v6
	v_cmp_ngt_f32_e32 vcc, s8, v10
	v_ldexp_f32 v11, v11, v15
	v_cmp_ngt_f32_e64 s[0:1], s8, v7
	v_ldexp_f32 v6, v6, v13
	v_cndmask_b32_e32 v11, 0, v11, vcc
	v_cmp_nlt_f32_e32 vcc, s10, v10
	v_cndmask_b32_e64 v6, 0, v6, s[0:1]
	v_cmp_nlt_f32_e64 s[0:1], s10, v7
	v_cndmask_b32_e32 v11, v4, v11, vcc
	v_cmp_le_f32_e32 vcc, s11, v10
	v_cndmask_b32_e64 v6, v4, v6, s[0:1]
	v_cmp_le_f32_e64 s[0:1], s11, v7
	v_cndmask_b32_e32 v7, 0, v11, vcc
	s_sub_i32 s2, s2, 64
	v_cndmask_b32_e64 v10, 0, v6, s[0:1]
	v_mul_f32_e32 v6, s13, v7
	v_add_u32_e32 v0, 0xffffe400, v0
	s_cmp_le_i32 s9, s5
	v_fmac_f32_e32 v6, v9, v10
	s_waitcnt vmcnt(0)
	v_mul_f32_e32 v7, v1, v7
	v_fmac_f32_e32 v7, v8, v10
	s_cbranch_scc0 .LBB19_3
	s_branch .LBB19_5
.LBB19_4:
	s_waitcnt lgkmcnt(0)
	v_mov_b32_e32 v6, s12
.LBB19_5:
	s_waitcnt vmcnt(0)
	v_div_scale_f32 v0, s[0:1], v6, v6, v7
	v_rcp_f32_e32 v1, v0
	v_div_scale_f32 v4, vcc, v7, v6, v7
	v_fma_f32 v5, -v0, v1, 1.0
	v_fmac_f32_e32 v1, v5, v1
	v_mul_f32_e32 v5, v4, v1
	v_fma_f32 v8, -v0, v5, v4
	v_fmac_f32_e32 v5, v8, v1
	v_fma_f32 v0, -v0, v5, v4
	v_div_fmas_f32 v0, v0, v1, v5
	v_div_fixup_f32 v0, v0, v6, v7
	global_store_dword v[2:3], v0, off
.LBB19_6:
	s_endpgm
	.section	.rodata,"a",@progbits
	.p2align	6, 0x0
	.amdhsa_kernel _ZL33flash_attn_stream_k_fixup_uniformILi112ELi16ELi4EEvPfPK15HIP_vector_typeIfLj2EEiiiiiiS1_IjLj3EES5_S5_
		.amdhsa_group_segment_fixed_size 0
		.amdhsa_private_segment_fixed_size 0
		.amdhsa_kernarg_size 76
		.amdhsa_user_sgpr_count 2
		.amdhsa_user_sgpr_dispatch_ptr 0
		.amdhsa_user_sgpr_queue_ptr 0
		.amdhsa_user_sgpr_kernarg_segment_ptr 1
		.amdhsa_user_sgpr_dispatch_id 0
		.amdhsa_user_sgpr_kernarg_preload_length 0
		.amdhsa_user_sgpr_kernarg_preload_offset 0
		.amdhsa_user_sgpr_private_segment_size 0
		.amdhsa_uses_dynamic_stack 0
		.amdhsa_enable_private_segment 0
		.amdhsa_system_sgpr_workgroup_id_x 1
		.amdhsa_system_sgpr_workgroup_id_y 1
		.amdhsa_system_sgpr_workgroup_id_z 1
		.amdhsa_system_sgpr_workgroup_info 0
		.amdhsa_system_vgpr_workitem_id 0
		.amdhsa_next_free_vgpr 16
		.amdhsa_next_free_sgpr 20
		.amdhsa_accum_offset 16
		.amdhsa_reserve_vcc 1
		.amdhsa_float_round_mode_32 0
		.amdhsa_float_round_mode_16_64 0
		.amdhsa_float_denorm_mode_32 3
		.amdhsa_float_denorm_mode_16_64 3
		.amdhsa_dx10_clamp 1
		.amdhsa_ieee_mode 1
		.amdhsa_fp16_overflow 0
		.amdhsa_tg_split 0
		.amdhsa_exception_fp_ieee_invalid_op 0
		.amdhsa_exception_fp_denorm_src 0
		.amdhsa_exception_fp_ieee_div_zero 0
		.amdhsa_exception_fp_ieee_overflow 0
		.amdhsa_exception_fp_ieee_underflow 0
		.amdhsa_exception_fp_ieee_inexact 0
		.amdhsa_exception_int_div_zero 0
	.end_amdhsa_kernel
	.section	.text._ZL33flash_attn_stream_k_fixup_uniformILi112ELi16ELi4EEvPfPK15HIP_vector_typeIfLj2EEiiiiiiS1_IjLj3EES5_S5_,"axG",@progbits,_ZL33flash_attn_stream_k_fixup_uniformILi112ELi16ELi4EEvPfPK15HIP_vector_typeIfLj2EEiiiiiiS1_IjLj3EES5_S5_,comdat
.Lfunc_end19:
	.size	_ZL33flash_attn_stream_k_fixup_uniformILi112ELi16ELi4EEvPfPK15HIP_vector_typeIfLj2EEiiiiiiS1_IjLj3EES5_S5_, .Lfunc_end19-_ZL33flash_attn_stream_k_fixup_uniformILi112ELi16ELi4EEvPfPK15HIP_vector_typeIfLj2EEiiiiiiS1_IjLj3EES5_S5_
                                        ; -- End function
	.section	.AMDGPU.csdata,"",@progbits
; Kernel info:
; codeLenInByte = 836
; NumSgprs: 26
; NumVgprs: 16
; NumAgprs: 0
; TotalNumVgprs: 16
; ScratchSize: 0
; MemoryBound: 0
; FloatMode: 240
; IeeeMode: 1
; LDSByteSize: 0 bytes/workgroup (compile time only)
; SGPRBlocks: 3
; VGPRBlocks: 1
; NumSGPRsForWavesPerEU: 26
; NumVGPRsForWavesPerEU: 16
; AccumOffset: 16
; Occupancy: 8
; WaveLimiterHint : 0
; COMPUTE_PGM_RSRC2:SCRATCH_EN: 0
; COMPUTE_PGM_RSRC2:USER_SGPR: 2
; COMPUTE_PGM_RSRC2:TRAP_HANDLER: 0
; COMPUTE_PGM_RSRC2:TGID_X_EN: 1
; COMPUTE_PGM_RSRC2:TGID_Y_EN: 1
; COMPUTE_PGM_RSRC2:TGID_Z_EN: 1
; COMPUTE_PGM_RSRC2:TIDIG_COMP_CNT: 0
; COMPUTE_PGM_RSRC3_GFX90A:ACCUM_OFFSET: 3
; COMPUTE_PGM_RSRC3_GFX90A:TG_SPLIT: 0
	.section	.text._ZL33flash_attn_stream_k_fixup_generalILi112ELi16ELi4EEvPfPK15HIP_vector_typeIfLj2EEiiiiS1_IjLj3EES5_S5_S5_,"axG",@progbits,_ZL33flash_attn_stream_k_fixup_generalILi112ELi16ELi4EEvPfPK15HIP_vector_typeIfLj2EEiiiiS1_IjLj3EES5_S5_S5_,comdat
	.globl	_ZL33flash_attn_stream_k_fixup_generalILi112ELi16ELi4EEvPfPK15HIP_vector_typeIfLj2EEiiiiS1_IjLj3EES5_S5_S5_ ; -- Begin function _ZL33flash_attn_stream_k_fixup_generalILi112ELi16ELi4EEvPfPK15HIP_vector_typeIfLj2EEiiiiS1_IjLj3EES5_S5_S5_
	.p2align	8
	.type	_ZL33flash_attn_stream_k_fixup_generalILi112ELi16ELi4EEvPfPK15HIP_vector_typeIfLj2EEiiiiS1_IjLj3EES5_S5_S5_,@function
_ZL33flash_attn_stream_k_fixup_generalILi112ELi16ELi4EEvPfPK15HIP_vector_typeIfLj2EEiiiiS1_IjLj3EES5_S5_S5_: ; @_ZL33flash_attn_stream_k_fixup_generalILi112ELi16ELi4EEvPfPK15HIP_vector_typeIfLj2EEiiiiS1_IjLj3EES5_S5_S5_
; %bb.0:
	s_load_dwordx4 s[12:15], s[0:1], 0x10
	s_load_dword s22, s[0:1], 0x50
	s_mov_b32 s8, 0
	s_waitcnt lgkmcnt(0)
	s_mul_hi_i32 s9, s15, s2
	s_cmp_lg_u64 s[8:9], 0
	s_mul_i32 s5, s15, s2
	s_cbranch_scc0 .LBB20_21
; %bb.1:
	v_cvt_f32_u32_e32 v1, s22
	v_cvt_f32_ubyte0_e32 v2, 0
	s_sub_u32 s8, 0, s22
	s_subb_u32 s10, 0, 0
	v_fmamk_f32 v1, v2, 0x4f800000, v1
	v_rcp_f32_e32 v1, v1
	s_nop 0
	v_mul_f32_e32 v1, 0x5f7ffffc, v1
	v_mul_f32_e32 v2, 0x2f800000, v1
	v_trunc_f32_e32 v2, v2
	v_fmamk_f32 v1, v2, 0xcf800000, v1
	v_cvt_u32_f32_e32 v2, v2
	v_cvt_u32_f32_e32 v1, v1
	v_readfirstlane_b32 s11, v2
	v_readfirstlane_b32 s16, v1
	s_mul_i32 s17, s8, s11
	s_mul_hi_u32 s19, s8, s16
	s_mul_i32 s18, s10, s16
	s_add_i32 s17, s19, s17
	s_add_i32 s17, s17, s18
	s_mul_i32 s20, s8, s16
	s_mul_hi_u32 s18, s16, s17
	s_mul_i32 s19, s16, s17
	s_mul_hi_u32 s16, s16, s20
	s_add_u32 s16, s16, s19
	s_addc_u32 s18, 0, s18
	s_mul_hi_u32 s21, s11, s20
	s_mul_i32 s20, s11, s20
	s_add_u32 s16, s16, s20
	s_mul_hi_u32 s19, s11, s17
	s_addc_u32 s16, s18, s21
	s_addc_u32 s18, s19, 0
	s_mul_i32 s17, s11, s17
	s_add_u32 s16, s16, s17
	s_addc_u32 s17, 0, s18
	v_add_co_u32_e32 v1, vcc, s16, v1
	s_cmp_lg_u64 vcc, 0
	s_addc_u32 s11, s11, s17
	v_readfirstlane_b32 s17, v1
	s_mul_i32 s16, s8, s11
	s_mul_hi_u32 s18, s8, s17
	s_add_i32 s16, s18, s16
	s_mul_i32 s10, s10, s17
	s_add_i32 s16, s16, s10
	s_mul_i32 s8, s8, s17
	s_mul_hi_u32 s18, s11, s8
	s_mul_i32 s19, s11, s8
	s_mul_i32 s21, s17, s16
	s_mul_hi_u32 s8, s17, s8
	s_mul_hi_u32 s20, s17, s16
	s_add_u32 s8, s8, s21
	s_addc_u32 s17, 0, s20
	s_add_u32 s8, s8, s19
	s_mul_hi_u32 s10, s11, s16
	s_addc_u32 s8, s17, s18
	s_addc_u32 s10, s10, 0
	s_mul_i32 s16, s11, s16
	s_add_u32 s8, s8, s16
	s_addc_u32 s10, 0, s10
	v_add_co_u32_e32 v1, vcc, s8, v1
	s_cmp_lg_u64 vcc, 0
	s_addc_u32 s16, s11, s10
	s_ashr_i32 s10, s9, 31
	s_add_u32 s8, s5, s10
	s_mov_b32 s11, s10
	s_addc_u32 s9, s9, s10
	s_xor_b64 s[8:9], s[8:9], s[10:11]
	v_readfirstlane_b32 s19, v1
	s_mul_i32 s18, s8, s16
	s_mul_hi_u32 s20, s8, s19
	s_mul_hi_u32 s17, s8, s16
	s_add_u32 s18, s20, s18
	s_addc_u32 s17, 0, s17
	s_mul_hi_u32 s21, s9, s19
	s_mul_i32 s19, s9, s19
	s_add_u32 s18, s18, s19
	s_mul_hi_u32 s20, s9, s16
	s_addc_u32 s17, s17, s21
	s_addc_u32 s18, s20, 0
	s_mul_i32 s16, s9, s16
	s_add_u32 s16, s17, s16
	s_addc_u32 s17, 0, s18
	s_add_u32 s18, s16, 1
	s_addc_u32 s19, s17, 0
	s_add_u32 s20, s16, 2
	s_mul_i32 s23, s22, s17
	s_mul_hi_u32 s24, s22, s16
	s_addc_u32 s21, s17, 0
	s_add_i32 s24, s24, s23
	s_mul_i32 s23, s22, s16
	v_mov_b32_e32 v1, s23
	v_sub_co_u32_e32 v1, vcc, s8, v1
	s_cmp_lg_u64 vcc, 0
	s_subb_u32 s8, s9, s24
	v_subrev_co_u32_e32 v2, vcc, s22, v1
	s_cmp_lg_u64 vcc, 0
	s_subb_u32 s9, s8, 0
	v_readfirstlane_b32 s23, v2
	s_cmp_ge_u32 s23, s22
	s_cselect_b32 s23, -1, 0
	s_cmp_eq_u32 s9, 0
	s_cselect_b32 s9, s23, -1
	s_cmp_lg_u32 s9, 0
	s_cselect_b32 s9, s21, s19
	v_readfirstlane_b32 s19, v1
	s_cselect_b32 s18, s20, s18
	s_cmp_ge_u32 s19, s22
	s_cselect_b32 s19, -1, 0
	s_cmp_eq_u32 s8, 0
	s_cselect_b32 s8, s19, -1
	s_cmp_lg_u32 s8, 0
	s_cselect_b32 s9, s9, s17
	s_cselect_b32 s8, s18, s16
	s_xor_b64 s[8:9], s[8:9], s[10:11]
	s_sub_u32 s20, s8, s10
	s_load_dwordx4 s[16:19], s[0:1], 0x44
	s_cbranch_execnz .LBB20_3
.LBB20_2:
	v_cvt_f32_u32_e32 v1, s22
	s_sub_i32 s6, 0, s22
	v_rcp_iflag_f32_e32 v1, v1
	s_nop 0
	v_mul_f32_e32 v1, 0x4f7ffffe, v1
	v_cvt_u32_f32_e32 v1, v1
	s_nop 0
	v_readfirstlane_b32 s7, v1
	s_mul_i32 s6, s6, s7
	s_mul_hi_u32 s6, s7, s6
	s_add_i32 s7, s7, s6
	s_mul_hi_u32 s6, s5, s7
	s_mul_i32 s8, s6, s22
	s_sub_i32 s5, s5, s8
	s_add_i32 s7, s6, 1
	s_sub_i32 s8, s5, s22
	s_cmp_ge_u32 s5, s22
	s_cselect_b32 s6, s7, s6
	s_cselect_b32 s5, s8, s5
	s_add_i32 s7, s6, 1
	s_cmp_ge_u32 s5, s22
	s_cselect_b32 s20, s7, s6
.LBB20_3:
	s_add_i32 s5, s2, 1
	s_mul_hi_i32 s9, s15, s5
	s_mov_b32 s8, 0
	s_cmp_lg_u64 s[8:9], 0
	s_mul_i32 s5, s15, s5
	s_cbranch_scc0 .LBB20_22
; %bb.4:
	v_cvt_f32_u32_e32 v1, s22
	v_cvt_f32_ubyte0_e32 v2, 0
	s_sub_u32 s8, 0, s22
	s_subb_u32 s10, 0, 0
	v_fmamk_f32 v1, v2, 0x4f800000, v1
	v_rcp_f32_e32 v1, v1
	s_nop 0
	v_mul_f32_e32 v1, 0x5f7ffffc, v1
	v_mul_f32_e32 v2, 0x2f800000, v1
	v_trunc_f32_e32 v2, v2
	v_fmamk_f32 v1, v2, 0xcf800000, v1
	v_cvt_u32_f32_e32 v2, v2
	v_cvt_u32_f32_e32 v1, v1
	v_readfirstlane_b32 s11, v2
	s_waitcnt lgkmcnt(0)
	v_readfirstlane_b32 s19, v1
	s_mul_i32 s21, s8, s11
	s_mul_hi_u32 s24, s8, s19
	s_mul_i32 s23, s10, s19
	s_add_i32 s21, s24, s21
	s_add_i32 s21, s21, s23
	s_mul_i32 s25, s8, s19
	s_mul_hi_u32 s23, s19, s21
	s_mul_i32 s24, s19, s21
	s_mul_hi_u32 s19, s19, s25
	s_add_u32 s19, s19, s24
	s_addc_u32 s23, 0, s23
	s_mul_hi_u32 s26, s11, s25
	s_mul_i32 s25, s11, s25
	s_add_u32 s19, s19, s25
	s_mul_hi_u32 s24, s11, s21
	s_addc_u32 s19, s23, s26
	s_addc_u32 s23, s24, 0
	s_mul_i32 s21, s11, s21
	s_add_u32 s19, s19, s21
	s_addc_u32 s21, 0, s23
	v_add_co_u32_e32 v1, vcc, s19, v1
	s_cmp_lg_u64 vcc, 0
	s_addc_u32 s11, s11, s21
	v_readfirstlane_b32 s21, v1
	s_mul_i32 s19, s8, s11
	s_mul_hi_u32 s23, s8, s21
	s_add_i32 s19, s23, s19
	s_mul_i32 s10, s10, s21
	s_add_i32 s19, s19, s10
	s_mul_i32 s8, s8, s21
	s_mul_hi_u32 s23, s11, s8
	s_mul_i32 s24, s11, s8
	s_mul_i32 s26, s21, s19
	s_mul_hi_u32 s8, s21, s8
	s_mul_hi_u32 s25, s21, s19
	s_add_u32 s8, s8, s26
	s_addc_u32 s21, 0, s25
	s_add_u32 s8, s8, s24
	s_mul_hi_u32 s10, s11, s19
	s_addc_u32 s8, s21, s23
	s_addc_u32 s10, s10, 0
	s_mul_i32 s19, s11, s19
	s_add_u32 s8, s8, s19
	s_addc_u32 s10, 0, s10
	v_add_co_u32_e32 v1, vcc, s8, v1
	s_cmp_lg_u64 vcc, 0
	s_addc_u32 s19, s11, s10
	s_ashr_i32 s10, s9, 31
	s_add_u32 s8, s5, s10
	s_mov_b32 s11, s10
	s_addc_u32 s9, s9, s10
	s_xor_b64 s[8:9], s[8:9], s[10:11]
	v_readfirstlane_b32 s23, v1
	s_mul_i32 s21, s8, s19
	s_mul_hi_u32 s24, s8, s23
	s_mul_hi_u32 s11, s8, s19
	s_add_u32 s21, s24, s21
	s_addc_u32 s11, 0, s11
	s_mul_hi_u32 s25, s9, s23
	s_mul_i32 s23, s9, s23
	s_add_u32 s21, s21, s23
	s_mul_hi_u32 s24, s9, s19
	s_addc_u32 s11, s11, s25
	s_addc_u32 s21, s24, 0
	s_mul_i32 s19, s9, s19
	s_add_u32 s11, s11, s19
	s_addc_u32 s19, 0, s21
	s_mul_i32 s19, s22, s19
	s_mul_hi_u32 s24, s22, s11
	s_add_i32 s24, s24, s19
	s_mul_i32 s19, s22, s11
	v_mov_b32_e32 v1, s19
	s_add_u32 s21, s11, 1
	s_add_u32 s23, s11, 2
	v_sub_co_u32_e32 v1, vcc, s8, v1
	s_cmp_lg_u64 vcc, 0
	s_subb_u32 s8, s9, s24
	v_subrev_co_u32_e32 v2, vcc, s22, v1
	s_cmp_lg_u64 vcc, 0
	s_subb_u32 s9, s8, 0
	v_cmp_le_u32_e32 vcc, s22, v2
	s_cmp_eq_u32 s9, 0
	v_mov_b32_e32 v3, s21
	v_cndmask_b32_e64 v2, 0, -1, vcc
	s_cselect_b64 vcc, -1, 0
	v_cndmask_b32_e32 v2, -1, v2, vcc
	v_mov_b32_e32 v4, s23
	v_cmp_ne_u32_e32 vcc, 0, v2
	s_cmp_eq_u32 s8, 0
	s_nop 0
	v_cndmask_b32_e32 v2, v3, v4, vcc
	v_cmp_le_u32_e32 vcc, s22, v1
	v_mov_b32_e32 v3, s11
	s_nop 0
	v_cndmask_b32_e64 v1, 0, -1, vcc
	s_cselect_b64 vcc, -1, 0
	v_cndmask_b32_e32 v1, -1, v1, vcc
	v_cmp_ne_u32_e32 vcc, 0, v1
	s_nop 1
	v_cndmask_b32_e32 v1, v3, v2, vcc
	v_xor_b32_e32 v1, s10, v1
	v_subrev_co_u32_e32 v2, vcc, s10, v1
	s_cbranch_execnz .LBB20_6
.LBB20_5:
	v_cvt_f32_u32_e32 v1, s22
	s_sub_i32 s6, 0, s22
	s_mov_b32 s7, 0
	v_rcp_iflag_f32_e32 v1, v1
	s_nop 0
	v_mul_f32_e32 v1, 0x4f7ffffe, v1
	v_cvt_u32_f32_e32 v1, v1
	s_nop 0
	v_readfirstlane_b32 s8, v1
	s_mul_i32 s6, s6, s8
	s_mul_hi_u32 s6, s8, s6
	s_add_i32 s8, s8, s6
	s_mul_hi_u32 s6, s5, s8
	s_mul_i32 s9, s6, s22
	s_sub_i32 s5, s5, s9
	s_add_i32 s8, s6, 1
	s_sub_i32 s9, s5, s22
	s_cmp_ge_u32 s5, s22
	s_cselect_b32 s6, s8, s6
	s_cselect_b32 s5, s9, s5
	s_add_i32 s8, s6, 1
	s_cmp_ge_u32 s5, s22
	s_cselect_b32 s6, s8, s6
	v_mov_b64_e32 v[2:3], s[6:7]
.LBB20_6:
	s_waitcnt lgkmcnt(0)
	s_mul_hi_u32 s5, s20, s16
	s_add_i32 s5, s5, s20
	v_mul_hi_u32 v1, v2, s16
	s_lshr_b32 s19, s5, s17
	v_add_u32_e32 v1, v1, v2
	s_mul_i32 s5, s19, s18
	v_lshrrev_b32_e32 v1, s17, v1
	s_cmp_eq_u32 s5, s20
	v_cmp_eq_u32_e64 s[6:7], s19, v1
	v_mul_lo_u32 v1, v1, s18
	v_cmp_eq_u32_e32 vcc, s20, v2
	s_cselect_b64 s[10:11], -1, 0
	v_cmp_ne_u32_e64 s[8:9], v1, v2
	s_and_b64 s[6:7], s[6:7], s[8:9]
	s_or_b64 s[8:9], vcc, s[10:11]
	s_or_b64 s[6:7], s[8:9], s[6:7]
	s_and_b64 vcc, exec, s[6:7]
	s_cbranch_vccnz .LBB20_24
; %bb.7:
	s_load_dwordx8 s[24:31], s[0:1], 0x20
	s_load_dword s5, s[0:1], 0x40
	s_waitcnt lgkmcnt(0)
	s_mul_hi_u32 s6, s20, s24
	s_add_i32 s6, s6, s20
	s_lshr_b32 s7, s6, s25
	s_mul_i32 s6, s7, s26
	s_sub_i32 s6, s20, s6
	s_mul_hi_u32 s8, s6, s27
	s_add_i32 s8, s6, s8
	s_lshr_b32 s23, s8, s28
	s_mul_i32 s8, s23, s29
	s_sub_i32 s6, s6, s8
	;; [unrolled: 5-line block ×3, first 2 shown]
	s_mul_hi_u32 s6, s5, s16
	s_add_i32 s5, s5, s6
	s_lshr_b32 s24, s5, s17
	s_lshl_b32 s5, s24, 4
	s_lshl_b32 s25, s8, 2
	s_add_i32 s5, s5, s3
	s_cmp_lt_i32 s5, s12
	s_cselect_b64 s[8:9], -1, 0
	s_add_i32 s25, s25, s4
	s_cmp_lt_i32 s25, s14
	s_cselect_b64 s[10:11], -1, 0
	s_and_b64 s[8:9], s[8:9], s[10:11]
	s_andn2_b64 vcc, exec, s[8:9]
	s_mov_b32 s6, 0
	s_cbranch_vccnz .LBB20_24
; %bb.8:
	s_load_dwordx4 s[8:11], s[0:1], 0x0
	s_lshl_b32 s21, s3, 2
	s_lshl_b32 s0, s22, 8
	s_mov_b32 s1, s6
	s_add_i32 s21, s21, s4
	s_lshl_b64 s[0:1], s[0:1], 2
	s_waitcnt lgkmcnt(0)
	s_add_u32 s4, s10, s0
	s_mul_i32 s0, s7, s12
	s_addc_u32 s5, s11, s1
	s_mul_i32 s23, s23, s14
	s_add_i32 s0, s0, s3
	s_mul_i32 s0, s0, s13
	s_add_i32 s3, s25, s23
	;; [unrolled: 2-line block ×3, first 2 shown]
	s_mulk_i32 s1, 0x700
	s_mulk_i32 s0, 0x70
	s_add_i32 s1, s1, s0
	v_add_u32_e32 v4, s1, v0
	v_mov_b32_e32 v2, s8
	v_mov_b32_e32 v3, s9
	v_ashrrev_i32_e32 v5, 31, v4
	v_lshl_add_u64 v[2:3], v[4:5], 2, v[2:3]
	global_load_dword v5, v[2:3], off
	s_lshl_b32 s0, s2, 6
	s_add_i32 s0, s21, s0
	s_ashr_i32 s1, s0, 31
	s_lshl_b64 s[0:1], s[0:1], 3
	s_add_u32 s0, s10, s0
	s_addc_u32 s1, s11, s1
	s_add_i32 s12, s2, -1
	s_mul_i32 s2, s21, 0x70
	v_add_u32_e32 v4, s2, v0
	v_cvt_f32_u32_e32 v0, s22
	v_cvt_f32_ubyte0_e32 v1, 0
	s_load_dwordx2 s[0:1], s[0:1], 0x0
	v_mov_b32_e32 v8, s20
	v_fmac_f32_e32 v0, 0x4f800000, v1
	v_rcp_f32_e32 v0, v0
	v_cvt_f32_u32_e32 v1, s22
	s_waitcnt lgkmcnt(0)
	v_mov_b32_e32 v6, s1
	v_mov_b32_e32 v7, s0
	v_mul_f32_e32 v0, 0x5f7ffffc, v0
	v_rcp_iflag_f32_e32 v1, v1
	v_mul_f32_e32 v9, 0x2f800000, v0
	v_trunc_f32_e32 v10, v9
	v_fmac_f32_e32 v0, 0xcf800000, v10
	v_cvt_u32_f32_e32 v9, v0
	v_mul_f32_e32 v0, 0x4f7ffffe, v1
	v_cvt_u32_f32_e32 v10, v10
	v_cvt_u32_f32_e32 v11, v0
	s_mov_b32 s8, 0x3fb8aa3b
	s_mov_b32 s9, 0xc2ce8ed0
	;; [unrolled: 1-line block ×4, first 2 shown]
	v_mov_b32_e32 v12, 0x7f800000
	s_mul_hi_i32 s7, s12, s15
	s_cmp_lg_u64 s[6:7], 0
	s_mul_i32 s2, s12, s15
	s_cbranch_scc0 .LBB20_15
.LBB20_9:
	s_sub_u32 s0, 0, s22
	v_readfirstlane_b32 s3, v9
	v_readfirstlane_b32 s24, v10
	s_subb_u32 s1, 0, 0
	s_mul_hi_u32 s23, s0, s3
	s_mul_i32 s25, s0, s24
	s_mul_i32 s20, s1, s3
	s_add_i32 s23, s23, s25
	s_add_i32 s23, s23, s20
	s_mul_i32 s26, s0, s3
	s_mul_hi_u32 s20, s3, s23
	s_mul_i32 s25, s3, s23
	s_mul_hi_u32 s3, s3, s26
	s_add_u32 s3, s3, s25
	s_addc_u32 s20, 0, s20
	s_mul_hi_u32 s27, s24, s26
	s_mul_i32 s26, s24, s26
	s_add_u32 s3, s3, s26
	s_mul_hi_u32 s25, s24, s23
	s_addc_u32 s3, s20, s27
	s_addc_u32 s20, s25, 0
	s_mul_i32 s23, s24, s23
	s_add_u32 s3, s3, s23
	s_addc_u32 s20, 0, s20
	v_add_co_u32_e32 v0, vcc, s3, v9
	s_cmp_lg_u64 vcc, 0
	s_addc_u32 s3, s24, s20
	v_readfirstlane_b32 s23, v0
	s_mul_i32 s20, s0, s3
	s_mul_hi_u32 s24, s0, s23
	s_add_i32 s20, s24, s20
	s_mul_i32 s1, s1, s23
	s_add_i32 s20, s20, s1
	s_mul_i32 s0, s0, s23
	s_mul_hi_u32 s24, s3, s0
	s_mul_i32 s25, s3, s0
	s_mul_i32 s27, s23, s20
	s_mul_hi_u32 s0, s23, s0
	s_mul_hi_u32 s26, s23, s20
	s_add_u32 s0, s0, s27
	s_addc_u32 s23, 0, s26
	s_add_u32 s0, s0, s25
	s_mul_hi_u32 s1, s3, s20
	s_addc_u32 s0, s23, s24
	s_addc_u32 s1, s1, 0
	s_mul_i32 s20, s3, s20
	s_add_u32 s0, s0, s20
	s_addc_u32 s1, 0, s1
	v_add_co_u32_e32 v0, vcc, s0, v0
	s_cmp_lg_u64 vcc, 0
	s_addc_u32 s3, s3, s1
	s_ashr_i32 s0, s7, 31
	s_add_u32 s24, s2, s0
	s_mov_b32 s1, s0
	s_addc_u32 s25, s7, s0
	s_xor_b64 s[24:25], s[24:25], s[0:1]
	v_readfirstlane_b32 s20, v0
	s_mul_i32 s7, s24, s3
	s_mul_hi_u32 s23, s24, s20
	s_mul_hi_u32 s1, s24, s3
	s_add_u32 s7, s23, s7
	s_addc_u32 s1, 0, s1
	s_mul_hi_u32 s26, s25, s20
	s_mul_i32 s20, s25, s20
	s_add_u32 s7, s7, s20
	s_mul_hi_u32 s23, s25, s3
	s_addc_u32 s1, s1, s26
	s_addc_u32 s7, s23, 0
	s_mul_i32 s3, s25, s3
	s_add_u32 s1, s1, s3
	s_addc_u32 s3, 0, s7
	s_mul_i32 s3, s22, s3
	s_mul_hi_u32 s23, s22, s1
	s_add_i32 s23, s23, s3
	s_mul_i32 s3, s22, s1
	v_mov_b32_e32 v0, s3
	s_add_u32 s7, s1, 1
	s_add_u32 s20, s1, 2
	v_sub_co_u32_e32 v0, vcc, s24, v0
	s_cmp_lg_u64 vcc, 0
	s_subb_u32 s3, s25, s23
	v_subrev_co_u32_e32 v1, vcc, s22, v0
	s_cmp_lg_u64 vcc, 0
	s_subb_u32 s23, s3, 0
	v_cmp_le_u32_e32 vcc, s22, v1
	s_cmp_eq_u32 s23, 0
	v_mov_b32_e32 v13, s7
	v_cndmask_b32_e64 v1, 0, -1, vcc
	s_cselect_b64 vcc, -1, 0
	v_cndmask_b32_e32 v1, -1, v1, vcc
	v_mov_b32_e32 v14, s20
	v_cmp_ne_u32_e32 vcc, 0, v1
	s_cmp_eq_u32 s3, 0
	s_nop 0
	v_cndmask_b32_e32 v1, v13, v14, vcc
	v_cmp_le_u32_e32 vcc, s22, v0
	v_mov_b32_e32 v13, s1
	s_nop 0
	v_cndmask_b32_e64 v0, 0, -1, vcc
	s_cselect_b64 vcc, -1, 0
	v_cndmask_b32_e32 v0, -1, v0, vcc
	v_cmp_ne_u32_e32 vcc, 0, v0
	s_nop 1
	v_cndmask_b32_e32 v0, v13, v1, vcc
	v_xor_b32_e32 v0, s0, v0
	v_subrev_co_u32_e32 v0, vcc, s0, v0
	s_cbranch_execnz .LBB20_11
.LBB20_10:
	s_sub_i32 s0, 0, s22
	v_mul_lo_u32 v0, s0, v11
	v_mul_hi_u32 v0, v11, v0
	v_add_u32_e32 v0, v11, v0
	v_mul_hi_u32 v0, s2, v0
	v_mul_lo_u32 v13, v0, s22
	v_sub_u32_e32 v13, s2, v13
	v_add_u32_e32 v1, 1, v0
	v_subrev_u32_e32 v14, s22, v13
	v_cmp_le_u32_e32 vcc, s22, v13
	s_nop 1
	v_cndmask_b32_e32 v13, v13, v14, vcc
	v_cndmask_b32_e32 v0, v0, v1, vcc
	v_add_u32_e32 v1, 1, v0
	v_cmp_le_u32_e32 vcc, s22, v13
	s_nop 1
	v_cndmask_b32_e32 v0, v0, v1, vcc
.LBB20_11:
	v_cmp_ne_u32_e32 vcc, v8, v0
	s_cbranch_vccz .LBB20_14
; %bb.12:
	s_add_i32 s0, s12, s22
	s_lshl_b32 s0, s0, 6
	v_mul_hi_u32 v1, v0, s16
	s_add_i32 s0, s0, s21
	s_mov_b32 s1, s6
	v_add_u32_e32 v1, v1, v0
	s_lshl_b64 s[0:1], s[0:1], 3
	v_lshrrev_b32_e32 v1, s17, v1
	s_add_u32 s2, s10, s0
	v_mul_lo_u32 v13, v1, s18
	s_addc_u32 s3, s11, s1
	v_cmp_eq_u32_e32 vcc, v13, v0
	v_cmp_gt_u32_e64 s[0:1], s19, v1
	s_or_b64 s[0:1], s[0:1], vcc
	s_and_b64 vcc, exec, s[0:1]
	s_cbranch_vccnz .LBB20_16
; %bb.13:
	s_add_i32 s7, s12, -1
	s_mov_b64 s[0:1], 0
	s_branch .LBB20_17
.LBB20_14:
                                        ; implicit-def: $sgpr0_sgpr1
                                        ; implicit-def: $vgpr14
                                        ; implicit-def: $vgpr1
                                        ; implicit-def: $vgpr13
                                        ; implicit-def: $sgpr7
                                        ; implicit-def: $vgpr0
	s_branch .LBB20_18
.LBB20_15:
                                        ; implicit-def: $vgpr0_vgpr1
	s_branch .LBB20_10
.LBB20_16:
	s_mov_b64 s[0:1], -1
	s_mov_b32 s7, s12
	v_mov_b32_e32 v0, v8
.LBB20_17:
	s_mul_i32 s20, s12, 0x1c00
	v_add_u32_e32 v14, s20, v4
	v_ashrrev_i32_e32 v15, 31, v14
	v_lshl_add_u64 v[14:15], v[14:15], 2, s[4:5]
	global_load_dword v14, v[14:15], off
	s_load_dwordx2 s[2:3], s[2:3], 0x0
	v_max_f32_e32 v1, v7, v7
	s_waitcnt lgkmcnt(0)
	v_max_f32_e64 v13, s2, s2
	v_max_f32_e32 v1, v1, v13
	v_sub_f32_e32 v13, v7, v1
	v_sub_f32_e32 v15, s2, v1
	v_mul_f32_e32 v16, 0x3fb8aa3b, v13
	v_mul_f32_e32 v17, 0x3fb8aa3b, v15
	v_fma_f32 v18, v13, s8, -v16
	v_rndne_f32_e32 v19, v16
	v_fma_f32 v20, v15, s8, -v17
	v_rndne_f32_e32 v21, v17
	v_fmac_f32_e32 v18, 0x32a5705f, v13
	v_sub_f32_e32 v16, v16, v19
	v_fmac_f32_e32 v20, 0x32a5705f, v15
	v_sub_f32_e32 v17, v17, v21
	v_add_f32_e32 v16, v16, v18
	v_cvt_i32_f32_e32 v19, v19
	v_add_f32_e32 v17, v17, v20
	v_exp_f32_e32 v16, v16
	v_cvt_i32_f32_e32 v21, v21
	v_exp_f32_e32 v17, v17
	v_cmp_ngt_f32_e32 vcc, s9, v13
	v_ldexp_f32 v16, v16, v19
	v_ldexp_f32 v17, v17, v21
	v_cndmask_b32_e32 v16, 0, v16, vcc
	v_cmp_ngt_f32_e32 vcc, s9, v15
	s_nop 1
	v_cndmask_b32_e32 v17, 0, v17, vcc
	v_cmp_nlt_f32_e32 vcc, s13, v13
	s_nop 1
	v_cndmask_b32_e32 v16, v12, v16, vcc
	v_cmp_nlt_f32_e32 vcc, s13, v15
	s_nop 1
	v_cndmask_b32_e32 v17, v12, v17, vcc
	v_cmp_le_f32_e32 vcc, s14, v13
	s_nop 1
	v_cndmask_b32_e32 v16, 0, v16, vcc
	v_cmp_le_f32_e32 vcc, s14, v15
	s_nop 1
	v_cndmask_b32_e32 v15, 0, v17, vcc
	v_mul_f32_e32 v13, s3, v15
	v_fmac_f32_e32 v13, v6, v16
	s_waitcnt vmcnt(0)
	v_mul_f32_e32 v14, v14, v15
	v_fmac_f32_e32 v14, v5, v16
	s_cbranch_execnz .LBB20_19
.LBB20_18:
	s_add_i32 s7, s12, -1
	s_mov_b64 s[0:1], 0
	v_mov_b32_e32 v0, v8
	v_mov_b32_e32 v13, v6
	;; [unrolled: 1-line block ×3, first 2 shown]
	s_waitcnt vmcnt(0)
	v_mov_b32_e32 v14, v5
.LBB20_19:
	s_andn2_b64 vcc, exec, s[0:1]
	s_cbranch_vccz .LBB20_23
; %bb.20:
	v_mov_b32_e32 v8, v0
	s_mov_b32 s12, s7
	v_mov_b32_e32 v6, v13
	v_mov_b32_e32 v7, v1
	s_waitcnt vmcnt(0)
	v_mov_b32_e32 v5, v14
	s_mul_hi_i32 s7, s12, s15
	s_cmp_lg_u64 s[6:7], 0
	s_mul_i32 s2, s12, s15
	s_cbranch_scc1 .LBB20_9
	s_branch .LBB20_15
.LBB20_21:
                                        ; implicit-def: $sgpr20_sgpr21
	s_load_dwordx4 s[16:19], s[0:1], 0x44
	s_branch .LBB20_2
.LBB20_22:
                                        ; implicit-def: $vgpr2_vgpr3
	s_branch .LBB20_5
.LBB20_23:
	v_div_scale_f32 v0, s[0:1], v13, v13, v14
	v_rcp_f32_e32 v1, v0
	v_div_scale_f32 v4, vcc, v14, v13, v14
	s_waitcnt vmcnt(0)
	v_fma_f32 v5, -v0, v1, 1.0
	v_fmac_f32_e32 v1, v5, v1
	v_mul_f32_e32 v5, v4, v1
	v_fma_f32 v6, -v0, v5, v4
	v_fmac_f32_e32 v5, v6, v1
	v_fma_f32 v0, -v0, v5, v4
	v_div_fmas_f32 v0, v0, v1, v5
	v_div_fixup_f32 v0, v0, v13, v14
	global_store_dword v[2:3], v0, off
.LBB20_24:
	s_endpgm
	.section	.rodata,"a",@progbits
	.p2align	6, 0x0
	.amdhsa_kernel _ZL33flash_attn_stream_k_fixup_generalILi112ELi16ELi4EEvPfPK15HIP_vector_typeIfLj2EEiiiiS1_IjLj3EES5_S5_S5_
		.amdhsa_group_segment_fixed_size 0
		.amdhsa_private_segment_fixed_size 0
		.amdhsa_kernarg_size 336
		.amdhsa_user_sgpr_count 2
		.amdhsa_user_sgpr_dispatch_ptr 0
		.amdhsa_user_sgpr_queue_ptr 0
		.amdhsa_user_sgpr_kernarg_segment_ptr 1
		.amdhsa_user_sgpr_dispatch_id 0
		.amdhsa_user_sgpr_kernarg_preload_length 0
		.amdhsa_user_sgpr_kernarg_preload_offset 0
		.amdhsa_user_sgpr_private_segment_size 0
		.amdhsa_uses_dynamic_stack 0
		.amdhsa_enable_private_segment 0
		.amdhsa_system_sgpr_workgroup_id_x 1
		.amdhsa_system_sgpr_workgroup_id_y 1
		.amdhsa_system_sgpr_workgroup_id_z 1
		.amdhsa_system_sgpr_workgroup_info 0
		.amdhsa_system_vgpr_workitem_id 0
		.amdhsa_next_free_vgpr 22
		.amdhsa_next_free_sgpr 32
		.amdhsa_accum_offset 24
		.amdhsa_reserve_vcc 1
		.amdhsa_float_round_mode_32 0
		.amdhsa_float_round_mode_16_64 0
		.amdhsa_float_denorm_mode_32 3
		.amdhsa_float_denorm_mode_16_64 3
		.amdhsa_dx10_clamp 1
		.amdhsa_ieee_mode 1
		.amdhsa_fp16_overflow 0
		.amdhsa_tg_split 0
		.amdhsa_exception_fp_ieee_invalid_op 0
		.amdhsa_exception_fp_denorm_src 0
		.amdhsa_exception_fp_ieee_div_zero 0
		.amdhsa_exception_fp_ieee_overflow 0
		.amdhsa_exception_fp_ieee_underflow 0
		.amdhsa_exception_fp_ieee_inexact 0
		.amdhsa_exception_int_div_zero 0
	.end_amdhsa_kernel
	.section	.text._ZL33flash_attn_stream_k_fixup_generalILi112ELi16ELi4EEvPfPK15HIP_vector_typeIfLj2EEiiiiS1_IjLj3EES5_S5_S5_,"axG",@progbits,_ZL33flash_attn_stream_k_fixup_generalILi112ELi16ELi4EEvPfPK15HIP_vector_typeIfLj2EEiiiiS1_IjLj3EES5_S5_S5_,comdat
.Lfunc_end20:
	.size	_ZL33flash_attn_stream_k_fixup_generalILi112ELi16ELi4EEvPfPK15HIP_vector_typeIfLj2EEiiiiS1_IjLj3EES5_S5_S5_, .Lfunc_end20-_ZL33flash_attn_stream_k_fixup_generalILi112ELi16ELi4EEvPfPK15HIP_vector_typeIfLj2EEiiiiS1_IjLj3EES5_S5_S5_
                                        ; -- End function
	.section	.AMDGPU.csdata,"",@progbits
; Kernel info:
; codeLenInByte = 2868
; NumSgprs: 38
; NumVgprs: 22
; NumAgprs: 0
; TotalNumVgprs: 22
; ScratchSize: 0
; MemoryBound: 0
; FloatMode: 240
; IeeeMode: 1
; LDSByteSize: 0 bytes/workgroup (compile time only)
; SGPRBlocks: 4
; VGPRBlocks: 2
; NumSGPRsForWavesPerEU: 38
; NumVGPRsForWavesPerEU: 22
; AccumOffset: 24
; Occupancy: 8
; WaveLimiterHint : 0
; COMPUTE_PGM_RSRC2:SCRATCH_EN: 0
; COMPUTE_PGM_RSRC2:USER_SGPR: 2
; COMPUTE_PGM_RSRC2:TRAP_HANDLER: 0
; COMPUTE_PGM_RSRC2:TGID_X_EN: 1
; COMPUTE_PGM_RSRC2:TGID_Y_EN: 1
; COMPUTE_PGM_RSRC2:TGID_Z_EN: 1
; COMPUTE_PGM_RSRC2:TIDIG_COMP_CNT: 0
; COMPUTE_PGM_RSRC3_GFX90A:ACCUM_OFFSET: 5
; COMPUTE_PGM_RSRC3_GFX90A:TG_SPLIT: 0
	.section	.text._ZL15flash_attn_tileILi112ELi112ELi8ELi4ELb0EEvPKcS1_S1_S1_S1_PKiPfP15HIP_vector_typeIfLj2EEffffjfiS5_IjLj3EEiiiiiiiiiiiliiliiiiil,"axG",@progbits,_ZL15flash_attn_tileILi112ELi112ELi8ELi4ELb0EEvPKcS1_S1_S1_S1_PKiPfP15HIP_vector_typeIfLj2EEffffjfiS5_IjLj3EEiiiiiiiiiiiliiliiiiil,comdat
	.globl	_ZL15flash_attn_tileILi112ELi112ELi8ELi4ELb0EEvPKcS1_S1_S1_S1_PKiPfP15HIP_vector_typeIfLj2EEffffjfiS5_IjLj3EEiiiiiiiiiiiliiliiiiil ; -- Begin function _ZL15flash_attn_tileILi112ELi112ELi8ELi4ELb0EEvPKcS1_S1_S1_S1_PKiPfP15HIP_vector_typeIfLj2EEffffjfiS5_IjLj3EEiiiiiiiiiiiliiliiiiil
	.p2align	8
	.type	_ZL15flash_attn_tileILi112ELi112ELi8ELi4ELb0EEvPKcS1_S1_S1_S1_PKiPfP15HIP_vector_typeIfLj2EEffffjfiS5_IjLj3EEiiiiiiiiiiiliiliiiiil,@function
_ZL15flash_attn_tileILi112ELi112ELi8ELi4ELb0EEvPKcS1_S1_S1_S1_PKiPfP15HIP_vector_typeIfLj2EEffffjfiS5_IjLj3EEiiiiiiiiiiiliiliiiiil: ; @_ZL15flash_attn_tileILi112ELi112ELi8ELi4ELb0EEvPKcS1_S1_S1_S1_PKiPfP15HIP_vector_typeIfLj2EEffffjfiS5_IjLj3EEiiiiiiiiiiiliiliiiiil
; %bb.0:
	s_load_dwordx4 s[52:55], s[0:1], 0x5c
	s_load_dwordx2 s[56:57], s[0:1], 0x80
	s_load_dwordx16 s[36:51], s[0:1], 0x0
	s_mov_b64 s[58:59], 0
	s_waitcnt lgkmcnt(0)
	s_ashr_i32 s5, s55, 31
	s_lshr_b32 s5, s5, 30
	s_add_i32 s5, s55, s5
	s_ashr_i32 s5, s5, 2
	v_cvt_f32_u32_e32 v1, s5
	s_sub_i32 s6, 0, s5
	v_rcp_iflag_f32_e32 v1, v1
	s_nop 0
	v_mul_f32_e32 v1, 0x4f7ffffe, v1
	v_cvt_u32_f32_e32 v1, v1
	s_nop 0
	v_readfirstlane_b32 s7, v1
	s_mul_i32 s6, s6, s7
	s_mul_hi_u32 s6, s7, s6
	s_add_i32 s7, s7, s6
	s_mul_hi_u32 s6, s4, s7
	s_mul_i32 s7, s6, s5
	s_sub_i32 s7, s4, s7
	s_add_i32 s8, s6, 1
	s_sub_i32 s9, s7, s5
	s_cmp_ge_u32 s7, s5
	s_cselect_b32 s6, s8, s6
	s_cselect_b32 s7, s9, s7
	s_add_i32 s8, s6, 1
	s_cmp_ge_u32 s7, s5
	s_cselect_b32 s33, s8, s6
	s_abs_i32 s5, s57
	v_cvt_f32_u32_e32 v1, s5
	s_sub_i32 s8, 0, s5
	s_abs_i32 s7, s55
	s_xor_b32 s6, s55, s57
	v_rcp_iflag_f32_e32 v1, v1
	s_lshl_b32 s4, s4, 2
	s_ashr_i32 s6, s6, 31
	v_mul_f32_e32 v1, 0x4f7ffffe, v1
	v_cvt_u32_f32_e32 v1, v1
	s_nop 0
	v_readfirstlane_b32 s9, v1
	s_mul_i32 s8, s8, s9
	s_mul_hi_u32 s8, s9, s8
	s_add_i32 s9, s9, s8
	s_mul_hi_u32 s8, s7, s9
	s_mul_i32 s9, s8, s5
	s_sub_i32 s7, s7, s9
	s_add_i32 s10, s8, 1
	s_sub_i32 s9, s7, s5
	s_cmp_ge_u32 s7, s5
	s_cselect_b32 s8, s10, s8
	s_cselect_b32 s7, s9, s7
	s_add_i32 s9, s8, 1
	s_cmp_ge_u32 s7, s5
	s_cselect_b32 s5, s9, s8
	s_xor_b32 s5, s5, s6
	s_sub_i32 s13, s5, s6
	s_abs_i32 s12, s13
	v_cvt_f32_u32_e32 v1, s12
	s_load_dwordx2 s[8:9], s[0:1], 0xb8
	s_mul_i32 s5, s33, s55
	s_cmp_eq_u64 s[42:43], 0
	v_rcp_iflag_f32_e32 v1, v1
	s_nop 0
	v_mul_f32_e32 v1, 0x4f7ffffe, v1
	v_cvt_u32_f32_e32 v1, v1
	s_nop 0
	v_readfirstlane_b32 s14, v1
	s_cbranch_scc1 .LBB21_2
; %bb.1:
	s_waitcnt lgkmcnt(0)
	s_abs_i32 s8, s8
	v_cvt_f32_u32_e32 v1, s8
	s_sub_i32 s15, 0, s8
	s_abs_i32 s11, s33
	s_ashr_i32 s10, s33, 31
	v_rcp_iflag_f32_e32 v1, v1
	s_load_dwordx2 s[6:7], s[0:1], 0xc8
	v_mul_f32_e32 v1, 0x4f7ffffe, v1
	v_cvt_u32_f32_e32 v1, v1
	s_nop 0
	v_readfirstlane_b32 s16, v1
	s_mul_i32 s15, s15, s16
	s_mul_hi_u32 s15, s16, s15
	s_add_i32 s16, s16, s15
	s_mul_hi_u32 s15, s11, s16
	s_mul_i32 s15, s15, s8
	s_sub_i32 s11, s11, s15
	s_sub_i32 s15, s11, s8
	s_cmp_ge_u32 s11, s8
	s_cselect_b32 s11, s15, s11
	s_sub_i32 s15, s11, s8
	s_cmp_ge_u32 s11, s8
	s_cselect_b32 s8, s15, s11
	s_xor_b32 s8, s8, s10
	s_sub_i32 s8, s8, s10
	s_ashr_i32 s10, s8, 31
	s_waitcnt lgkmcnt(0)
	s_mul_i32 s7, s8, s7
	s_mul_hi_u32 s11, s8, s6
	s_add_i32 s7, s11, s7
	s_mul_i32 s10, s10, s6
	s_add_i32 s7, s7, s10
	s_mul_i32 s8, s8, s6
	s_add_u32 s58, s42, s8
	s_addc_u32 s59, s43, s7
.LBB21_2:
	v_bfe_u32 v4, v0, 10, 10
	v_lshl_add_u32 v69, s2, 3, v4
	v_and_b32_e32 v70, 0x3ff, v0
	v_mul_hi_u32 v0, s52, v69
	v_add_u32_e32 v0, v69, v0
	v_lshrrev_b32_e32 v0, s53, v0
	v_mul_lo_u32 v0, v0, s54
	s_sub_i32 s34, s4, s5
	v_cmp_gt_u32_e64 s[30:31], 28, v70
	v_sub_u32_e32 v5, v69, v0
	v_lshlrev_b32_e32 v68, 2, v70
	s_and_saveexec_b64 s[10:11], s[30:31]
	s_cbranch_execz .LBB21_4
; %bb.3:
	s_load_dwordx4 s[4:7], s[0:1], 0x70
	v_lshlrev_b32_e32 v18, 1, v70
	v_mul_u32_u24_e32 v19, 0xe0, v4
	v_add_lshl_u32 v18, v19, v18, 2
	s_waitcnt lgkmcnt(0)
	s_mul_i32 s6, s33, s6
	s_ashr_i32 s8, s6, 31
	s_mul_i32 s7, s34, s5
	s_add_u32 s6, s36, s6
	s_addc_u32 s8, s37, s8
	s_ashr_i32 s15, s7, 31
	s_add_u32 s6, s6, s7
	v_mov_b32_e32 v0, s4
	s_addc_u32 s7, s8, s15
	s_ashr_i32 s4, s4, 31
	v_alignbit_b32 v0, s4, v0, 2
	v_mad_u64_u32 v[0:1], s[16:17], v0, v5, 0
	v_mov_b32_e32 v2, v1
	s_lshr_b32 s4, s4, 2
	v_mad_u64_u32 v[2:3], s[16:17], s4, v5, v[2:3]
	v_mov_b32_e32 v1, v2
	v_lshl_add_u64 v[0:1], v[0:1], 2, s[6:7]
	v_lshlrev_b32_e32 v2, 2, v68
	v_mov_b32_e32 v3, 0
	s_ashr_i32 s7, s5, 31
	s_mov_b32 s6, s5
	v_mov_b32_e32 v16, s5
	v_lshl_add_u64 v[14:15], v[0:1], 0, v[2:3]
	s_lshr_b64 s[16:17], s[6:7], 2
	s_and_b32 s6, s5, -4
	v_alignbit_b32 v16, s7, v16, 2
	global_load_dwordx4 v[0:3], v[14:15], off
	v_lshl_add_u64 v[6:7], v[14:15], 0, s[6:7]
	v_lshl_add_u64 v[10:11], s[16:17], 3, v[14:15]
	v_mad_u64_u32 v[14:15], s[4:5], v16, 12, v[14:15]
	v_mov_b32_e32 v16, v15
	s_lshr_b32 s4, s7, 2
	v_mad_u64_u32 v[16:17], s[4:5], s4, 12, v[16:17]
	global_load_dwordx4 v[6:9], v[6:7], off
	v_mov_b32_e32 v15, v16
	global_load_dwordx4 v[10:13], v[10:11], off
	s_load_dword s4, s[0:1], 0x40
	global_load_dwordx4 v[14:17], v[14:15], off
	s_waitcnt vmcnt(3) lgkmcnt(0)
	v_pk_mul_f32 v[0:1], v[0:1], s[4:5] op_sel_hi:[1,0]
	v_pk_mul_f32 v[2:3], v[2:3], s[4:5] op_sel_hi:[1,0]
	v_cvt_f16_f32_e32 v19, v1
	v_cvt_f16_f32_e32 v20, v0
	;; [unrolled: 1-line block ×4, first 2 shown]
	s_waitcnt vmcnt(2)
	v_pk_mul_f32 v[0:1], v[6:7], s[4:5] op_sel_hi:[1,0]
	v_pk_mul_f32 v[2:3], v[8:9], s[4:5] op_sel_hi:[1,0]
	s_waitcnt vmcnt(1)
	v_pk_mul_f32 v[6:7], v[10:11], s[4:5] op_sel_hi:[1,0]
	v_pk_mul_f32 v[8:9], v[12:13], s[4:5] op_sel_hi:[1,0]
	v_cvt_f16_f32_e32 v10, v1
	v_cvt_f16_f32_e32 v11, v0
	v_cvt_f16_f32_e32 v12, v3
	v_cvt_f16_f32_e32 v13, v2
	s_waitcnt vmcnt(0)
	v_pk_mul_f32 v[0:1], v[14:15], s[4:5] op_sel_hi:[1,0]
	v_pk_mul_f32 v[2:3], v[16:17], s[4:5] op_sel_hi:[1,0]
	v_cvt_f16_f32_e32 v23, v7
	v_cvt_f16_f32_e32 v24, v6
	v_cvt_f16_f32_e32 v9, v9
	v_cvt_f16_f32_e32 v8, v8
	v_cvt_f16_f32_e32 v14, v1
	v_cvt_f16_f32_e32 v15, v0
	v_cvt_f16_f32_e32 v16, v3
	v_cvt_f16_f32_e32 v17, v2
	v_pack_b32_f16 v7, v22, v21
	v_pack_b32_f16 v6, v20, v19
	;; [unrolled: 1-line block ×6, first 2 shown]
	ds_write2_b64 v18, v[6:7], v[0:1] offset1:28
	v_pack_b32_f16 v1, v17, v16
	v_pack_b32_f16 v0, v15, v14
	ds_write2_b64 v18, v[2:3], v[0:1] offset0:56 offset1:84
.LBB21_4:
	s_or_b64 exec, exec, s[10:11]
	s_cmp_eq_u64 s[46:47], 0
	s_waitcnt lgkmcnt(0)
	s_barrier
	s_cbranch_scc1 .LBB21_6
; %bb.5:
	s_load_dword s4, s[0:1], 0xd0
	s_mov_b32 s5, 0
	s_waitcnt lgkmcnt(0)
	s_mul_i32 s4, s4, s33
	s_add_i32 s4, s4, s2
	s_lshl_b64 s[4:5], s[4:5], 2
	s_add_u32 s4, s46, s4
	s_addc_u32 s5, s47, s5
	s_load_dword s56, s[4:5], 0x0
.LBB21_6:
	s_lshl_b32 s35, s3, 5
	s_waitcnt lgkmcnt(0)
	s_cmp_lt_i32 s35, s56
	v_mbcnt_lo_u32_b32 v6, -1, 0
	s_cbranch_scc1 .LBB21_8
; %bb.7:
	v_mbcnt_hi_u32_b32 v97, -1, v6
	v_and_b32_e32 v0, 0x60, v97
	s_mov_b32 s2, 0
	v_add_u32_e32 v120, 32, v0
	v_xor_b32_e32 v122, 16, v97
	v_xor_b32_e32 v123, 8, v97
	;; [unrolled: 1-line block ×5, first 2 shown]
	s_mov_b64 s[4:5], 0
	s_mov_b32 s6, 0xfeffffff
	s_branch .LBB21_9
.LBB21_8:
	s_mov_b64 s[4:5], -1
                                        ; implicit-def: $sgpr6
                                        ; implicit-def: $sgpr2
                                        ; implicit-def: $vgpr97
                                        ; implicit-def: $vgpr120
                                        ; implicit-def: $vgpr122
                                        ; implicit-def: $vgpr123
                                        ; implicit-def: $vgpr124
                                        ; implicit-def: $vgpr121
                                        ; implicit-def: $vgpr119
.LBB21_9:
	s_andn2_b64 vcc, exec, s[4:5]
	v_mov_b32_e32 v3, s6
	v_mov_b32_e32 v79, s2
	;; [unrolled: 1-line block ×16, first 2 shown]
	s_cbranch_vccnz .LBB21_37
; %bb.10:
	s_load_dwordx2 s[10:11], s[0:1], 0x8c
	s_load_dwordx4 s[4:7], s[0:1], 0x98
	s_sub_i32 s2, 0, s12
	s_mul_i32 s2, s2, s14
	s_mul_hi_u32 s2, s14, s2
	s_waitcnt lgkmcnt(0)
	s_ashr_i32 s43, s10, 2
	s_ashr_i32 s42, s6, 2
	;; [unrolled: 1-line block ×3, first 2 shown]
	s_mul_i32 s5, s33, s5
	s_mul_hi_u32 s10, s33, s4
	s_add_i32 s5, s10, s5
	s_mul_i32 s10, s6, s4
	s_abs_i32 s8, s34
	s_add_i32 s14, s14, s2
	s_ashr_i32 s16, s34, 31
	s_ashr_i32 s13, s13, 31
	;; [unrolled: 1-line block ×3, first 2 shown]
	s_add_i32 s5, s5, s10
	s_mul_i32 s4, s33, s4
	s_mul_hi_u32 s2, s8, s14
	s_add_u32 s4, s38, s4
	s_addc_u32 s5, s39, s5
	s_xor_b32 s10, s16, s13
	s_mul_i32 s13, s2, s12
	s_sub_i32 s8, s8, s13
	s_add_i32 s13, s2, 1
	s_sub_i32 s16, s8, s12
	s_cmp_ge_u32 s8, s12
	s_cselect_b32 s2, s13, s2
	s_cselect_b32 s8, s16, s8
	s_add_i32 s13, s2, 1
	s_cmp_ge_u32 s8, s12
	s_cselect_b32 s2, s13, s2
	s_load_dwordx2 s[14:15], s[0:1], 0xa8
	s_xor_b32 s2, s2, s10
	s_sub_i32 s2, s2, s10
	s_mul_i32 s8, s2, s11
	s_ashr_i32 s10, s8, 31
	s_add_u32 s46, s4, s8
	s_addc_u32 s47, s5, s10
	s_waitcnt lgkmcnt(0)
	s_mul_i32 s4, s33, s15
	s_mul_hi_u32 s5, s33, s14
	s_add_i32 s4, s5, s4
	s_mul_i32 s6, s6, s14
	v_lshl_add_u32 v0, v4, 5, v70
	s_add_i32 s4, s4, s6
	s_mul_i32 s5, s33, s14
	v_cmp_gt_u32_e32 vcc, 32, v0
	v_lshrrev_b32_e32 v1, 1, v70
	v_lshrrev_b32_e32 v2, 2, v70
	v_mul_lo_u32 v82, s43, v0
	v_and_b32_e32 v0, 4, v68
	s_add_u32 s5, s40, s5
	s_mul_i32 s2, s2, s7
	v_lshl_add_u32 v1, v4, 4, v1
	v_lshl_add_u32 v3, v4, 3, v2
	v_lshlrev_b32_e32 v2, 7, v70
	v_lshlrev_b32_e32 v7, 2, v0
	s_addc_u32 s4, s41, s4
	s_ashr_i32 s6, s2, 31
	v_add_u32_e32 v108, 0x1c00, v2
	v_add_u32_e32 v110, 0x1c60, v2
	v_lshl_or_b32 v2, v1, 7, v7
	v_mad_u64_u32 v[90:91], s[8:9], v5, s9, v[70:71]
	v_mov_b32_e32 v5, 0x2c40
	s_add_u32 s52, s5, s2
	v_add_u32_e32 v111, 0x1c40, v2
	v_and_b32_e32 v2, 12, v68
	v_lshl_add_u32 v113, v4, 8, v5
	v_lshrrev_b32_e32 v5, 3, v70
	s_addc_u32 s53, s4, s6
	v_cmp_gt_u32_e64 s[4:5], 32, v1
	v_mul_u32_u24_e32 v109, 0x380, v4
	v_mul_lo_u32 v84, s43, v1
	v_lshlrev_b32_e32 v8, 2, v2
	v_cmp_gt_u32_e64 s[8:9], 16, v1
	v_lshl_add_u32 v4, v4, 2, v5
	v_mul_u32_u24_e32 v5, 0xe0, v1
	v_mul_lo_u32 v92, s42, v1
	v_mul_u32_u24_e32 v1, 0xe0, v3
	s_movk_i32 s14, 0x1c80
	v_and_b32_e32 v96, 28, v68
	v_cmp_gt_u32_e64 s[6:7], 32, v3
	s_movk_i32 s2, 0x1c00
	v_lshl_or_b32 v9, v3, 7, v8
	v_mov_b32_e32 v87, 0
	v_mul_lo_u32 v88, s43, v3
	v_cmp_gt_u32_e64 s[10:11], 16, v3
	v_or_b32_e32 v5, v5, v7
	v_add3_u32 v116, v1, v8, s14
	v_mul_lo_u32 v94, s42, v3
	v_mul_u32_u24_e32 v1, 0xe0, v4
	v_lshlrev_b32_e32 v3, 2, v96
	v_mul_lo_u32 v98, s42, v4
	s_add_u32 s36, s0, 0xd0
	v_ashrrev_i32_e32 v83, 31, v82
	v_ashrrev_i32_e32 v85, 31, v84
	v_add_u32_e32 v112, 0x1c00, v9
	v_ashrrev_i32_e32 v89, 31, v88
	v_lshlrev_b32_e32 v114, 3, v70
	v_cmp_gt_u32_e64 s[12:13], 16, v4
	v_add_u32_e32 v115, 0x1cc0, v5
	v_ashrrev_i32_e32 v93, 31, v92
	v_ashrrev_i32_e32 v95, 31, v94
	v_add3_u32 v117, v1, v3, s2
	v_ashrrev_i32_e32 v99, 31, v98
	s_addc_u32 s37, s1, 0
	v_mov_b32_e32 v10, 0xfeffffff
	v_mbcnt_hi_u32_b32 v97, -1, v6
	s_mov_b32 s2, 0x40051340
	s_mov_b32 s57, 0x3fb8aa3b
	;; [unrolled: 1-line block ×4, first 2 shown]
	v_lshlrev_b32_e32 v86, 2, v0
	v_lshlrev_b32_e32 v100, 2, v2
	v_mov_b32_e32 v118, 0x7f800000
	v_mov_b32_e32 v73, v87
	;; [unrolled: 1-line block ×16, first 2 shown]
.LBB21_11:                              ; =>This Inner Loop Header: Depth=1
	s_mul_hi_i32 s15, s35, s43
	s_mul_i32 s14, s35, s43
	s_lshl_b64 s[14:15], s[14:15], 2
	s_add_u32 s14, s46, s14
	s_addc_u32 s15, s47, s15
	v_lshl_add_u64 v[8:9], v[82:83], 2, s[14:15]
	s_and_saveexec_b64 s[16:17], vcc
	s_cbranch_execnz .LBB21_29
; %bb.12:                               ;   in Loop: Header=BB21_11 Depth=1
	s_or_b64 exec, exec, s[16:17]
	v_lshl_add_u64 v[4:5], v[84:85], 2, s[14:15]
	s_and_saveexec_b64 s[16:17], s[4:5]
	s_cbranch_execnz .LBB21_30
.LBB21_13:                              ;   in Loop: Header=BB21_11 Depth=1
	s_or_b64 exec, exec, s[16:17]
	v_lshl_add_u64 v[6:7], v[88:89], 2, s[14:15]
	s_and_saveexec_b64 s[14:15], s[6:7]
	s_cbranch_execz .LBB21_15
.LBB21_14:                              ;   in Loop: Header=BB21_11 Depth=1
	v_mov_b32_e32 v101, v87
	v_lshl_add_u64 v[0:1], v[6:7], 0, v[100:101]
	global_load_dwordx4 v[0:3], v[0:1], off
	s_waitcnt vmcnt(0)
	ds_write_b128 v112, v[0:3]
.LBB21_15:                              ;   in Loop: Header=BB21_11 Depth=1
	s_or_b64 exec, exec, s[14:15]
	s_waitcnt lgkmcnt(0)
	s_barrier
	ds_read_b128 v[14:17], v108
	ds_read_b128 v[18:21], v109
	ds_read_b128 v[22:25], v109 offset:224
	ds_read_b128 v[26:29], v109 offset:448
	;; [unrolled: 1-line block ×3, first 2 shown]
	v_mov_b32_e32 v0, 0
	s_waitcnt lgkmcnt(3)
	;;#ASMSTART
	v_dot2_f32_f16 v0, v14, v18, v0
	;;#ASMEND
	v_mov_b32_e32 v1, 0
	;;#ASMSTART
	v_dot2_f32_f16 v0, v15, v19, v0
	;;#ASMEND
	v_mov_b32_e32 v2, 0
	;; [unrolled: 4-line block ×3, first 2 shown]
	;;#ASMSTART
	v_dot2_f32_f16 v0, v17, v21, v0
	;;#ASMEND
	s_waitcnt lgkmcnt(2)
	;;#ASMSTART
	v_dot2_f32_f16 v1, v14, v22, v1
	;;#ASMEND
	s_nop 0
	;;#ASMSTART
	v_dot2_f32_f16 v1, v15, v23, v1
	;;#ASMEND
	s_nop 0
	;;#ASMSTART
	v_dot2_f32_f16 v1, v16, v24, v1
	;;#ASMEND
	s_nop 0
	;;#ASMSTART
	v_dot2_f32_f16 v1, v17, v25, v1
	;;#ASMEND
	s_waitcnt lgkmcnt(1)
	;;#ASMSTART
	v_dot2_f32_f16 v2, v14, v26, v2
	;;#ASMEND
	s_nop 0
	;;#ASMSTART
	v_dot2_f32_f16 v2, v15, v27, v2
	;;#ASMEND
	s_nop 0
	;;#ASMSTART
	v_dot2_f32_f16 v2, v16, v28, v2
	;;#ASMEND
	s_nop 0
	;; [unrolled: 16-line block ×3, first 2 shown]
	;;#ASMSTART
	v_dot2_f32_f16 v3, v17, v33, v3
	;;#ASMEND
	ds_read_b128 v[14:17], v108 offset:16
	ds_read_b128 v[18:21], v109 offset:16
	ds_read_b128 v[22:25], v109 offset:240
	ds_read_b128 v[26:29], v109 offset:464
	ds_read_b128 v[30:33], v109 offset:688
	s_waitcnt lgkmcnt(3)
	;;#ASMSTART
	v_dot2_f32_f16 v0, v14, v18, v0
	;;#ASMEND
	s_nop 0
	;;#ASMSTART
	v_dot2_f32_f16 v0, v15, v19, v0
	;;#ASMEND
	s_nop 0
	;;#ASMSTART
	v_dot2_f32_f16 v0, v16, v20, v0
	;;#ASMEND
	s_nop 0
	;;#ASMSTART
	v_dot2_f32_f16 v0, v17, v21, v0
	;;#ASMEND
	s_waitcnt lgkmcnt(2)
	;;#ASMSTART
	v_dot2_f32_f16 v1, v14, v22, v1
	;;#ASMEND
	s_nop 0
	;;#ASMSTART
	v_dot2_f32_f16 v1, v15, v23, v1
	;;#ASMEND
	s_nop 0
	;;#ASMSTART
	v_dot2_f32_f16 v1, v16, v24, v1
	;;#ASMEND
	s_nop 0
	;;#ASMSTART
	v_dot2_f32_f16 v1, v17, v25, v1
	;;#ASMEND
	;; [unrolled: 16-line block ×4, first 2 shown]
	ds_read_b128 v[14:17], v108 offset:32
	ds_read_b128 v[18:21], v109 offset:32
	;; [unrolled: 1-line block ×5, first 2 shown]
	s_waitcnt lgkmcnt(3)
	;;#ASMSTART
	v_dot2_f32_f16 v0, v14, v18, v0
	;;#ASMEND
	s_nop 0
	;;#ASMSTART
	v_dot2_f32_f16 v0, v15, v19, v0
	;;#ASMEND
	s_nop 0
	;;#ASMSTART
	v_dot2_f32_f16 v0, v16, v20, v0
	;;#ASMEND
	s_nop 0
	;;#ASMSTART
	v_dot2_f32_f16 v0, v17, v21, v0
	;;#ASMEND
	s_waitcnt lgkmcnt(2)
	;;#ASMSTART
	v_dot2_f32_f16 v1, v14, v22, v1
	;;#ASMEND
	s_nop 0
	;;#ASMSTART
	v_dot2_f32_f16 v1, v15, v23, v1
	;;#ASMEND
	s_nop 0
	;;#ASMSTART
	v_dot2_f32_f16 v1, v16, v24, v1
	;;#ASMEND
	s_nop 0
	;;#ASMSTART
	v_dot2_f32_f16 v1, v17, v25, v1
	;;#ASMEND
	;; [unrolled: 16-line block ×4, first 2 shown]
	ds_read_b128 v[14:17], v108 offset:48
	ds_read_b128 v[18:21], v109 offset:48
	;; [unrolled: 1-line block ×5, first 2 shown]
	s_waitcnt lgkmcnt(3)
	;;#ASMSTART
	v_dot2_f32_f16 v0, v14, v18, v0
	;;#ASMEND
	s_nop 0
	;;#ASMSTART
	v_dot2_f32_f16 v0, v15, v19, v0
	;;#ASMEND
	s_nop 0
	;;#ASMSTART
	v_dot2_f32_f16 v0, v16, v20, v0
	;;#ASMEND
	s_nop 0
	;;#ASMSTART
	v_dot2_f32_f16 v0, v17, v21, v0
	;;#ASMEND
	s_waitcnt lgkmcnt(2)
	;;#ASMSTART
	v_dot2_f32_f16 v1, v14, v22, v1
	;;#ASMEND
	s_nop 0
	;;#ASMSTART
	v_dot2_f32_f16 v1, v15, v23, v1
	;;#ASMEND
	s_nop 0
	;;#ASMSTART
	v_dot2_f32_f16 v1, v16, v24, v1
	;;#ASMEND
	s_nop 0
	;;#ASMSTART
	v_dot2_f32_f16 v1, v17, v25, v1
	;;#ASMEND
	;; [unrolled: 16-line block ×4, first 2 shown]
	ds_read_b128 v[14:17], v108 offset:64
	ds_read_b128 v[18:21], v109 offset:64
	;; [unrolled: 1-line block ×5, first 2 shown]
	s_waitcnt lgkmcnt(3)
	;;#ASMSTART
	v_dot2_f32_f16 v0, v14, v18, v0
	;;#ASMEND
	s_nop 0
	;;#ASMSTART
	v_dot2_f32_f16 v0, v15, v19, v0
	;;#ASMEND
	s_nop 0
	;;#ASMSTART
	v_dot2_f32_f16 v0, v16, v20, v0
	;;#ASMEND
	s_nop 0
	;;#ASMSTART
	v_dot2_f32_f16 v0, v17, v21, v0
	;;#ASMEND
	s_waitcnt lgkmcnt(2)
	;;#ASMSTART
	v_dot2_f32_f16 v1, v14, v22, v1
	;;#ASMEND
	s_nop 0
	;;#ASMSTART
	v_dot2_f32_f16 v1, v15, v23, v1
	;;#ASMEND
	s_nop 0
	;;#ASMSTART
	v_dot2_f32_f16 v1, v16, v24, v1
	;;#ASMEND
	s_nop 0
	;;#ASMSTART
	v_dot2_f32_f16 v1, v17, v25, v1
	;;#ASMEND
	;; [unrolled: 16-line block ×4, first 2 shown]
	ds_read_b128 v[14:17], v108 offset:80
	ds_read_b128 v[18:21], v109 offset:80
	;; [unrolled: 1-line block ×5, first 2 shown]
	s_waitcnt lgkmcnt(3)
	;;#ASMSTART
	v_dot2_f32_f16 v0, v14, v18, v0
	;;#ASMEND
	s_nop 0
	;;#ASMSTART
	v_dot2_f32_f16 v0, v15, v19, v0
	;;#ASMEND
	s_nop 0
	;;#ASMSTART
	v_dot2_f32_f16 v0, v16, v20, v0
	;;#ASMEND
	s_nop 0
	;;#ASMSTART
	v_dot2_f32_f16 v0, v17, v21, v0
	;;#ASMEND
	s_waitcnt lgkmcnt(2)
	;;#ASMSTART
	v_dot2_f32_f16 v1, v14, v22, v1
	;;#ASMEND
	s_nop 0
	;;#ASMSTART
	v_dot2_f32_f16 v1, v15, v23, v1
	;;#ASMEND
	s_nop 0
	;;#ASMSTART
	v_dot2_f32_f16 v1, v16, v24, v1
	;;#ASMEND
	s_nop 0
	;;#ASMSTART
	v_dot2_f32_f16 v1, v17, v25, v1
	;;#ASMEND
	;; [unrolled: 16-line block ×4, first 2 shown]
	ds_read_b128 v[14:17], v108 offset:96
	ds_read_b128 v[18:21], v109 offset:96
	;; [unrolled: 1-line block ×5, first 2 shown]
	s_waitcnt lgkmcnt(3)
	;;#ASMSTART
	v_dot2_f32_f16 v0, v14, v18, v0
	;;#ASMEND
	s_nop 0
	;;#ASMSTART
	v_dot2_f32_f16 v0, v15, v19, v0
	;;#ASMEND
	s_nop 0
	;;#ASMSTART
	v_dot2_f32_f16 v0, v16, v20, v0
	;;#ASMEND
	s_nop 0
	;;#ASMSTART
	v_dot2_f32_f16 v0, v17, v21, v0
	;;#ASMEND
	s_waitcnt lgkmcnt(2)
	;;#ASMSTART
	v_dot2_f32_f16 v1, v14, v22, v1
	;;#ASMEND
	s_nop 0
	;;#ASMSTART
	v_dot2_f32_f16 v1, v15, v23, v1
	;;#ASMEND
	s_nop 0
	;;#ASMSTART
	v_dot2_f32_f16 v1, v16, v24, v1
	;;#ASMEND
	s_nop 0
	;;#ASMSTART
	v_dot2_f32_f16 v1, v17, v25, v1
	;;#ASMEND
	;; [unrolled: 16-line block ×4, first 2 shown]
	s_barrier
	s_and_saveexec_b64 s[14:15], vcc
	s_cbranch_execnz .LBB21_31
; %bb.16:                               ;   in Loop: Header=BB21_11 Depth=1
	s_or_b64 exec, exec, s[14:15]
	s_and_saveexec_b64 s[14:15], s[4:5]
	s_cbranch_execnz .LBB21_32
.LBB21_17:                              ;   in Loop: Header=BB21_11 Depth=1
	s_or_b64 exec, exec, s[14:15]
	s_and_saveexec_b64 s[14:15], s[6:7]
	s_cbranch_execz .LBB21_19
.LBB21_18:                              ;   in Loop: Header=BB21_11 Depth=1
	v_mov_b32_e32 v101, v87
	v_lshl_add_u64 v[4:5], v[6:7], 0, v[100:101]
	global_load_dwordx4 v[4:7], v[4:5], off offset:112
	s_waitcnt vmcnt(0)
	ds_write_b128 v112, v[4:7]
.LBB21_19:                              ;   in Loop: Header=BB21_11 Depth=1
	s_or_b64 exec, exec, s[14:15]
	s_waitcnt lgkmcnt(0)
	s_barrier
	ds_read_b128 v[4:7], v108
	ds_read_b128 v[14:17], v109 offset:112
	ds_read_b128 v[18:21], v109 offset:336
	;; [unrolled: 1-line block ×4, first 2 shown]
	s_waitcnt lgkmcnt(3)
	;;#ASMSTART
	v_dot2_f32_f16 v0, v4, v14, v0
	;;#ASMEND
	s_nop 0
	;;#ASMSTART
	v_dot2_f32_f16 v0, v5, v15, v0
	;;#ASMEND
	v_xor_b32_e32 v122, 16, v97
	;;#ASMSTART
	v_dot2_f32_f16 v0, v6, v16, v0
	;;#ASMEND
	v_xor_b32_e32 v123, 8, v97
	;;#ASMSTART
	v_dot2_f32_f16 v0, v7, v17, v0
	;;#ASMEND
	s_waitcnt lgkmcnt(2)
	;;#ASMSTART
	v_dot2_f32_f16 v1, v4, v18, v1
	;;#ASMEND
	v_xor_b32_e32 v124, 4, v97
	;;#ASMSTART
	v_dot2_f32_f16 v1, v5, v19, v1
	;;#ASMEND
	v_max_f32_e32 v8, v13, v13
	;;#ASMSTART
	v_dot2_f32_f16 v1, v6, v20, v1
	;;#ASMEND
	v_max_f32_e32 v9, v12, v12
	;;#ASMSTART
	v_dot2_f32_f16 v1, v7, v21, v1
	;;#ASMEND
	s_waitcnt lgkmcnt(1)
	;;#ASMSTART
	v_dot2_f32_f16 v2, v4, v22, v2
	;;#ASMEND
	v_xor_b32_e32 v121, 2, v97
	;;#ASMSTART
	v_dot2_f32_f16 v2, v5, v23, v2
	;;#ASMEND
	v_xor_b32_e32 v119, 1, v97
	;;#ASMSTART
	v_dot2_f32_f16 v2, v6, v24, v2
	;;#ASMEND
	s_nop 0
	;;#ASMSTART
	v_dot2_f32_f16 v2, v7, v25, v2
	;;#ASMEND
	s_waitcnt lgkmcnt(0)
	;;#ASMSTART
	v_dot2_f32_f16 v3, v4, v26, v3
	;;#ASMEND
	s_nop 0
	;;#ASMSTART
	v_dot2_f32_f16 v3, v5, v27, v3
	;;#ASMEND
	s_nop 0
	;; [unrolled: 4-line block ×3, first 2 shown]
	;;#ASMSTART
	v_dot2_f32_f16 v3, v7, v29, v3
	;;#ASMEND
	ds_read_b128 v[4:7], v108 offset:16
	ds_read_b128 v[14:17], v109 offset:128
	;; [unrolled: 1-line block ×5, first 2 shown]
	s_waitcnt lgkmcnt(3)
	;;#ASMSTART
	v_dot2_f32_f16 v0, v4, v14, v0
	;;#ASMEND
	s_nop 0
	;;#ASMSTART
	v_dot2_f32_f16 v0, v5, v15, v0
	;;#ASMEND
	s_nop 0
	;;#ASMSTART
	v_dot2_f32_f16 v0, v6, v16, v0
	;;#ASMEND
	s_nop 0
	;;#ASMSTART
	v_dot2_f32_f16 v0, v7, v17, v0
	;;#ASMEND
	s_waitcnt lgkmcnt(2)
	;;#ASMSTART
	v_dot2_f32_f16 v1, v4, v18, v1
	;;#ASMEND
	s_nop 0
	;;#ASMSTART
	v_dot2_f32_f16 v1, v5, v19, v1
	;;#ASMEND
	s_nop 0
	;;#ASMSTART
	v_dot2_f32_f16 v1, v6, v20, v1
	;;#ASMEND
	s_nop 0
	;;#ASMSTART
	v_dot2_f32_f16 v1, v7, v21, v1
	;;#ASMEND
	;; [unrolled: 16-line block ×4, first 2 shown]
	ds_read_b128 v[4:7], v108 offset:32
	ds_read_b128 v[14:17], v109 offset:144
	;; [unrolled: 1-line block ×5, first 2 shown]
	s_waitcnt lgkmcnt(3)
	;;#ASMSTART
	v_dot2_f32_f16 v0, v4, v14, v0
	;;#ASMEND
	s_nop 0
	;;#ASMSTART
	v_dot2_f32_f16 v0, v5, v15, v0
	;;#ASMEND
	s_nop 0
	;;#ASMSTART
	v_dot2_f32_f16 v0, v6, v16, v0
	;;#ASMEND
	s_nop 0
	;;#ASMSTART
	v_dot2_f32_f16 v0, v7, v17, v0
	;;#ASMEND
	s_waitcnt lgkmcnt(2)
	;;#ASMSTART
	v_dot2_f32_f16 v1, v4, v18, v1
	;;#ASMEND
	s_nop 0
	;;#ASMSTART
	v_dot2_f32_f16 v1, v5, v19, v1
	;;#ASMEND
	s_nop 0
	;;#ASMSTART
	v_dot2_f32_f16 v1, v6, v20, v1
	;;#ASMEND
	s_nop 0
	;;#ASMSTART
	v_dot2_f32_f16 v1, v7, v21, v1
	;;#ASMEND
	;; [unrolled: 16-line block ×4, first 2 shown]
	ds_read_b128 v[4:7], v108 offset:48
	ds_read_b128 v[14:17], v109 offset:160
	;; [unrolled: 1-line block ×5, first 2 shown]
	s_waitcnt lgkmcnt(3)
	;;#ASMSTART
	v_dot2_f32_f16 v0, v4, v14, v0
	;;#ASMEND
	s_nop 0
	;;#ASMSTART
	v_dot2_f32_f16 v0, v5, v15, v0
	;;#ASMEND
	s_nop 0
	;;#ASMSTART
	v_dot2_f32_f16 v0, v6, v16, v0
	;;#ASMEND
	s_nop 0
	;;#ASMSTART
	v_dot2_f32_f16 v0, v7, v17, v0
	;;#ASMEND
	s_waitcnt lgkmcnt(2)
	;;#ASMSTART
	v_dot2_f32_f16 v1, v4, v18, v1
	;;#ASMEND
	s_nop 0
	;;#ASMSTART
	v_dot2_f32_f16 v1, v5, v19, v1
	;;#ASMEND
	s_nop 0
	;;#ASMSTART
	v_dot2_f32_f16 v1, v6, v20, v1
	;;#ASMEND
	s_nop 0
	;;#ASMSTART
	v_dot2_f32_f16 v1, v7, v21, v1
	;;#ASMEND
	;; [unrolled: 16-line block ×4, first 2 shown]
	ds_read_b128 v[4:7], v108 offset:64
	ds_read_b128 v[14:17], v109 offset:176
	;; [unrolled: 1-line block ×5, first 2 shown]
	s_waitcnt lgkmcnt(3)
	;;#ASMSTART
	v_dot2_f32_f16 v0, v4, v14, v0
	;;#ASMEND
	s_nop 0
	;;#ASMSTART
	v_dot2_f32_f16 v0, v5, v15, v0
	;;#ASMEND
	s_nop 0
	;;#ASMSTART
	v_dot2_f32_f16 v0, v6, v16, v0
	;;#ASMEND
	s_nop 0
	;;#ASMSTART
	v_dot2_f32_f16 v0, v7, v17, v0
	;;#ASMEND
	s_waitcnt lgkmcnt(2)
	;;#ASMSTART
	v_dot2_f32_f16 v1, v4, v18, v1
	;;#ASMEND
	s_nop 0
	;;#ASMSTART
	v_dot2_f32_f16 v1, v5, v19, v1
	;;#ASMEND
	s_nop 0
	;;#ASMSTART
	v_dot2_f32_f16 v1, v6, v20, v1
	;;#ASMEND
	s_nop 0
	;;#ASMSTART
	v_dot2_f32_f16 v1, v7, v21, v1
	;;#ASMEND
	s_waitcnt lgkmcnt(1)
	;;#ASMSTART
	v_dot2_f32_f16 v2, v4, v22, v2
	;;#ASMEND
	s_nop 0
	;;#ASMSTART
	v_dot2_f32_f16 v2, v5, v23, v2
	;;#ASMEND
	s_nop 0
	;;#ASMSTART
	v_dot2_f32_f16 v2, v6, v24, v2
	;;#ASMEND
	s_nop 0
	;;#ASMSTART
	v_dot2_f32_f16 v2, v7, v25, v2
	;;#ASMEND
	s_waitcnt lgkmcnt(0)
	;;#ASMSTART
	v_dot2_f32_f16 v3, v4, v26, v3
	;;#ASMEND
	s_nop 0
	;;#ASMSTART
	v_dot2_f32_f16 v3, v5, v27, v3
	;;#ASMEND
	s_nop 0
	;;#ASMSTART
	v_dot2_f32_f16 v3, v6, v28, v3
	;;#ASMEND
	s_nop 0
	;;#ASMSTART
	v_dot2_f32_f16 v3, v7, v29, v3
	;;#ASMEND
	ds_read_b128 v[4:7], v108 offset:80
	ds_read_b128 v[14:17], v109 offset:192
	;; [unrolled: 1-line block ×5, first 2 shown]
	s_waitcnt lgkmcnt(3)
	;;#ASMSTART
	v_dot2_f32_f16 v0, v4, v14, v0
	;;#ASMEND
	s_nop 0
	;;#ASMSTART
	v_dot2_f32_f16 v0, v5, v15, v0
	;;#ASMEND
	s_nop 0
	;;#ASMSTART
	v_dot2_f32_f16 v0, v6, v16, v0
	;;#ASMEND
	s_nop 0
	;;#ASMSTART
	v_dot2_f32_f16 v0, v7, v17, v0
	;;#ASMEND
	s_waitcnt lgkmcnt(2)
	;;#ASMSTART
	v_dot2_f32_f16 v1, v4, v18, v1
	;;#ASMEND
	s_nop 0
	;;#ASMSTART
	v_dot2_f32_f16 v1, v5, v19, v1
	;;#ASMEND
	s_nop 0
	;;#ASMSTART
	v_dot2_f32_f16 v1, v6, v20, v1
	;;#ASMEND
	s_nop 0
	;;#ASMSTART
	v_dot2_f32_f16 v1, v7, v21, v1
	;;#ASMEND
	s_waitcnt lgkmcnt(1)
	;;#ASMSTART
	v_dot2_f32_f16 v2, v4, v22, v2
	;;#ASMEND
	s_nop 0
	;;#ASMSTART
	v_dot2_f32_f16 v2, v5, v23, v2
	;;#ASMEND
	s_nop 0
	;;#ASMSTART
	v_dot2_f32_f16 v2, v6, v24, v2
	;;#ASMEND
	s_nop 0
	;;#ASMSTART
	v_dot2_f32_f16 v2, v7, v25, v2
	;;#ASMEND
	s_waitcnt lgkmcnt(0)
	;;#ASMSTART
	v_dot2_f32_f16 v3, v4, v26, v3
	;;#ASMEND
	s_nop 0
	;;#ASMSTART
	v_dot2_f32_f16 v3, v5, v27, v3
	;;#ASMEND
	s_nop 0
	;;#ASMSTART
	v_dot2_f32_f16 v3, v6, v28, v3
	;;#ASMEND
	s_nop 0
	;;#ASMSTART
	v_dot2_f32_f16 v3, v7, v29, v3
	;;#ASMEND
	ds_read_b128 v[4:7], v108 offset:96
	ds_read_b128 v[14:17], v109 offset:208
	;; [unrolled: 1-line block ×5, first 2 shown]
	s_waitcnt lgkmcnt(3)
	;;#ASMSTART
	v_dot2_f32_f16 v0, v4, v14, v0
	;;#ASMEND
	s_nop 0
	;;#ASMSTART
	v_dot2_f32_f16 v0, v5, v15, v0
	;;#ASMEND
	v_max_f32_e32 v14, v11, v11
	;;#ASMSTART
	v_dot2_f32_f16 v0, v6, v16, v0
	;;#ASMEND
	v_max_f32_e32 v15, v10, v10
	;;#ASMSTART
	v_dot2_f32_f16 v0, v7, v17, v0
	;;#ASMEND
	s_waitcnt lgkmcnt(2)
	;;#ASMSTART
	v_dot2_f32_f16 v1, v4, v18, v1
	;;#ASMEND
	s_nop 0
	;;#ASMSTART
	v_dot2_f32_f16 v1, v5, v19, v1
	;;#ASMEND
	s_nop 0
	;; [unrolled: 4-line block ×3, first 2 shown]
	;;#ASMSTART
	v_dot2_f32_f16 v1, v7, v21, v1
	;;#ASMEND
	s_waitcnt lgkmcnt(1)
	;;#ASMSTART
	v_dot2_f32_f16 v2, v4, v22, v2
	;;#ASMEND
	s_nop 0
	;;#ASMSTART
	v_dot2_f32_f16 v2, v5, v23, v2
	;;#ASMEND
	s_nop 0
	;; [unrolled: 4-line block ×3, first 2 shown]
	;;#ASMSTART
	v_dot2_f32_f16 v2, v7, v25, v2
	;;#ASMEND
	s_waitcnt lgkmcnt(0)
	;;#ASMSTART
	v_dot2_f32_f16 v3, v4, v26, v3
	;;#ASMEND
	v_add_u32_e32 v4, s35, v90
	;;#ASMSTART
	v_dot2_f32_f16 v3, v5, v27, v3
	;;#ASMEND
	v_ashrrev_i32_e32 v5, 31, v4
	;;#ASMSTART
	v_dot2_f32_f16 v3, v6, v28, v3
	;;#ASMEND
	v_lshl_add_u64 v[4:5], v[4:5], 1, s[58:59]
	;;#ASMSTART
	v_dot2_f32_f16 v3, v7, v29, v3
	;;#ASMEND
	flat_load_ushort v4, v[4:5]
	v_and_b32_e32 v5, 0x60, v97
	v_add_u32_e32 v120, 32, v5
	v_cmp_lt_i32_e64 s[14:15], v122, v120
	s_waitcnt lgkmcnt(0)
	s_barrier
	v_cndmask_b32_e64 v5, v97, v122, s[14:15]
	v_cmp_lt_i32_e64 s[14:15], v123, v120
	v_lshlrev_b32_e32 v18, 2, v5
	s_nop 0
	v_cndmask_b32_e64 v6, v97, v123, s[14:15]
	v_cmp_lt_i32_e64 s[14:15], v124, v120
	v_lshlrev_b32_e32 v19, 2, v6
	s_waitcnt vmcnt(0)
	v_cvt_f32_f16_e32 v4, v4
	v_cndmask_b32_e64 v7, v97, v124, s[14:15]
	v_lshlrev_b32_e32 v20, 2, v7
	v_cmp_lt_i32_e64 s[14:15], v121, v120
	v_pk_add_f32 v[6:7], v[2:3], v[4:5] op_sel_hi:[1,0]
	v_pk_add_f32 v[4:5], v[0:1], v[4:5] op_sel_hi:[1,0]
	v_pk_add_f32 v[2:3], v[6:7], s[2:3] op_sel_hi:[1,0]
	v_pk_add_f32 v[0:1], v[4:5], s[2:3] op_sel_hi:[1,0]
	v_max_f32_e32 v3, v8, v3
	v_max_f32_e32 v2, v9, v2
	;; [unrolled: 1-line block ×3, first 2 shown]
	ds_bpermute_b32 v8, v18, v3
	v_max_f32_e32 v0, v15, v0
	ds_bpermute_b32 v9, v18, v2
	ds_bpermute_b32 v14, v18, v1
	;; [unrolled: 1-line block ×3, first 2 shown]
	s_waitcnt lgkmcnt(3)
	v_max_f32_e32 v8, v8, v8
	v_max_f32_e32 v3, v3, v8
	s_waitcnt lgkmcnt(2)
	v_max_f32_e32 v9, v9, v9
	s_waitcnt lgkmcnt(1)
	v_max_f32_e32 v14, v14, v14
	s_waitcnt lgkmcnt(0)
	v_max_f32_e32 v15, v15, v15
	v_max_f32_e32 v2, v2, v9
	;; [unrolled: 1-line block ×3, first 2 shown]
	ds_bpermute_b32 v8, v19, v3
	v_max_f32_e32 v0, v0, v15
	ds_bpermute_b32 v9, v19, v2
	ds_bpermute_b32 v14, v19, v1
	;; [unrolled: 1-line block ×3, first 2 shown]
	s_waitcnt lgkmcnt(3)
	v_max_f32_e32 v8, v8, v8
	v_max_f32_e32 v3, v3, v8
	s_waitcnt lgkmcnt(2)
	v_max_f32_e32 v9, v9, v9
	s_waitcnt lgkmcnt(1)
	;; [unrolled: 2-line block ×3, first 2 shown]
	v_max_f32_e32 v15, v15, v15
	v_max_f32_e32 v2, v2, v9
	;; [unrolled: 1-line block ×3, first 2 shown]
	ds_bpermute_b32 v8, v20, v3
	v_max_f32_e32 v0, v0, v15
	ds_bpermute_b32 v9, v20, v2
	ds_bpermute_b32 v14, v20, v1
	;; [unrolled: 1-line block ×3, first 2 shown]
	v_cndmask_b32_e64 v16, v97, v121, s[14:15]
	s_waitcnt lgkmcnt(3)
	v_max_f32_e32 v8, v8, v8
	v_lshlrev_b32_e32 v16, 2, v16
	s_waitcnt lgkmcnt(2)
	v_max_f32_e32 v9, v9, v9
	s_waitcnt lgkmcnt(1)
	v_max_f32_e32 v14, v14, v14
	v_max_f32_e32 v3, v3, v8
	s_waitcnt lgkmcnt(0)
	v_max_f32_e32 v15, v15, v15
	v_max_f32_e32 v2, v2, v9
	;; [unrolled: 1-line block ×3, first 2 shown]
	ds_bpermute_b32 v8, v16, v3
	ds_bpermute_b32 v9, v16, v2
	v_max_f32_e32 v0, v0, v15
	ds_bpermute_b32 v15, v16, v1
	ds_bpermute_b32 v14, v16, v0
	v_cmp_lt_i32_e64 s[14:15], v119, v120
	s_waitcnt lgkmcnt(3)
	v_max_f32_e32 v8, v8, v8
	s_waitcnt lgkmcnt(2)
	v_max_f32_e32 v9, v9, v9
	v_cndmask_b32_e64 v17, v97, v119, s[14:15]
	v_max_f32_e32 v3, v3, v8
	s_waitcnt lgkmcnt(1)
	v_max_f32_e32 v8, v15, v15
	v_lshlrev_b32_e32 v17, 2, v17
	v_max_f32_e32 v2, v2, v9
	v_max_f32_e32 v1, v1, v8
	s_waitcnt lgkmcnt(0)
	v_max_f32_e32 v8, v14, v14
	ds_bpermute_b32 v9, v17, v3
	v_max_f32_e32 v0, v0, v8
	ds_bpermute_b32 v8, v17, v2
	ds_bpermute_b32 v15, v17, v1
	;; [unrolled: 1-line block ×3, first 2 shown]
	s_waitcnt lgkmcnt(3)
	v_max_f32_e32 v9, v9, v9
	v_max_f32_e32 v3, v3, v9
	s_waitcnt lgkmcnt(2)
	v_max_f32_e32 v8, v8, v8
	v_max_f32_e32 v2, v2, v8
	;; [unrolled: 3-line block ×3, first 2 shown]
	s_waitcnt lgkmcnt(0)
	v_max_f32_e32 v8, v14, v14
	v_sub_f32_e32 v7, v7, v3
	v_max_f32_e32 v0, v0, v8
	v_mul_f32_e32 v8, 0x3fb8aa3b, v7
	v_fma_f32 v9, v7, s57, -v8
	v_rndne_f32_e32 v14, v8
	v_fmac_f32_e32 v9, 0x32a5705f, v7
	v_sub_f32_e32 v8, v8, v14
	v_add_f32_e32 v8, v8, v9
	v_exp_f32_e32 v8, v8
	v_cvt_i32_f32_e32 v9, v14
	v_sub_f32_e32 v6, v6, v2
	v_cmp_ngt_f32_e64 s[14:15], s60, v7
	v_sub_f32_e32 v5, v5, v1
	v_ldexp_f32 v8, v8, v9
	v_mul_f32_e32 v9, 0x3fb8aa3b, v6
	v_fma_f32 v14, v6, s57, -v9
	v_rndne_f32_e32 v15, v9
	v_fmac_f32_e32 v14, 0x32a5705f, v6
	v_sub_f32_e32 v9, v9, v15
	v_add_f32_e32 v9, v9, v14
	v_exp_f32_e32 v9, v9
	v_cvt_i32_f32_e32 v14, v15
	v_cndmask_b32_e64 v8, 0, v8, s[14:15]
	v_cmp_nlt_f32_e64 s[14:15], s61, v7
	v_sub_f32_e32 v4, v4, v0
	v_ldexp_f32 v7, v9, v14
	v_cndmask_b32_e64 v103, v118, v8, s[14:15]
	v_mul_f32_e32 v8, 0x3fb8aa3b, v5
	v_fma_f32 v9, v5, s57, -v8
	v_rndne_f32_e32 v14, v8
	v_fmac_f32_e32 v9, 0x32a5705f, v5
	v_sub_f32_e32 v8, v8, v14
	v_add_f32_e32 v8, v8, v9
	v_exp_f32_e32 v8, v8
	v_cvt_i32_f32_e32 v9, v14
	v_cmp_ngt_f32_e64 s[14:15], s60, v6
	s_nop 1
	v_cndmask_b32_e64 v7, 0, v7, s[14:15]
	v_cmp_nlt_f32_e64 s[14:15], s61, v6
	v_ldexp_f32 v6, v8, v9
	s_nop 0
	v_cndmask_b32_e64 v102, v118, v7, s[14:15]
	v_mul_f32_e32 v7, 0x3fb8aa3b, v4
	v_fma_f32 v8, v4, s57, -v7
	v_rndne_f32_e32 v9, v7
	v_fmac_f32_e32 v8, 0x32a5705f, v4
	v_sub_f32_e32 v7, v7, v9
	v_add_f32_e32 v7, v7, v8
	v_exp_f32_e32 v7, v7
	v_cvt_i32_f32_e32 v8, v9
	v_cmp_ngt_f32_e64 s[14:15], s60, v5
	s_nop 1
	v_cndmask_b32_e64 v6, 0, v6, s[14:15]
	v_cmp_nlt_f32_e64 s[14:15], s61, v5
	v_ldexp_f32 v5, v7, v8
	s_nop 0
	v_cndmask_b32_e64 v105, v118, v6, s[14:15]
	v_cmp_ngt_f32_e64 s[14:15], s60, v4
	v_cvt_f16_f32_e32 v6, v105
	s_nop 0
	v_cndmask_b32_e64 v5, 0, v5, s[14:15]
	v_cmp_nlt_f32_e64 s[14:15], s61, v4
	v_cvt_f16_f32_e32 v4, v103
	s_nop 0
	v_cndmask_b32_e64 v104, v118, v5, s[14:15]
	v_cvt_f16_f32_e32 v5, v102
	v_cvt_f16_f32_e32 v7, v104
	s_mul_hi_i32 s15, s35, s42
	s_mul_i32 s14, s35, s42
	s_lshl_b64 s[14:15], s[14:15], 2
	s_add_u32 s14, s52, s14
	v_pack_b32_f16 v5, v5, v4
	v_pack_b32_f16 v4, v7, v6
	v_add_u32_e32 v6, v113, v114
	s_addc_u32 s15, s53, s15
	ds_write_b64 v6, v[4:5]
	s_and_saveexec_b64 s[16:17], s[8:9]
	s_cbranch_execnz .LBB21_33
; %bb.20:                               ;   in Loop: Header=BB21_11 Depth=1
	s_or_b64 exec, exec, s[16:17]
	s_and_saveexec_b64 s[16:17], s[10:11]
	s_cbranch_execnz .LBB21_34
.LBB21_21:                              ;   in Loop: Header=BB21_11 Depth=1
	s_or_b64 exec, exec, s[16:17]
	v_lshlrev_b32_e32 v106, 2, v96
	s_and_saveexec_b64 s[16:17], s[12:13]
	s_cbranch_execz .LBB21_23
.LBB21_22:                              ;   in Loop: Header=BB21_11 Depth=1
	v_lshl_add_u64 v[4:5], v[98:99], 2, s[14:15]
	v_mov_b32_e32 v107, v87
	v_lshl_add_u64 v[4:5], v[4:5], 0, v[106:107]
	global_load_dwordx4 v[4:7], v[4:5], off
	s_waitcnt vmcnt(0)
	ds_write_b128 v117, v[4:7]
.LBB21_23:                              ;   in Loop: Header=BB21_11 Depth=1
	s_or_b64 exec, exec, s[16:17]
	v_add_u32_e32 v128, 0x1800, v114
	v_add_u32_e32 v127, 0x1c00, v114
	;; [unrolled: 1-line block ×3, first 2 shown]
	v_sub_f32_e32 v129, v12, v2
	v_sub_f32_e32 v130, v13, v3
	s_waitcnt lgkmcnt(0)
	s_barrier
	ds_read2_b64 v[60:63], v128 offset0:128 offset1:156
	ds_read_b128 v[64:67], v113
	ds_read_b128 v[52:55], v113 offset:16
	ds_read_b128 v[44:47], v113 offset:32
	;; [unrolled: 1-line block ×3, first 2 shown]
	ds_read2_b64 v[56:59], v128 offset0:184 offset1:212
	ds_read2_b64 v[48:51], v127 offset0:112 offset1:140
	;; [unrolled: 1-line block ×5, first 2 shown]
	ds_read_b128 v[36:39], v113 offset:64
	ds_read_b128 v[24:27], v113 offset:80
	ds_read2_b64 v[12:15], v126 offset0:208 offset1:236
	v_add_u32_e32 v125, 0x2800, v114
	v_sub_f32_e32 v131, v10, v0
	v_sub_f32_e32 v132, v11, v1
	ds_read2_b64 v[4:7], v125 offset0:8 offset1:36
	ds_read_b128 v[16:19], v113 offset:96
	ds_read_b128 v[8:11], v113 offset:112
	s_or_b32 s38, s35, 16
	s_mul_hi_i32 s39, s38, s42
	s_mul_i32 s38, s38, s42
	s_lshl_b64 s[38:39], s[38:39], 2
	s_add_u32 s38, s52, s38
	v_cmp_ngt_f32_e64 s[26:27], s60, v132
	v_cmp_nlt_f32_e64 s[28:29], s61, v132
	v_cmp_ngt_f32_e64 s[22:23], s60, v131
	v_cmp_nlt_f32_e64 s[24:25], s61, v131
	;; [unrolled: 2-line block ×4, first 2 shown]
	s_addc_u32 s39, s53, s39
	s_waitcnt lgkmcnt(0)
	s_barrier
	s_and_saveexec_b64 s[40:41], s[8:9]
	s_cbranch_execnz .LBB21_35
; %bb.24:                               ;   in Loop: Header=BB21_11 Depth=1
	s_or_b64 exec, exec, s[40:41]
	s_and_saveexec_b64 s[40:41], s[10:11]
	s_cbranch_execnz .LBB21_36
.LBB21_25:                              ;   in Loop: Header=BB21_11 Depth=1
	s_or_b64 exec, exec, s[40:41]
	s_and_saveexec_b64 s[40:41], s[12:13]
	s_cbranch_execz .LBB21_27
.LBB21_26:                              ;   in Loop: Header=BB21_11 Depth=1
	v_lshl_add_u64 v[134:135], v[98:99], 2, s[38:39]
	v_mov_b32_e32 v107, v87
	v_lshl_add_u64 v[106:107], v[134:135], 0, v[106:107]
	global_load_dwordx4 v[134:137], v[106:107], off
	s_waitcnt vmcnt(0)
	ds_write_b128 v117, v[134:137]
.LBB21_27:                              ;   in Loop: Header=BB21_11 Depth=1
	s_or_b64 exec, exec, s[40:41]
	v_mul_f32_e32 v101, 0x3fb8aa3b, v132
	v_fma_f32 v106, v132, s57, -v101
	v_rndne_f32_e32 v107, v101
	v_fmac_f32_e32 v106, 0x32a5705f, v132
	v_sub_f32_e32 v101, v101, v107
	v_add_f32_e32 v101, v101, v106
	v_cvt_i32_f32_e32 v106, v107
	v_mul_f32_e32 v107, 0x3fb8aa3b, v131
	v_fma_f32 v132, v131, s57, -v107
	v_fmac_f32_e32 v132, 0x32a5705f, v131
	v_rndne_f32_e32 v131, v107
	v_exp_f32_e32 v101, v101
	v_sub_f32_e32 v107, v107, v131
	v_add_f32_e32 v107, v107, v132
	v_exp_f32_e32 v132, v107
	v_cvt_i32_f32_e32 v131, v131
	v_ldexp_f32 v101, v101, v106
	v_cndmask_b32_e64 v101, 0, v101, s[26:27]
	v_cndmask_b32_e64 v107, v118, v101, s[28:29]
	v_ldexp_f32 v101, v132, v131
	v_cndmask_b32_e64 v101, 0, v101, s[22:23]
	v_cndmask_b32_e64 v106, v118, v101, s[24:25]
	v_mul_f32_e32 v101, 0x3fb8aa3b, v130
	v_fma_f32 v131, v130, s57, -v101
	v_fmac_f32_e32 v131, 0x32a5705f, v130
	v_rndne_f32_e32 v130, v101
	v_sub_f32_e32 v101, v101, v130
	v_add_f32_e32 v101, v101, v131
	v_mul_f32_e32 v131, 0x3fb8aa3b, v129
	v_fma_f32 v132, v129, s57, -v131
	v_fmac_f32_e32 v132, 0x32a5705f, v129
	v_rndne_f32_e32 v129, v131
	v_exp_f32_e32 v101, v101
	v_cvt_i32_f32_e32 v130, v130
	v_sub_f32_e32 v131, v131, v129
	v_add_f32_e32 v131, v131, v132
	v_exp_f32_e32 v132, v131
	v_cvt_i32_f32_e32 v129, v129
	v_ldexp_f32 v101, v101, v130
	v_cndmask_b32_e64 v101, 0, v101, s[18:19]
	v_cndmask_b32_e64 v131, v118, v101, s[20:21]
	v_ldexp_f32 v101, v132, v129
	v_cndmask_b32_e64 v101, 0, v101, s[14:15]
	v_cvt_f16_f32_e32 v133, v131
	v_cndmask_b32_e64 v130, v118, v101, s[16:17]
	v_cvt_f16_f32_e32 v101, v106
	v_cvt_f16_f32_e32 v129, v107
	;; [unrolled: 1-line block ×3, first 2 shown]
	v_pk_mul_f16 v71, v133, v71 op_sel_hi:[0,1]
	v_pk_mul_f16 v73, v133, v73 op_sel_hi:[0,1]
	;; [unrolled: 1-line block ×4, first 2 shown]
	v_pk_fma_f16 v91, v101, v91, v133 op_sel_hi:[0,1,1]
	v_pk_mul_f16 v101, v60, v64 op_sel:[0,1]
	v_pk_mul_f16 v74, v129, v74 op_sel_hi:[0,1]
	v_pk_mul_f16 v72, v132, v72 op_sel_hi:[0,1]
	v_pk_fma_f16 v77, v129, v77, v101 op_sel_hi:[0,1,1]
	v_pk_mul_f16 v101, v60, v65 op_sel_hi:[1,0]
	v_pk_fma_f16 v60, v60, v65, v71 op_sel:[0,1,0]
	v_pk_fma_f16 v75, v132, v75, v101 op_sel_hi:[0,1,1]
	v_pk_fma_f16 v71, v61, v64, v76 op_sel_hi:[1,0,1]
	v_pk_fma_f16 v64, v61, v64, v74 op_sel:[0,1,0]
	v_pk_fma_f16 v72, v61, v65, v72 op_sel_hi:[1,0,1]
	v_pk_fma_f16 v61, v61, v65, v73 op_sel:[0,1,0]
	;; [unrolled: 2-line block ×62, first 2 shown]
	s_waitcnt lgkmcnt(0)
	s_barrier
	ds_read2_b64 v[4:7], v128 offset0:128 offset1:156
	ds_read_b128 v[8:11], v113 offset:128
	ds_read_b128 v[12:15], v113 offset:144
	;; [unrolled: 1-line block ×4, first 2 shown]
	v_pk_fma_f32 v[78:79], v[78:79], v[130:131], v[102:103]
	v_pk_fma_f32 v[80:81], v[80:81], v[106:107], v[104:105]
	s_waitcnt lgkmcnt(3)
	v_pk_fma_f16 v24, v4, v8, v24 op_sel_hi:[1,0,1]
	v_pk_fma_f16 v25, v4, v8, v25 op_sel:[0,1,0]
	v_pk_fma_f16 v26, v4, v9, v26 op_sel_hi:[1,0,1]
	v_pk_fma_f16 v4, v4, v9, v27 op_sel:[0,1,0]
	;; [unrolled: 2-line block ×5, first 2 shown]
	v_pk_fma_f16 v31, v6, v11, v26 op_sel_hi:[1,0,1]
	ds_read2_b64 v[24:27], v128 offset0:184 offset1:212
	v_pk_fma_f16 v4, v6, v11, v4 op_sel:[0,1,0]
	v_pk_fma_f16 v6, v7, v10, v28 op_sel_hi:[1,0,1]
	v_pk_fma_f16 v8, v7, v10, v8 op_sel:[0,1,0]
	v_pk_fma_f16 v10, v7, v11, v29 op_sel_hi:[1,0,1]
	v_pk_fma_f16 v5, v7, v11, v5 op_sel:[0,1,0]
	s_waitcnt lgkmcnt(0)
	v_pk_fma_f16 v7, v24, v12, v9 op_sel_hi:[1,0,1]
	v_pk_fma_f16 v4, v24, v13, v4 op_sel:[0,1,0]
	v_pk_fma_f16 v9, v24, v12, v30 op_sel:[0,1,0]
	v_pk_fma_f16 v11, v24, v13, v31 op_sel_hi:[1,0,1]
	v_pk_fma_f16 v24, v25, v12, v6 op_sel_hi:[1,0,1]
	v_pk_fma_f16 v8, v25, v12, v8 op_sel:[0,1,0]
	v_pk_fma_f16 v10, v25, v13, v10 op_sel_hi:[1,0,1]
	v_pk_fma_f16 v12, v25, v13, v5 op_sel:[0,1,0]
	;; [unrolled: 2-line block ×3, first 2 shown]
	ds_read2_b64 v[4:7], v127 offset0:112 offset1:140
	v_pk_fma_f16 v9, v26, v14, v9 op_sel:[0,1,0]
	v_pk_fma_f16 v11, v26, v15, v11 op_sel_hi:[1,0,1]
	v_pk_fma_f16 v24, v27, v14, v24 op_sel_hi:[1,0,1]
	v_pk_fma_f16 v8, v27, v14, v8 op_sel:[0,1,0]
	v_pk_fma_f16 v10, v27, v15, v10 op_sel_hi:[1,0,1]
	v_pk_fma_f16 v12, v27, v15, v12 op_sel:[0,1,0]
	s_waitcnt lgkmcnt(0)
	v_pk_fma_f16 v13, v4, v16, v13 op_sel_hi:[1,0,1]
	v_pk_fma_f16 v9, v4, v16, v9 op_sel:[0,1,0]
	v_pk_fma_f16 v11, v4, v17, v11 op_sel_hi:[1,0,1]
	v_pk_fma_f16 v4, v4, v17, v25 op_sel:[0,1,0]
	;; [unrolled: 2-line block ×5, first 2 shown]
	v_pk_fma_f16 v17, v6, v19, v11 op_sel_hi:[1,0,1]
	ds_read2_b64 v[8:11], v126 offset0:40 offset1:68
	v_pk_fma_f16 v4, v6, v19, v4 op_sel:[0,1,0]
	v_pk_fma_f16 v6, v7, v18, v14 op_sel_hi:[1,0,1]
	v_pk_fma_f16 v14, v7, v18, v15 op_sel:[0,1,0]
	v_pk_fma_f16 v15, v7, v19, v16 op_sel_hi:[1,0,1]
	v_pk_fma_f16 v5, v7, v19, v5 op_sel:[0,1,0]
	s_waitcnt lgkmcnt(0)
	v_pk_fma_f16 v7, v8, v20, v12 op_sel_hi:[1,0,1]
	v_pk_fma_f16 v12, v8, v20, v13 op_sel:[0,1,0]
	v_pk_fma_f16 v13, v8, v21, v17 op_sel_hi:[1,0,1]
	v_pk_fma_f16 v4, v8, v21, v4 op_sel:[0,1,0]
	;; [unrolled: 2-line block ×6, first 2 shown]
	v_pk_fma_f16 v21, v11, v22, v6 op_sel_hi:[1,0,1]
	ds_read2_b64 v[4:7], v126 offset0:96 offset1:124
	ds_read_b128 v[12:15], v113 offset:192
	v_pk_fma_f16 v22, v11, v22, v8 op_sel:[0,1,0]
	v_pk_fma_f16 v16, v11, v23, v16 op_sel_hi:[1,0,1]
	v_pk_fma_f16 v23, v11, v23, v9 op_sel:[0,1,0]
	ds_read_b128 v[8:11], v113 offset:208
	s_waitcnt lgkmcnt(1)
	v_pk_fma_f16 v17, v4, v12, v17 op_sel_hi:[1,0,1]
	v_pk_fma_f16 v18, v4, v12, v18 op_sel:[0,1,0]
	v_pk_fma_f16 v19, v4, v13, v19 op_sel_hi:[1,0,1]
	v_pk_fma_f16 v4, v4, v13, v20 op_sel:[0,1,0]
	;; [unrolled: 2-line block ×5, first 2 shown]
	v_pk_fma_f16 v23, v6, v15, v19 op_sel_hi:[1,0,1]
	ds_read2_b64 v[16:19], v126 offset0:152 offset1:180
	v_pk_fma_f16 v4, v6, v15, v4 op_sel:[0,1,0]
	v_pk_fma_f16 v6, v7, v14, v20 op_sel_hi:[1,0,1]
	v_pk_fma_f16 v12, v7, v14, v12 op_sel:[0,1,0]
	v_pk_fma_f16 v14, v7, v15, v21 op_sel_hi:[1,0,1]
	v_pk_fma_f16 v5, v7, v15, v5 op_sel:[0,1,0]
	s_waitcnt lgkmcnt(0)
	v_pk_fma_f16 v7, v16, v8, v13 op_sel_hi:[1,0,1]
	v_pk_fma_f16 v13, v16, v8, v22 op_sel:[0,1,0]
	v_pk_fma_f16 v15, v16, v9, v23 op_sel_hi:[1,0,1]
	v_pk_fma_f16 v4, v16, v9, v4 op_sel:[0,1,0]
	;; [unrolled: 2-line block ×6, first 2 shown]
	v_pk_fma_f16 v22, v19, v10, v6 op_sel_hi:[1,0,1]
	ds_read2_b64 v[4:7], v126 offset0:208 offset1:236
	ds_read_b128 v[12:15], v113 offset:224
	v_pk_fma_f16 v23, v19, v10, v8 op_sel:[0,1,0]
	v_pk_fma_f16 v16, v19, v11, v16 op_sel_hi:[1,0,1]
	v_pk_fma_f16 v19, v19, v11, v9 op_sel:[0,1,0]
	ds_read_b128 v[8:11], v113 offset:240
	s_waitcnt lgkmcnt(1)
	v_pk_fma_f16 v17, v4, v12, v17 op_sel_hi:[1,0,1]
	v_pk_fma_f16 v20, v4, v12, v20 op_sel:[0,1,0]
	v_pk_fma_f16 v21, v4, v13, v21 op_sel_hi:[1,0,1]
	v_pk_fma_f16 v4, v4, v13, v18 op_sel:[0,1,0]
	;; [unrolled: 2-line block ×4, first 2 shown]
	v_pk_fma_f16 v13, v6, v14, v17 op_sel_hi:[1,0,1]
	ds_read2_b64 v[16:19], v125 offset0:8 offset1:36
	s_waitcnt lgkmcnt(0)
	s_barrier
	s_load_dword s14, s[36:37], 0x4
	v_pk_fma_f16 v20, v6, v14, v20 op_sel:[0,1,0]
	v_pk_fma_f16 v21, v6, v15, v21 op_sel_hi:[1,0,1]
	v_pk_fma_f16 v4, v6, v15, v4 op_sel:[0,1,0]
	v_pk_fma_f16 v6, v7, v14, v22 op_sel_hi:[1,0,1]
	;; [unrolled: 2-line block ×3, first 2 shown]
	v_pk_fma_f16 v5, v7, v15, v5 op_sel:[0,1,0]
	s_waitcnt lgkmcnt(0)
	s_lshl_b32 s14, s14, 5
	v_pk_fma_f16 v7, v16, v8, v13 op_sel_hi:[1,0,1]
	v_pk_fma_f16 v13, v16, v8, v20 op_sel:[0,1,0]
	v_pk_fma_f16 v15, v16, v9, v21 op_sel_hi:[1,0,1]
	v_pk_fma_f16 v4, v16, v9, v4 op_sel:[0,1,0]
	v_pk_fma_f16 v6, v17, v8, v6 op_sel_hi:[1,0,1]
	v_pk_fma_f16 v8, v17, v8, v12 op_sel:[0,1,0]
	v_pk_fma_f16 v12, v17, v9, v14 op_sel_hi:[1,0,1]
	v_pk_fma_f16 v5, v17, v9, v5 op_sel:[0,1,0]
	s_add_i32 s35, s14, s35
	v_pk_fma_f16 v91, v18, v10, v7 op_sel_hi:[1,0,1]
	v_pk_fma_f16 v77, v18, v10, v13 op_sel:[0,1,0]
	v_pk_fma_f16 v75, v18, v11, v15 op_sel_hi:[1,0,1]
	v_pk_fma_f16 v71, v18, v11, v4 op_sel:[0,1,0]
	v_pk_fma_f16 v76, v19, v10, v6 op_sel_hi:[1,0,1]
	v_pk_fma_f16 v74, v19, v10, v8 op_sel:[0,1,0]
	v_pk_fma_f16 v72, v19, v11, v12 op_sel_hi:[1,0,1]
	s_cmp_ge_i32 s35, s56
	v_pk_fma_f16 v73, v19, v11, v5 op_sel:[0,1,0]
	s_cbranch_scc1 .LBB21_37
; %bb.28:                               ;   in Loop: Header=BB21_11 Depth=1
	v_mov_b32_e32 v10, v0
	v_mov_b32_e32 v11, v1
	v_mov_b32_e32 v12, v2
	v_mov_b32_e32 v13, v3
	s_branch .LBB21_11
.LBB21_29:                              ;   in Loop: Header=BB21_11 Depth=1
	global_load_dwordx4 v[0:3], v[8:9], off offset:96
	s_waitcnt vmcnt(0)
	ds_write_b128 v110, v[0:3]
	s_or_b64 exec, exec, s[16:17]
	v_lshl_add_u64 v[4:5], v[84:85], 2, s[14:15]
	s_and_saveexec_b64 s[16:17], s[4:5]
	s_cbranch_execz .LBB21_13
.LBB21_30:                              ;   in Loop: Header=BB21_11 Depth=1
	v_lshl_add_u64 v[0:1], v[4:5], 0, v[86:87]
	global_load_dwordx4 v[0:3], v[0:1], off offset:64
	s_waitcnt vmcnt(0)
	ds_write_b128 v111, v[0:3]
	s_or_b64 exec, exec, s[16:17]
	v_lshl_add_u64 v[6:7], v[88:89], 2, s[14:15]
	s_and_saveexec_b64 s[14:15], s[6:7]
	s_cbranch_execnz .LBB21_14
	s_branch .LBB21_15
.LBB21_31:                              ;   in Loop: Header=BB21_11 Depth=1
	global_load_dwordx4 v[14:17], v[8:9], off offset:208
	s_waitcnt vmcnt(0)
	ds_write_b128 v110, v[14:17]
	s_or_b64 exec, exec, s[14:15]
	s_and_saveexec_b64 s[14:15], s[4:5]
	s_cbranch_execz .LBB21_17
.LBB21_32:                              ;   in Loop: Header=BB21_11 Depth=1
	v_lshl_add_u64 v[4:5], v[4:5], 0, v[86:87]
	global_load_dwordx4 v[14:17], v[4:5], off offset:176
	s_waitcnt vmcnt(0)
	ds_write_b128 v111, v[14:17]
	s_or_b64 exec, exec, s[14:15]
	s_and_saveexec_b64 s[14:15], s[6:7]
	s_cbranch_execnz .LBB21_18
	s_branch .LBB21_19
.LBB21_33:                              ;   in Loop: Header=BB21_11 Depth=1
	v_lshl_add_u64 v[4:5], v[92:93], 2, s[14:15]
	v_lshl_add_u64 v[4:5], v[4:5], 0, v[86:87]
	global_load_dwordx4 v[4:7], v[4:5], off offset:192
	s_waitcnt vmcnt(0)
	ds_write_b128 v115, v[4:7]
	s_or_b64 exec, exec, s[16:17]
	s_and_saveexec_b64 s[16:17], s[10:11]
	s_cbranch_execz .LBB21_21
.LBB21_34:                              ;   in Loop: Header=BB21_11 Depth=1
	v_lshl_add_u64 v[4:5], v[94:95], 2, s[14:15]
	v_mov_b32_e32 v101, v87
	v_lshl_add_u64 v[4:5], v[4:5], 0, v[100:101]
	global_load_dwordx4 v[4:7], v[4:5], off offset:128
	s_waitcnt vmcnt(0)
	ds_write_b128 v116, v[4:7]
	s_or_b64 exec, exec, s[16:17]
	v_lshlrev_b32_e32 v106, 2, v96
	s_and_saveexec_b64 s[16:17], s[12:13]
	s_cbranch_execnz .LBB21_22
	s_branch .LBB21_23
.LBB21_35:                              ;   in Loop: Header=BB21_11 Depth=1
	v_lshl_add_u64 v[134:135], v[92:93], 2, s[38:39]
	v_lshl_add_u64 v[134:135], v[134:135], 0, v[86:87]
	global_load_dwordx4 v[134:137], v[134:135], off offset:192
	s_waitcnt vmcnt(0)
	ds_write_b128 v115, v[134:137]
	s_or_b64 exec, exec, s[40:41]
	s_and_saveexec_b64 s[40:41], s[10:11]
	s_cbranch_execz .LBB21_25
.LBB21_36:                              ;   in Loop: Header=BB21_11 Depth=1
	v_lshl_add_u64 v[134:135], v[94:95], 2, s[38:39]
	v_mov_b32_e32 v101, v87
	v_lshl_add_u64 v[134:135], v[134:135], 0, v[100:101]
	global_load_dwordx4 v[134:137], v[134:135], off offset:128
	s_waitcnt vmcnt(0)
	ds_write_b128 v116, v[134:137]
	s_or_b64 exec, exec, s[40:41]
	s_and_saveexec_b64 s[40:41], s[12:13]
	s_cbranch_execnz .LBB21_26
	s_branch .LBB21_27
.LBB21_37:
	v_cmp_lt_i32_e32 vcc, v122, v120
	s_cmp_lg_u64 s[44:45], 0
	s_cselect_b64 s[4:5], -1, 0
	v_cndmask_b32_e32 v4, v97, v122, vcc
	v_cmp_lt_i32_e32 vcc, v123, v120
	v_lshlrev_b32_e32 v7, 2, v4
	ds_bpermute_b32 v5, v7, v81
	v_cndmask_b32_e32 v4, v97, v123, vcc
	v_cmp_lt_i32_e32 vcc, v124, v120
	v_lshlrev_b32_e32 v11, 2, v4
	ds_bpermute_b32 v6, v7, v78
	v_cndmask_b32_e32 v4, v97, v124, vcc
	v_lshlrev_b32_e32 v12, 2, v4
	ds_bpermute_b32 v4, v7, v80
	ds_bpermute_b32 v7, v7, v79
	v_cmp_lt_i32_e32 vcc, v121, v120
	s_cmp_eq_u32 s3, 0
	s_cselect_b64 s[6:7], -1, 0
	s_waitcnt lgkmcnt(1)
	v_pk_add_f32 v[4:5], v[80:81], v[4:5]
	s_waitcnt lgkmcnt(0)
	v_pk_add_f32 v[6:7], v[78:79], v[6:7]
	ds_bpermute_b32 v8, v11, v4
	ds_bpermute_b32 v9, v11, v5
	;; [unrolled: 1-line block ×4, first 2 shown]
	v_cndmask_b32_e32 v13, v97, v121, vcc
	v_lshlrev_b32_e32 v13, 2, v13
	s_waitcnt lgkmcnt(2)
	v_pk_add_f32 v[4:5], v[4:5], v[8:9]
	ds_bpermute_b32 v8, v12, v4
	s_waitcnt lgkmcnt(1)
	v_pk_add_f32 v[6:7], v[6:7], v[10:11]
	ds_bpermute_b32 v9, v12, v5
	ds_bpermute_b32 v10, v12, v6
	;; [unrolled: 1-line block ×3, first 2 shown]
	v_cmp_lt_i32_e32 vcc, v119, v120
	s_and_b64 s[4:5], s[6:7], s[4:5]
	s_waitcnt lgkmcnt(2)
	v_pk_add_f32 v[4:5], v[4:5], v[8:9]
	ds_bpermute_b32 v8, v13, v4
	s_waitcnt lgkmcnt(1)
	v_pk_add_f32 v[6:7], v[6:7], v[10:11]
	ds_bpermute_b32 v9, v13, v5
	ds_bpermute_b32 v10, v13, v6
	;; [unrolled: 1-line block ×3, first 2 shown]
	v_cndmask_b32_e32 v12, v97, v119, vcc
	v_lshlrev_b32_e32 v13, 2, v12
	s_waitcnt lgkmcnt(2)
	v_pk_add_f32 v[4:5], v[4:5], v[8:9]
	ds_bpermute_b32 v8, v13, v4
	s_waitcnt lgkmcnt(1)
	v_pk_add_f32 v[10:11], v[6:7], v[10:11]
	ds_bpermute_b32 v9, v13, v5
	ds_bpermute_b32 v12, v13, v10
	;; [unrolled: 1-line block ×3, first 2 shown]
	s_and_b64 vcc, exec, s[4:5]
	s_waitcnt lgkmcnt(2)
	v_pk_add_f32 v[6:7], v[4:5], v[8:9]
	s_waitcnt lgkmcnt(0)
	v_pk_add_f32 v[4:5], v[10:11], v[12:13]
	s_cbranch_vccz .LBB21_39
; %bb.38:
	s_ashr_i32 s35, s34, 31
	s_lshl_b64 s[4:5], s[34:35], 2
	s_add_u32 s4, s44, s4
	s_addc_u32 s5, s45, s5
	v_mov_b32_e32 v8, 0
	global_load_dwordx4 v[8:11], v8, s[4:5]
	v_max_f32_e32 v12, v1, v1
	v_max_f32_e32 v14, v0, v0
	;; [unrolled: 1-line block ×4, first 2 shown]
	s_mov_b32 s5, 0x3fb8aa3b
	s_mov_b32 s2, 0xc2ce8ed0
	;; [unrolled: 1-line block ×3, first 2 shown]
	v_mov_b32_e32 v16, 0x7f800000
	s_waitcnt vmcnt(0)
	v_max_f32_e32 v13, v9, v9
	v_max_f32_e32 v18, v8, v8
	;; [unrolled: 1-line block ×6, first 2 shown]
	v_pk_add_f32 v[0:1], v[0:1], v[12:13] neg_lo:[0,1] neg_hi:[0,1]
	v_max_f32_e32 v15, v15, v19
	v_max_f32_e32 v14, v17, v20
	v_mul_f32_e32 v17, 0x3fb8aa3b, v1
	v_pk_add_f32 v[2:3], v[2:3], v[14:15] neg_lo:[0,1] neg_hi:[0,1]
	v_mul_f32_e32 v18, 0x3fb8aa3b, v0
	v_fma_f32 v23, v1, s5, -v17
	v_rndne_f32_e32 v24, v17
	v_mul_f32_e32 v19, 0x3fb8aa3b, v3
	v_fma_f32 v25, v0, s5, -v18
	v_rndne_f32_e32 v26, v18
	v_fmac_f32_e32 v23, 0x32a5705f, v1
	v_sub_f32_e32 v17, v17, v24
	v_mul_f32_e32 v20, 0x3fb8aa3b, v2
	v_fma_f32 v27, v3, s5, -v19
	v_rndne_f32_e32 v28, v19
	v_fmac_f32_e32 v25, 0x32a5705f, v0
	v_sub_f32_e32 v18, v18, v26
	v_add_f32_e32 v17, v17, v23
	v_fma_f32 v29, v2, s5, -v20
	v_rndne_f32_e32 v30, v20
	v_cvt_i32_f32_e32 v24, v24
	v_fmac_f32_e32 v27, 0x32a5705f, v3
	v_sub_f32_e32 v19, v19, v28
	v_add_f32_e32 v18, v18, v25
	v_exp_f32_e32 v17, v17
	v_cvt_i32_f32_e32 v26, v26
	v_fmac_f32_e32 v29, 0x32a5705f, v2
	v_sub_f32_e32 v20, v20, v30
	v_add_f32_e32 v19, v19, v27
	v_exp_f32_e32 v18, v18
	v_cvt_i32_f32_e32 v28, v28
	v_add_f32_e32 v20, v20, v29
	v_exp_f32_e32 v19, v19
	v_cvt_i32_f32_e32 v30, v30
	v_exp_f32_e32 v20, v20
	v_ldexp_f32 v17, v17, v24
	v_cmp_ngt_f32_e32 vcc, s2, v1
	v_ldexp_f32 v18, v18, v26
	v_ldexp_f32 v19, v19, v28
	v_cndmask_b32_e32 v17, 0, v17, vcc
	v_cmp_ngt_f32_e32 vcc, s2, v0
	v_ldexp_f32 v20, v20, v30
	v_pk_add_f32 v[10:11], v[10:11], v[14:15] neg_lo:[0,1] neg_hi:[0,1]
	v_cndmask_b32_e32 v18, 0, v18, vcc
	v_cmp_ngt_f32_e32 vcc, s2, v3
	v_mul_f32_e32 v21, 0x3fb8aa3b, v11
	v_mul_f32_e32 v22, 0x3fb8aa3b, v10
	v_cndmask_b32_e32 v19, 0, v19, vcc
	v_cmp_ngt_f32_e32 vcc, s2, v2
	v_fma_f32 v31, v11, s5, -v21
	v_rndne_f32_e32 v32, v21
	v_cndmask_b32_e32 v20, 0, v20, vcc
	v_cmp_nlt_f32_e32 vcc, s4, v1
	v_fma_f32 v33, v10, s5, -v22
	v_rndne_f32_e32 v34, v22
	v_cndmask_b32_e32 v1, v16, v17, vcc
	v_cmp_nlt_f32_e32 vcc, s4, v0
	v_fmac_f32_e32 v31, 0x32a5705f, v11
	v_sub_f32_e32 v21, v21, v32
	v_cndmask_b32_e32 v0, v16, v18, vcc
	v_cvt_f16_f32_e32 v17, v0
	v_cvt_f16_f32_e32 v18, v1
	v_cmp_nlt_f32_e32 vcc, s4, v3
	v_fmac_f32_e32 v33, 0x32a5705f, v10
	v_add_f32_e32 v21, v21, v31
	v_cndmask_b32_e32 v3, v16, v19, vcc
	v_cmp_nlt_f32_e32 vcc, s4, v2
	v_pk_mul_f16 v91, v17, v91 op_sel_hi:[0,1]
	v_pk_mul_f16 v76, v17, v76 op_sel_hi:[0,1]
	v_sub_f32_e32 v17, v22, v34
	v_cvt_i32_f32_e32 v32, v32
	v_exp_f32_e32 v21, v21
	v_cndmask_b32_e32 v2, v16, v20, vcc
	v_add_f32_e32 v17, v17, v33
	v_cvt_f16_f32_e32 v19, v2
	v_pk_mul_f16 v77, v18, v77 op_sel_hi:[0,1]
	v_pk_mul_f16 v74, v18, v74 op_sel_hi:[0,1]
	v_exp_f32_e32 v17, v17
	v_cvt_i32_f32_e32 v18, v34
	v_cvt_f16_f32_e32 v20, v3
	v_pk_add_f32 v[8:9], v[8:9], v[12:13] neg_lo:[0,1] neg_hi:[0,1]
	v_ldexp_f32 v21, v21, v32
	v_cmp_ngt_f32_e32 vcc, s2, v11
	v_pk_mul_f16 v75, v19, v75 op_sel_hi:[0,1]
	v_pk_mul_f16 v72, v19, v72 op_sel_hi:[0,1]
	v_cndmask_b32_e32 v19, 0, v21, vcc
	v_cmp_nlt_f32_e32 vcc, s4, v11
	v_ldexp_f32 v17, v17, v18
	v_mul_f32_e32 v18, 0x3fb8aa3b, v9
	v_pk_mul_f16 v71, v20, v71 op_sel_hi:[0,1]
	v_pk_mul_f16 v73, v20, v73 op_sel_hi:[0,1]
	v_cndmask_b32_e32 v11, v16, v19, vcc
	v_fma_f32 v19, v9, s5, -v18
	v_rndne_f32_e32 v20, v18
	v_fmac_f32_e32 v19, 0x32a5705f, v9
	v_sub_f32_e32 v18, v18, v20
	v_add_f32_e32 v18, v18, v19
	v_exp_f32_e32 v18, v18
	v_cvt_i32_f32_e32 v19, v20
	v_cmp_ngt_f32_e32 vcc, s2, v10
	s_nop 1
	v_cndmask_b32_e32 v17, 0, v17, vcc
	v_cmp_nlt_f32_e32 vcc, s4, v10
	s_nop 1
	v_cndmask_b32_e32 v10, v16, v17, vcc
	v_ldexp_f32 v17, v18, v19
	v_mul_f32_e32 v18, 0x3fb8aa3b, v8
	v_fma_f32 v19, v8, s5, -v18
	v_rndne_f32_e32 v20, v18
	v_fmac_f32_e32 v19, 0x32a5705f, v8
	v_sub_f32_e32 v18, v18, v20
	v_add_f32_e32 v18, v18, v19
	v_exp_f32_e32 v18, v18
	v_cvt_i32_f32_e32 v19, v20
	v_cmp_ngt_f32_e32 vcc, s2, v9
	v_pk_fma_f32 v[4:5], v[4:5], v[2:3], v[10:11]
	s_nop 0
	v_cndmask_b32_e32 v17, 0, v17, vcc
	v_cmp_nlt_f32_e32 vcc, s4, v9
	s_nop 1
	v_cndmask_b32_e32 v9, v16, v17, vcc
	v_ldexp_f32 v17, v18, v19
	v_cmp_ngt_f32_e32 vcc, s2, v8
	s_nop 1
	v_cndmask_b32_e32 v17, 0, v17, vcc
	v_cmp_nlt_f32_e32 vcc, s4, v8
	s_nop 1
	v_cndmask_b32_e32 v8, v16, v17, vcc
	v_pk_fma_f32 v[6:7], v[6:7], v[0:1], v[8:9]
	v_mov_b64_e32 v[0:1], v[12:13]
	v_mov_b64_e32 v[2:3], v[14:15]
.LBB21_39:
	v_cmp_gt_i32_e32 vcc, s54, v69
	s_and_saveexec_b64 s[4:5], vcc
	s_cbranch_execz .LBB21_56
; %bb.40:
	s_load_dword s2, s[0:1], 0xd4
	v_mov_b32_e32 v10, 1.0
	s_waitcnt lgkmcnt(0)
	s_cmp_lg_u32 s2, 1
	s_cselect_b64 s[0:1], -1, 0
	s_cmp_eq_u32 s2, 1
	s_cselect_b64 s[6:7], -1, 0
	s_and_b64 vcc, exec, s[0:1]
	s_cbranch_vccnz .LBB21_42
; %bb.41:
	v_div_scale_f32 v8, s[4:5], v6, v6, 1.0
	v_rcp_f32_e32 v9, v8
	v_div_scale_f32 v10, vcc, 1.0, v6, 1.0
	v_fma_f32 v11, -v8, v9, 1.0
	v_fmac_f32_e32 v9, v11, v9
	v_mul_f32_e32 v11, v10, v9
	v_fma_f32 v12, -v8, v11, v10
	v_fmac_f32_e32 v11, v12, v9
	v_fma_f32 v8, -v8, v11, v10
	v_div_fmas_f32 v8, v8, v9, v11
	v_div_fixup_f32 v10, v8, v6, 1.0
.LBB21_42:
	s_mul_i32 s33, s33, s54
	v_add_u32_e32 v8, s33, v69
	v_mul_lo_u32 v8, v8, s55
	v_add_u32_e32 v8, s34, v8
	v_mul_lo_u32 v11, s2, v8
	v_add_u32_e32 v8, s3, v11
	s_and_saveexec_b64 s[4:5], s[30:31]
	s_cbranch_execz .LBB21_44
; %bb.43:
	v_cvt_f32_f16_sdwa v15, v91 dst_sel:DWORD dst_unused:UNUSED_PAD src0_sel:WORD_1
	v_cvt_f32_f16_e32 v14, v91
	v_cvt_f32_f16_sdwa v17, v76 dst_sel:DWORD dst_unused:UNUSED_PAD src0_sel:WORD_1
	v_cvt_f32_f16_e32 v16, v76
	s_movk_i32 s8, 0x70
	v_mad_u64_u32 v[12:13], s[8:9], v8, s8, v[68:69]
	v_mov_b32_e32 v13, 0
	v_lshl_add_u64 v[18:19], v[12:13], 2, s[48:49]
	v_pk_mul_f32 v[12:13], v[10:11], v[14:15] op_sel_hi:[0,1]
	v_pk_mul_f32 v[14:15], v[10:11], v[16:17] op_sel_hi:[0,1]
	global_store_dwordx4 v[18:19], v[12:15], off
.LBB21_44:
	s_or_b64 exec, exec, s[4:5]
	v_cmp_eq_u32_e32 vcc, 0, v70
	s_and_b64 s[4:5], vcc, s[0:1]
	s_and_saveexec_b64 s[0:1], s[4:5]
	s_cbranch_execz .LBB21_46
; %bb.45:
	v_ashrrev_i32_e32 v9, 31, v8
	v_lshl_add_u64 v[8:9], v[8:9], 3, s[50:51]
	v_mov_b32_e32 v12, v0
	v_mov_b32_e32 v13, v6
	global_store_dwordx2 v[8:9], v[12:13], off
.LBB21_46:
	s_or_b64 exec, exec, s[0:1]
	v_cndmask_b32_e64 v0, 0, 1, s[6:7]
	v_cmp_ne_u32_e64 s[0:1], 1, v0
	s_andn2_b64 vcc, exec, s[6:7]
	v_mov_b32_e32 v0, 1.0
	s_cbranch_vccz .LBB21_57
; %bb.47:
	v_add_u32_e32 v10, s2, v11
	v_add_u32_e32 v8, s3, v10
	s_and_saveexec_b64 s[6:7], s[30:31]
	s_cbranch_execnz .LBB21_58
.LBB21_48:
	s_or_b64 exec, exec, s[6:7]
	s_and_saveexec_b64 s[6:7], s[4:5]
	s_cbranch_execnz .LBB21_59
.LBB21_49:
	s_or_b64 exec, exec, s[6:7]
	s_and_b64 vcc, exec, s[0:1]
	v_mov_b32_e32 v6, 1.0
	s_cbranch_vccz .LBB21_60
.LBB21_50:
	v_add_u32_e32 v7, s2, v10
	v_add_u32_e32 v0, s3, v7
	s_and_saveexec_b64 s[6:7], s[30:31]
	s_cbranch_execnz .LBB21_61
.LBB21_51:
	s_or_b64 exec, exec, s[6:7]
	s_and_saveexec_b64 s[6:7], s[4:5]
	s_cbranch_execnz .LBB21_62
.LBB21_52:
	s_or_b64 exec, exec, s[6:7]
	s_and_b64 vcc, exec, s[0:1]
	v_mov_b32_e32 v2, 1.0
	s_cbranch_vccz .LBB21_63
.LBB21_53:
	s_add_i32 s3, s3, s2
	v_add_u32_e32 v0, s3, v7
	s_and_saveexec_b64 s[0:1], s[30:31]
	s_cbranch_execnz .LBB21_64
.LBB21_54:
	s_or_b64 exec, exec, s[0:1]
	s_and_b64 exec, exec, s[4:5]
	s_cbranch_execz .LBB21_56
.LBB21_55:
	v_ashrrev_i32_e32 v1, 31, v0
	v_lshl_add_u64 v[0:1], v[0:1], 3, s[50:51]
	v_mov_b32_e32 v4, v3
	global_store_dwordx2 v[0:1], v[4:5], off
.LBB21_56:
	s_endpgm
.LBB21_57:
	v_div_scale_f32 v0, s[6:7], v7, v7, 1.0
	v_rcp_f32_e32 v6, v0
	v_div_scale_f32 v8, vcc, 1.0, v7, 1.0
	v_fma_f32 v9, -v0, v6, 1.0
	v_fmac_f32_e32 v6, v9, v6
	v_mul_f32_e32 v9, v8, v6
	v_fma_f32 v10, -v0, v9, v8
	v_fmac_f32_e32 v9, v10, v6
	v_fma_f32 v0, -v0, v9, v8
	v_div_fmas_f32 v0, v0, v6, v9
	v_div_fixup_f32 v0, v0, v7, 1.0
	v_add_u32_e32 v10, s2, v11
	v_add_u32_e32 v8, s3, v10
	s_and_saveexec_b64 s[6:7], s[30:31]
	s_cbranch_execz .LBB21_48
.LBB21_58:
	v_cvt_f32_f16_sdwa v15, v77 dst_sel:DWORD dst_unused:UNUSED_PAD src0_sel:WORD_1
	v_cvt_f32_f16_e32 v14, v77
	v_cvt_f32_f16_sdwa v17, v74 dst_sel:DWORD dst_unused:UNUSED_PAD src0_sel:WORD_1
	v_cvt_f32_f16_e32 v16, v74
	s_movk_i32 s8, 0x70
	v_mad_u64_u32 v[12:13], s[8:9], v8, s8, v[68:69]
	v_mov_b32_e32 v13, 0
	v_lshl_add_u64 v[18:19], v[12:13], 2, s[48:49]
	v_pk_mul_f32 v[12:13], v[0:1], v[14:15] op_sel_hi:[0,1]
	v_pk_mul_f32 v[14:15], v[0:1], v[16:17] op_sel_hi:[0,1]
	global_store_dwordx4 v[18:19], v[12:15], off
	s_or_b64 exec, exec, s[6:7]
	s_and_saveexec_b64 s[6:7], s[4:5]
	s_cbranch_execz .LBB21_49
.LBB21_59:
	v_ashrrev_i32_e32 v9, 31, v8
	v_lshl_add_u64 v[8:9], v[8:9], 3, s[50:51]
	v_mov_b32_e32 v6, v1
	global_store_dwordx2 v[8:9], v[6:7], off
	s_or_b64 exec, exec, s[6:7]
	s_and_b64 vcc, exec, s[0:1]
	v_mov_b32_e32 v6, 1.0
	s_cbranch_vccnz .LBB21_50
.LBB21_60:
	v_div_scale_f32 v0, s[6:7], v4, v4, 1.0
	v_rcp_f32_e32 v1, v0
	v_div_scale_f32 v6, vcc, 1.0, v4, 1.0
	v_fma_f32 v7, -v0, v1, 1.0
	v_fmac_f32_e32 v1, v7, v1
	v_mul_f32_e32 v7, v6, v1
	v_fma_f32 v8, -v0, v7, v6
	v_fmac_f32_e32 v7, v8, v1
	v_fma_f32 v0, -v0, v7, v6
	v_div_fmas_f32 v0, v0, v1, v7
	v_div_fixup_f32 v6, v0, v4, 1.0
	v_add_u32_e32 v7, s2, v10
	v_add_u32_e32 v0, s3, v7
	s_and_saveexec_b64 s[6:7], s[30:31]
	s_cbranch_execz .LBB21_51
.LBB21_61:
	v_cvt_f32_f16_sdwa v11, v75 dst_sel:DWORD dst_unused:UNUSED_PAD src0_sel:WORD_1
	v_cvt_f32_f16_e32 v10, v75
	v_cvt_f32_f16_sdwa v13, v72 dst_sel:DWORD dst_unused:UNUSED_PAD src0_sel:WORD_1
	v_cvt_f32_f16_e32 v12, v72
	s_movk_i32 s8, 0x70
	v_mad_u64_u32 v[8:9], s[8:9], v0, s8, v[68:69]
	v_mov_b32_e32 v9, 0
	v_lshl_add_u64 v[14:15], v[8:9], 2, s[48:49]
	v_pk_mul_f32 v[8:9], v[6:7], v[10:11] op_sel_hi:[0,1]
	v_pk_mul_f32 v[10:11], v[6:7], v[12:13] op_sel_hi:[0,1]
	global_store_dwordx4 v[14:15], v[8:11], off
	s_or_b64 exec, exec, s[6:7]
	s_and_saveexec_b64 s[6:7], s[4:5]
	s_cbranch_execz .LBB21_52
.LBB21_62:
	v_ashrrev_i32_e32 v1, 31, v0
	v_lshl_add_u64 v[0:1], v[0:1], 3, s[50:51]
	v_mov_b32_e32 v8, v2
	v_mov_b32_e32 v9, v4
	global_store_dwordx2 v[0:1], v[8:9], off
	s_or_b64 exec, exec, s[6:7]
	s_and_b64 vcc, exec, s[0:1]
	v_mov_b32_e32 v2, 1.0
	s_cbranch_vccnz .LBB21_53
.LBB21_63:
	v_div_scale_f32 v0, s[0:1], v5, v5, 1.0
	v_rcp_f32_e32 v1, v0
	v_div_scale_f32 v2, vcc, 1.0, v5, 1.0
	v_fma_f32 v4, -v0, v1, 1.0
	v_fmac_f32_e32 v1, v4, v1
	v_mul_f32_e32 v4, v2, v1
	v_fma_f32 v6, -v0, v4, v2
	v_fmac_f32_e32 v4, v6, v1
	v_fma_f32 v0, -v0, v4, v2
	v_div_fmas_f32 v0, v0, v1, v4
	v_div_fixup_f32 v2, v0, v5, 1.0
	s_add_i32 s3, s3, s2
	v_add_u32_e32 v0, s3, v7
	s_and_saveexec_b64 s[0:1], s[30:31]
	s_cbranch_execz .LBB21_54
.LBB21_64:
	v_cvt_f32_f16_sdwa v9, v71 dst_sel:DWORD dst_unused:UNUSED_PAD src0_sel:WORD_1
	v_cvt_f32_f16_e32 v8, v71
	v_cvt_f32_f16_sdwa v11, v73 dst_sel:DWORD dst_unused:UNUSED_PAD src0_sel:WORD_1
	v_cvt_f32_f16_e32 v10, v73
	s_movk_i32 s2, 0x70
	v_mad_u64_u32 v[6:7], s[2:3], v0, s2, v[68:69]
	v_mov_b32_e32 v7, 0
	v_lshl_add_u64 v[12:13], v[6:7], 2, s[48:49]
	v_pk_mul_f32 v[6:7], v[2:3], v[8:9] op_sel_hi:[0,1]
	v_pk_mul_f32 v[8:9], v[2:3], v[10:11] op_sel_hi:[0,1]
	global_store_dwordx4 v[12:13], v[6:9], off
	s_or_b64 exec, exec, s[0:1]
	s_and_b64 exec, exec, s[4:5]
	s_cbranch_execnz .LBB21_55
	s_branch .LBB21_56
	.section	.rodata,"a",@progbits
	.p2align	6, 0x0
	.amdhsa_kernel _ZL15flash_attn_tileILi112ELi112ELi8ELi4ELb0EEvPKcS1_S1_S1_S1_PKiPfP15HIP_vector_typeIfLj2EEffffjfiS5_IjLj3EEiiiiiiiiiiiliiliiiiil
		.amdhsa_group_segment_fixed_size 13376
		.amdhsa_private_segment_fixed_size 0
		.amdhsa_kernarg_size 464
		.amdhsa_user_sgpr_count 2
		.amdhsa_user_sgpr_dispatch_ptr 0
		.amdhsa_user_sgpr_queue_ptr 0
		.amdhsa_user_sgpr_kernarg_segment_ptr 1
		.amdhsa_user_sgpr_dispatch_id 0
		.amdhsa_user_sgpr_kernarg_preload_length 0
		.amdhsa_user_sgpr_kernarg_preload_offset 0
		.amdhsa_user_sgpr_private_segment_size 0
		.amdhsa_uses_dynamic_stack 0
		.amdhsa_enable_private_segment 0
		.amdhsa_system_sgpr_workgroup_id_x 1
		.amdhsa_system_sgpr_workgroup_id_y 1
		.amdhsa_system_sgpr_workgroup_id_z 1
		.amdhsa_system_sgpr_workgroup_info 0
		.amdhsa_system_vgpr_workitem_id 1
		.amdhsa_next_free_vgpr 138
		.amdhsa_next_free_sgpr 62
		.amdhsa_accum_offset 140
		.amdhsa_reserve_vcc 1
		.amdhsa_float_round_mode_32 0
		.amdhsa_float_round_mode_16_64 0
		.amdhsa_float_denorm_mode_32 3
		.amdhsa_float_denorm_mode_16_64 3
		.amdhsa_dx10_clamp 1
		.amdhsa_ieee_mode 1
		.amdhsa_fp16_overflow 0
		.amdhsa_tg_split 0
		.amdhsa_exception_fp_ieee_invalid_op 0
		.amdhsa_exception_fp_denorm_src 0
		.amdhsa_exception_fp_ieee_div_zero 0
		.amdhsa_exception_fp_ieee_overflow 0
		.amdhsa_exception_fp_ieee_underflow 0
		.amdhsa_exception_fp_ieee_inexact 0
		.amdhsa_exception_int_div_zero 0
	.end_amdhsa_kernel
	.section	.text._ZL15flash_attn_tileILi112ELi112ELi8ELi4ELb0EEvPKcS1_S1_S1_S1_PKiPfP15HIP_vector_typeIfLj2EEffffjfiS5_IjLj3EEiiiiiiiiiiiliiliiiiil,"axG",@progbits,_ZL15flash_attn_tileILi112ELi112ELi8ELi4ELb0EEvPKcS1_S1_S1_S1_PKiPfP15HIP_vector_typeIfLj2EEffffjfiS5_IjLj3EEiiiiiiiiiiiliiliiiiil,comdat
.Lfunc_end21:
	.size	_ZL15flash_attn_tileILi112ELi112ELi8ELi4ELb0EEvPKcS1_S1_S1_S1_PKiPfP15HIP_vector_typeIfLj2EEffffjfiS5_IjLj3EEiiiiiiiiiiiliiliiiiil, .Lfunc_end21-_ZL15flash_attn_tileILi112ELi112ELi8ELi4ELb0EEvPKcS1_S1_S1_S1_PKiPfP15HIP_vector_typeIfLj2EEffffjfiS5_IjLj3EEiiiiiiiiiiiliiliiiiil
                                        ; -- End function
	.section	.AMDGPU.csdata,"",@progbits
; Kernel info:
; codeLenInByte = 12128
; NumSgprs: 68
; NumVgprs: 138
; NumAgprs: 0
; TotalNumVgprs: 138
; ScratchSize: 0
; MemoryBound: 0
; FloatMode: 240
; IeeeMode: 1
; LDSByteSize: 13376 bytes/workgroup (compile time only)
; SGPRBlocks: 8
; VGPRBlocks: 17
; NumSGPRsForWavesPerEU: 68
; NumVGPRsForWavesPerEU: 138
; AccumOffset: 140
; Occupancy: 3
; WaveLimiterHint : 1
; COMPUTE_PGM_RSRC2:SCRATCH_EN: 0
; COMPUTE_PGM_RSRC2:USER_SGPR: 2
; COMPUTE_PGM_RSRC2:TRAP_HANDLER: 0
; COMPUTE_PGM_RSRC2:TGID_X_EN: 1
; COMPUTE_PGM_RSRC2:TGID_Y_EN: 1
; COMPUTE_PGM_RSRC2:TGID_Z_EN: 1
; COMPUTE_PGM_RSRC2:TIDIG_COMP_CNT: 1
; COMPUTE_PGM_RSRC3_GFX90A:ACCUM_OFFSET: 34
; COMPUTE_PGM_RSRC3_GFX90A:TG_SPLIT: 0
	.section	.text._ZL33flash_attn_stream_k_fixup_uniformILi112ELi8ELi4EEvPfPK15HIP_vector_typeIfLj2EEiiiiiiS1_IjLj3EES5_S5_,"axG",@progbits,_ZL33flash_attn_stream_k_fixup_uniformILi112ELi8ELi4EEvPfPK15HIP_vector_typeIfLj2EEiiiiiiS1_IjLj3EES5_S5_,comdat
	.globl	_ZL33flash_attn_stream_k_fixup_uniformILi112ELi8ELi4EEvPfPK15HIP_vector_typeIfLj2EEiiiiiiS1_IjLj3EES5_S5_ ; -- Begin function _ZL33flash_attn_stream_k_fixup_uniformILi112ELi8ELi4EEvPfPK15HIP_vector_typeIfLj2EEiiiiiiS1_IjLj3EES5_S5_
	.p2align	8
	.type	_ZL33flash_attn_stream_k_fixup_uniformILi112ELi8ELi4EEvPfPK15HIP_vector_typeIfLj2EEiiiiiiS1_IjLj3EES5_S5_,@function
_ZL33flash_attn_stream_k_fixup_uniformILi112ELi8ELi4EEvPfPK15HIP_vector_typeIfLj2EEiiiiiiS1_IjLj3EES5_S5_: ; @_ZL33flash_attn_stream_k_fixup_uniformILi112ELi8ELi4EEvPfPK15HIP_vector_typeIfLj2EEiiiiiiS1_IjLj3EES5_S5_
; %bb.0:
	s_load_dwordx8 s[8:15], s[0:1], 0x1c
	s_load_dwordx2 s[6:7], s[0:1], 0x10
	s_load_dwordx4 s[16:19], s[0:1], 0x3c
	s_waitcnt lgkmcnt(0)
	s_mul_hi_u32 s5, s11, s2
	s_add_i32 s5, s2, s5
	s_lshr_b32 s5, s5, s12
	s_mul_i32 s11, s5, s13
	s_sub_i32 s12, s2, s11
	s_mul_hi_u32 s11, s12, s14
	s_add_i32 s11, s12, s11
	s_lshr_b32 s11, s11, s15
	s_mul_i32 s13, s11, s16
	s_sub_i32 s12, s12, s13
	;; [unrolled: 5-line block ×3, first 2 shown]
	s_lshl_b32 s12, s16, 3
	s_lshl_b32 s17, s13, 2
	s_add_i32 s12, s12, s3
	s_cmp_lt_i32 s12, s6
	s_cselect_b64 s[12:13], -1, 0
	s_add_i32 s17, s17, s4
	s_cmp_lt_i32 s17, s9
	s_cselect_b64 s[14:15], -1, 0
	s_and_b64 s[12:13], s[12:13], s[14:15]
	s_andn2_b64 vcc, exec, s[12:13]
	s_cbranch_vccnz .LBB22_6
; %bb.1:
	s_load_dwordx4 s[12:15], s[0:1], 0x0
	s_mul_i32 s0, s5, s6
	s_mul_i32 s11, s11, s9
	s_add_i32 s0, s0, s3
	s_mul_i32 s0, s0, s7
	s_add_i32 s5, s17, s11
	;; [unrolled: 2-line block ×3, first 2 shown]
	s_mulk_i32 s1, 0x380
	s_mulk_i32 s0, 0x70
	s_add_i32 s0, s0, s1
	v_add_u32_e32 v4, s0, v0
	s_waitcnt lgkmcnt(0)
	v_mov_b32_e32 v2, s12
	v_mov_b32_e32 v3, s13
	v_ashrrev_i32_e32 v5, 31, v4
	v_lshl_add_u64 v[2:3], v[4:5], 2, v[2:3]
	global_load_dword v7, v[2:3], off
	s_mul_i32 s5, s2, s10
	s_lshl_b32 s11, s3, 2
	s_add_i32 s9, s5, s10
	s_add_i32 s0, s11, s4
	s_lshl_b32 s1, s9, 5
	s_add_i32 s0, s0, s1
	s_sub_i32 s0, s0, 32
	s_ashr_i32 s1, s0, 31
	s_lshl_b64 s[0:1], s[0:1], 3
	s_add_u32 s0, s14, s0
	s_addc_u32 s1, s15, s1
	s_load_dword s12, s[0:1], 0x4
	s_add_i32 s6, s9, -2
	s_cmp_lt_i32 s6, s5
	s_cbranch_scc1 .LBB22_4
; %bb.2:
	s_lshl_b32 s6, s8, 7
	s_ashr_i32 s7, s6, 31
	s_lshl_b64 s[6:7], s[6:7], 2
	s_add_u32 s6, s14, s6
	s_addc_u32 s7, s15, s7
	s_add_i32 s2, s2, 1
	s_load_dword s0, s[0:1], 0x0
	s_mul_i32 s1, s10, s2
	s_lshl_b32 s2, s1, 5
	s_add_i32 s2, s4, s2
	s_mulk_i32 s3, 0x1c0
	s_mulk_i32 s4, 0x70
	s_lshl_b32 s8, s8, 5
	s_mulk_i32 s1, 0xe00
	s_add_i32 s3, s4, s3
	s_add_i32 s2, s2, s8
	;; [unrolled: 1-line block ×4, first 2 shown]
	v_add_u32_e32 v0, s3, v0
	s_add_i32 s9, s9, -1
	s_sub_i32 s2, s2, 64
	v_add_u32_e32 v0, 0xffffe400, v0
	s_waitcnt lgkmcnt(0)
	v_mov_b32_e32 v6, s12
	v_mov_b32_e32 v5, s0
	s_mov_b32 s4, 0x3fb8aa3b
	s_mov_b32 s8, 0xc2ce8ed0
	;; [unrolled: 1-line block ×3, first 2 shown]
	v_mov_b32_e32 v4, 0x7f800000
	s_mov_b32 s11, 0xc1a00000
.LBB22_3:                               ; =>This Inner Loop Header: Depth=1
	v_ashrrev_i32_e32 v1, 31, v0
	v_lshl_add_u64 v[8:9], v[0:1], 2, s[6:7]
	global_load_dword v1, v[8:9], off
	s_ashr_i32 s3, s2, 31
	s_lshl_b64 s[0:1], s[2:3], 3
	s_add_u32 s0, s14, s0
	s_addc_u32 s1, s15, s1
	s_load_dwordx2 s[12:13], s[0:1], 0x0
	s_waitcnt vmcnt(1)
	v_mov_b32_e32 v8, v7
	v_max_f32_e32 v7, v5, v5
	v_mov_b32_e32 v9, v6
	s_add_i32 s9, s9, -1
	s_waitcnt lgkmcnt(0)
	v_max_f32_e64 v6, s12, s12
	v_max_f32_e32 v6, v7, v6
	v_sub_f32_e32 v10, s12, v6
	v_sub_f32_e32 v7, v5, v6
	v_mul_f32_e32 v11, 0x3fb8aa3b, v10
	v_mov_b32_e32 v5, v6
	v_mul_f32_e32 v6, 0x3fb8aa3b, v7
	v_fma_f32 v14, v10, s4, -v11
	v_rndne_f32_e32 v15, v11
	v_fma_f32 v12, v7, s4, -v6
	v_rndne_f32_e32 v13, v6
	v_fmac_f32_e32 v14, 0x32a5705f, v10
	v_sub_f32_e32 v11, v11, v15
	v_fmac_f32_e32 v12, 0x32a5705f, v7
	v_sub_f32_e32 v6, v6, v13
	v_add_f32_e32 v11, v11, v14
	v_cvt_i32_f32_e32 v15, v15
	v_add_f32_e32 v6, v6, v12
	v_exp_f32_e32 v11, v11
	v_cvt_i32_f32_e32 v13, v13
	v_exp_f32_e32 v6, v6
	v_cmp_ngt_f32_e32 vcc, s8, v10
	v_ldexp_f32 v11, v11, v15
	v_cmp_ngt_f32_e64 s[0:1], s8, v7
	v_ldexp_f32 v6, v6, v13
	v_cndmask_b32_e32 v11, 0, v11, vcc
	v_cmp_nlt_f32_e32 vcc, s10, v10
	v_cndmask_b32_e64 v6, 0, v6, s[0:1]
	v_cmp_nlt_f32_e64 s[0:1], s10, v7
	v_cndmask_b32_e32 v11, v4, v11, vcc
	v_cmp_le_f32_e32 vcc, s11, v10
	v_cndmask_b32_e64 v6, v4, v6, s[0:1]
	v_cmp_le_f32_e64 s[0:1], s11, v7
	v_cndmask_b32_e32 v7, 0, v11, vcc
	s_sub_i32 s2, s2, 32
	v_cndmask_b32_e64 v10, 0, v6, s[0:1]
	v_mul_f32_e32 v6, s13, v7
	v_add_u32_e32 v0, 0xfffff200, v0
	s_cmp_le_i32 s9, s5
	v_fmac_f32_e32 v6, v9, v10
	s_waitcnt vmcnt(0)
	v_mul_f32_e32 v7, v1, v7
	v_fmac_f32_e32 v7, v8, v10
	s_cbranch_scc0 .LBB22_3
	s_branch .LBB22_5
.LBB22_4:
	s_waitcnt lgkmcnt(0)
	v_mov_b32_e32 v6, s12
.LBB22_5:
	s_waitcnt vmcnt(0)
	v_div_scale_f32 v0, s[0:1], v6, v6, v7
	v_rcp_f32_e32 v1, v0
	v_div_scale_f32 v4, vcc, v7, v6, v7
	v_fma_f32 v5, -v0, v1, 1.0
	v_fmac_f32_e32 v1, v5, v1
	v_mul_f32_e32 v5, v4, v1
	v_fma_f32 v8, -v0, v5, v4
	v_fmac_f32_e32 v5, v8, v1
	v_fma_f32 v0, -v0, v5, v4
	v_div_fmas_f32 v0, v0, v1, v5
	v_div_fixup_f32 v0, v0, v6, v7
	global_store_dword v[2:3], v0, off
.LBB22_6:
	s_endpgm
	.section	.rodata,"a",@progbits
	.p2align	6, 0x0
	.amdhsa_kernel _ZL33flash_attn_stream_k_fixup_uniformILi112ELi8ELi4EEvPfPK15HIP_vector_typeIfLj2EEiiiiiiS1_IjLj3EES5_S5_
		.amdhsa_group_segment_fixed_size 0
		.amdhsa_private_segment_fixed_size 0
		.amdhsa_kernarg_size 76
		.amdhsa_user_sgpr_count 2
		.amdhsa_user_sgpr_dispatch_ptr 0
		.amdhsa_user_sgpr_queue_ptr 0
		.amdhsa_user_sgpr_kernarg_segment_ptr 1
		.amdhsa_user_sgpr_dispatch_id 0
		.amdhsa_user_sgpr_kernarg_preload_length 0
		.amdhsa_user_sgpr_kernarg_preload_offset 0
		.amdhsa_user_sgpr_private_segment_size 0
		.amdhsa_uses_dynamic_stack 0
		.amdhsa_enable_private_segment 0
		.amdhsa_system_sgpr_workgroup_id_x 1
		.amdhsa_system_sgpr_workgroup_id_y 1
		.amdhsa_system_sgpr_workgroup_id_z 1
		.amdhsa_system_sgpr_workgroup_info 0
		.amdhsa_system_vgpr_workitem_id 0
		.amdhsa_next_free_vgpr 16
		.amdhsa_next_free_sgpr 20
		.amdhsa_accum_offset 16
		.amdhsa_reserve_vcc 1
		.amdhsa_float_round_mode_32 0
		.amdhsa_float_round_mode_16_64 0
		.amdhsa_float_denorm_mode_32 3
		.amdhsa_float_denorm_mode_16_64 3
		.amdhsa_dx10_clamp 1
		.amdhsa_ieee_mode 1
		.amdhsa_fp16_overflow 0
		.amdhsa_tg_split 0
		.amdhsa_exception_fp_ieee_invalid_op 0
		.amdhsa_exception_fp_denorm_src 0
		.amdhsa_exception_fp_ieee_div_zero 0
		.amdhsa_exception_fp_ieee_overflow 0
		.amdhsa_exception_fp_ieee_underflow 0
		.amdhsa_exception_fp_ieee_inexact 0
		.amdhsa_exception_int_div_zero 0
	.end_amdhsa_kernel
	.section	.text._ZL33flash_attn_stream_k_fixup_uniformILi112ELi8ELi4EEvPfPK15HIP_vector_typeIfLj2EEiiiiiiS1_IjLj3EES5_S5_,"axG",@progbits,_ZL33flash_attn_stream_k_fixup_uniformILi112ELi8ELi4EEvPfPK15HIP_vector_typeIfLj2EEiiiiiiS1_IjLj3EES5_S5_,comdat
.Lfunc_end22:
	.size	_ZL33flash_attn_stream_k_fixup_uniformILi112ELi8ELi4EEvPfPK15HIP_vector_typeIfLj2EEiiiiiiS1_IjLj3EES5_S5_, .Lfunc_end22-_ZL33flash_attn_stream_k_fixup_uniformILi112ELi8ELi4EEvPfPK15HIP_vector_typeIfLj2EEiiiiiiS1_IjLj3EES5_S5_
                                        ; -- End function
	.section	.AMDGPU.csdata,"",@progbits
; Kernel info:
; codeLenInByte = 836
; NumSgprs: 26
; NumVgprs: 16
; NumAgprs: 0
; TotalNumVgprs: 16
; ScratchSize: 0
; MemoryBound: 0
; FloatMode: 240
; IeeeMode: 1
; LDSByteSize: 0 bytes/workgroup (compile time only)
; SGPRBlocks: 3
; VGPRBlocks: 1
; NumSGPRsForWavesPerEU: 26
; NumVGPRsForWavesPerEU: 16
; AccumOffset: 16
; Occupancy: 8
; WaveLimiterHint : 0
; COMPUTE_PGM_RSRC2:SCRATCH_EN: 0
; COMPUTE_PGM_RSRC2:USER_SGPR: 2
; COMPUTE_PGM_RSRC2:TRAP_HANDLER: 0
; COMPUTE_PGM_RSRC2:TGID_X_EN: 1
; COMPUTE_PGM_RSRC2:TGID_Y_EN: 1
; COMPUTE_PGM_RSRC2:TGID_Z_EN: 1
; COMPUTE_PGM_RSRC2:TIDIG_COMP_CNT: 0
; COMPUTE_PGM_RSRC3_GFX90A:ACCUM_OFFSET: 3
; COMPUTE_PGM_RSRC3_GFX90A:TG_SPLIT: 0
	.section	.text._ZL33flash_attn_stream_k_fixup_generalILi112ELi8ELi4EEvPfPK15HIP_vector_typeIfLj2EEiiiiS1_IjLj3EES5_S5_S5_,"axG",@progbits,_ZL33flash_attn_stream_k_fixup_generalILi112ELi8ELi4EEvPfPK15HIP_vector_typeIfLj2EEiiiiS1_IjLj3EES5_S5_S5_,comdat
	.globl	_ZL33flash_attn_stream_k_fixup_generalILi112ELi8ELi4EEvPfPK15HIP_vector_typeIfLj2EEiiiiS1_IjLj3EES5_S5_S5_ ; -- Begin function _ZL33flash_attn_stream_k_fixup_generalILi112ELi8ELi4EEvPfPK15HIP_vector_typeIfLj2EEiiiiS1_IjLj3EES5_S5_S5_
	.p2align	8
	.type	_ZL33flash_attn_stream_k_fixup_generalILi112ELi8ELi4EEvPfPK15HIP_vector_typeIfLj2EEiiiiS1_IjLj3EES5_S5_S5_,@function
_ZL33flash_attn_stream_k_fixup_generalILi112ELi8ELi4EEvPfPK15HIP_vector_typeIfLj2EEiiiiS1_IjLj3EES5_S5_S5_: ; @_ZL33flash_attn_stream_k_fixup_generalILi112ELi8ELi4EEvPfPK15HIP_vector_typeIfLj2EEiiiiS1_IjLj3EES5_S5_S5_
; %bb.0:
	s_load_dwordx4 s[12:15], s[0:1], 0x10
	s_load_dword s22, s[0:1], 0x50
	s_mov_b32 s8, 0
	s_waitcnt lgkmcnt(0)
	s_mul_hi_i32 s9, s15, s2
	s_cmp_lg_u64 s[8:9], 0
	s_mul_i32 s5, s15, s2
	s_cbranch_scc0 .LBB23_21
; %bb.1:
	v_cvt_f32_u32_e32 v1, s22
	v_cvt_f32_ubyte0_e32 v2, 0
	s_sub_u32 s8, 0, s22
	s_subb_u32 s10, 0, 0
	v_fmamk_f32 v1, v2, 0x4f800000, v1
	v_rcp_f32_e32 v1, v1
	s_nop 0
	v_mul_f32_e32 v1, 0x5f7ffffc, v1
	v_mul_f32_e32 v2, 0x2f800000, v1
	v_trunc_f32_e32 v2, v2
	v_fmamk_f32 v1, v2, 0xcf800000, v1
	v_cvt_u32_f32_e32 v2, v2
	v_cvt_u32_f32_e32 v1, v1
	v_readfirstlane_b32 s11, v2
	v_readfirstlane_b32 s16, v1
	s_mul_i32 s17, s8, s11
	s_mul_hi_u32 s19, s8, s16
	s_mul_i32 s18, s10, s16
	s_add_i32 s17, s19, s17
	s_add_i32 s17, s17, s18
	s_mul_i32 s20, s8, s16
	s_mul_hi_u32 s18, s16, s17
	s_mul_i32 s19, s16, s17
	s_mul_hi_u32 s16, s16, s20
	s_add_u32 s16, s16, s19
	s_addc_u32 s18, 0, s18
	s_mul_hi_u32 s21, s11, s20
	s_mul_i32 s20, s11, s20
	s_add_u32 s16, s16, s20
	s_mul_hi_u32 s19, s11, s17
	s_addc_u32 s16, s18, s21
	s_addc_u32 s18, s19, 0
	s_mul_i32 s17, s11, s17
	s_add_u32 s16, s16, s17
	s_addc_u32 s17, 0, s18
	v_add_co_u32_e32 v1, vcc, s16, v1
	s_cmp_lg_u64 vcc, 0
	s_addc_u32 s11, s11, s17
	v_readfirstlane_b32 s17, v1
	s_mul_i32 s16, s8, s11
	s_mul_hi_u32 s18, s8, s17
	s_add_i32 s16, s18, s16
	s_mul_i32 s10, s10, s17
	s_add_i32 s16, s16, s10
	s_mul_i32 s8, s8, s17
	s_mul_hi_u32 s18, s11, s8
	s_mul_i32 s19, s11, s8
	s_mul_i32 s21, s17, s16
	s_mul_hi_u32 s8, s17, s8
	s_mul_hi_u32 s20, s17, s16
	s_add_u32 s8, s8, s21
	s_addc_u32 s17, 0, s20
	s_add_u32 s8, s8, s19
	s_mul_hi_u32 s10, s11, s16
	s_addc_u32 s8, s17, s18
	s_addc_u32 s10, s10, 0
	s_mul_i32 s16, s11, s16
	s_add_u32 s8, s8, s16
	s_addc_u32 s10, 0, s10
	v_add_co_u32_e32 v1, vcc, s8, v1
	s_cmp_lg_u64 vcc, 0
	s_addc_u32 s16, s11, s10
	s_ashr_i32 s10, s9, 31
	s_add_u32 s8, s5, s10
	s_mov_b32 s11, s10
	s_addc_u32 s9, s9, s10
	s_xor_b64 s[8:9], s[8:9], s[10:11]
	v_readfirstlane_b32 s19, v1
	s_mul_i32 s18, s8, s16
	s_mul_hi_u32 s20, s8, s19
	s_mul_hi_u32 s17, s8, s16
	s_add_u32 s18, s20, s18
	s_addc_u32 s17, 0, s17
	s_mul_hi_u32 s21, s9, s19
	s_mul_i32 s19, s9, s19
	s_add_u32 s18, s18, s19
	s_mul_hi_u32 s20, s9, s16
	s_addc_u32 s17, s17, s21
	s_addc_u32 s18, s20, 0
	s_mul_i32 s16, s9, s16
	s_add_u32 s16, s17, s16
	s_addc_u32 s17, 0, s18
	s_add_u32 s18, s16, 1
	s_addc_u32 s19, s17, 0
	s_add_u32 s20, s16, 2
	s_mul_i32 s23, s22, s17
	s_mul_hi_u32 s24, s22, s16
	s_addc_u32 s21, s17, 0
	s_add_i32 s24, s24, s23
	s_mul_i32 s23, s22, s16
	v_mov_b32_e32 v1, s23
	v_sub_co_u32_e32 v1, vcc, s8, v1
	s_cmp_lg_u64 vcc, 0
	s_subb_u32 s8, s9, s24
	v_subrev_co_u32_e32 v2, vcc, s22, v1
	s_cmp_lg_u64 vcc, 0
	s_subb_u32 s9, s8, 0
	v_readfirstlane_b32 s23, v2
	s_cmp_ge_u32 s23, s22
	s_cselect_b32 s23, -1, 0
	s_cmp_eq_u32 s9, 0
	s_cselect_b32 s9, s23, -1
	s_cmp_lg_u32 s9, 0
	s_cselect_b32 s9, s21, s19
	v_readfirstlane_b32 s19, v1
	s_cselect_b32 s18, s20, s18
	s_cmp_ge_u32 s19, s22
	s_cselect_b32 s19, -1, 0
	s_cmp_eq_u32 s8, 0
	s_cselect_b32 s8, s19, -1
	s_cmp_lg_u32 s8, 0
	s_cselect_b32 s9, s9, s17
	s_cselect_b32 s8, s18, s16
	s_xor_b64 s[8:9], s[8:9], s[10:11]
	s_sub_u32 s20, s8, s10
	s_load_dwordx4 s[16:19], s[0:1], 0x44
	s_cbranch_execnz .LBB23_3
.LBB23_2:
	v_cvt_f32_u32_e32 v1, s22
	s_sub_i32 s6, 0, s22
	v_rcp_iflag_f32_e32 v1, v1
	s_nop 0
	v_mul_f32_e32 v1, 0x4f7ffffe, v1
	v_cvt_u32_f32_e32 v1, v1
	s_nop 0
	v_readfirstlane_b32 s7, v1
	s_mul_i32 s6, s6, s7
	s_mul_hi_u32 s6, s7, s6
	s_add_i32 s7, s7, s6
	s_mul_hi_u32 s6, s5, s7
	s_mul_i32 s8, s6, s22
	s_sub_i32 s5, s5, s8
	s_add_i32 s7, s6, 1
	s_sub_i32 s8, s5, s22
	s_cmp_ge_u32 s5, s22
	s_cselect_b32 s6, s7, s6
	s_cselect_b32 s5, s8, s5
	s_add_i32 s7, s6, 1
	s_cmp_ge_u32 s5, s22
	s_cselect_b32 s20, s7, s6
.LBB23_3:
	s_add_i32 s5, s2, 1
	s_mul_hi_i32 s9, s15, s5
	s_mov_b32 s8, 0
	s_cmp_lg_u64 s[8:9], 0
	s_mul_i32 s5, s15, s5
	s_cbranch_scc0 .LBB23_22
; %bb.4:
	v_cvt_f32_u32_e32 v1, s22
	v_cvt_f32_ubyte0_e32 v2, 0
	s_sub_u32 s8, 0, s22
	s_subb_u32 s10, 0, 0
	v_fmamk_f32 v1, v2, 0x4f800000, v1
	v_rcp_f32_e32 v1, v1
	s_nop 0
	v_mul_f32_e32 v1, 0x5f7ffffc, v1
	v_mul_f32_e32 v2, 0x2f800000, v1
	v_trunc_f32_e32 v2, v2
	v_fmamk_f32 v1, v2, 0xcf800000, v1
	v_cvt_u32_f32_e32 v2, v2
	v_cvt_u32_f32_e32 v1, v1
	v_readfirstlane_b32 s11, v2
	s_waitcnt lgkmcnt(0)
	v_readfirstlane_b32 s19, v1
	s_mul_i32 s21, s8, s11
	s_mul_hi_u32 s24, s8, s19
	s_mul_i32 s23, s10, s19
	s_add_i32 s21, s24, s21
	s_add_i32 s21, s21, s23
	s_mul_i32 s25, s8, s19
	s_mul_hi_u32 s23, s19, s21
	s_mul_i32 s24, s19, s21
	s_mul_hi_u32 s19, s19, s25
	s_add_u32 s19, s19, s24
	s_addc_u32 s23, 0, s23
	s_mul_hi_u32 s26, s11, s25
	s_mul_i32 s25, s11, s25
	s_add_u32 s19, s19, s25
	s_mul_hi_u32 s24, s11, s21
	s_addc_u32 s19, s23, s26
	s_addc_u32 s23, s24, 0
	s_mul_i32 s21, s11, s21
	s_add_u32 s19, s19, s21
	s_addc_u32 s21, 0, s23
	v_add_co_u32_e32 v1, vcc, s19, v1
	s_cmp_lg_u64 vcc, 0
	s_addc_u32 s11, s11, s21
	v_readfirstlane_b32 s21, v1
	s_mul_i32 s19, s8, s11
	s_mul_hi_u32 s23, s8, s21
	s_add_i32 s19, s23, s19
	s_mul_i32 s10, s10, s21
	s_add_i32 s19, s19, s10
	s_mul_i32 s8, s8, s21
	s_mul_hi_u32 s23, s11, s8
	s_mul_i32 s24, s11, s8
	s_mul_i32 s26, s21, s19
	s_mul_hi_u32 s8, s21, s8
	s_mul_hi_u32 s25, s21, s19
	s_add_u32 s8, s8, s26
	s_addc_u32 s21, 0, s25
	s_add_u32 s8, s8, s24
	s_mul_hi_u32 s10, s11, s19
	s_addc_u32 s8, s21, s23
	s_addc_u32 s10, s10, 0
	s_mul_i32 s19, s11, s19
	s_add_u32 s8, s8, s19
	s_addc_u32 s10, 0, s10
	v_add_co_u32_e32 v1, vcc, s8, v1
	s_cmp_lg_u64 vcc, 0
	s_addc_u32 s19, s11, s10
	s_ashr_i32 s10, s9, 31
	s_add_u32 s8, s5, s10
	s_mov_b32 s11, s10
	s_addc_u32 s9, s9, s10
	s_xor_b64 s[8:9], s[8:9], s[10:11]
	v_readfirstlane_b32 s23, v1
	s_mul_i32 s21, s8, s19
	s_mul_hi_u32 s24, s8, s23
	s_mul_hi_u32 s11, s8, s19
	s_add_u32 s21, s24, s21
	s_addc_u32 s11, 0, s11
	s_mul_hi_u32 s25, s9, s23
	s_mul_i32 s23, s9, s23
	s_add_u32 s21, s21, s23
	s_mul_hi_u32 s24, s9, s19
	s_addc_u32 s11, s11, s25
	s_addc_u32 s21, s24, 0
	s_mul_i32 s19, s9, s19
	s_add_u32 s11, s11, s19
	s_addc_u32 s19, 0, s21
	s_mul_i32 s19, s22, s19
	s_mul_hi_u32 s24, s22, s11
	s_add_i32 s24, s24, s19
	s_mul_i32 s19, s22, s11
	v_mov_b32_e32 v1, s19
	s_add_u32 s21, s11, 1
	s_add_u32 s23, s11, 2
	v_sub_co_u32_e32 v1, vcc, s8, v1
	s_cmp_lg_u64 vcc, 0
	s_subb_u32 s8, s9, s24
	v_subrev_co_u32_e32 v2, vcc, s22, v1
	s_cmp_lg_u64 vcc, 0
	s_subb_u32 s9, s8, 0
	v_cmp_le_u32_e32 vcc, s22, v2
	s_cmp_eq_u32 s9, 0
	v_mov_b32_e32 v3, s21
	v_cndmask_b32_e64 v2, 0, -1, vcc
	s_cselect_b64 vcc, -1, 0
	v_cndmask_b32_e32 v2, -1, v2, vcc
	v_mov_b32_e32 v4, s23
	v_cmp_ne_u32_e32 vcc, 0, v2
	s_cmp_eq_u32 s8, 0
	s_nop 0
	v_cndmask_b32_e32 v2, v3, v4, vcc
	v_cmp_le_u32_e32 vcc, s22, v1
	v_mov_b32_e32 v3, s11
	s_nop 0
	v_cndmask_b32_e64 v1, 0, -1, vcc
	s_cselect_b64 vcc, -1, 0
	v_cndmask_b32_e32 v1, -1, v1, vcc
	v_cmp_ne_u32_e32 vcc, 0, v1
	s_nop 1
	v_cndmask_b32_e32 v1, v3, v2, vcc
	v_xor_b32_e32 v1, s10, v1
	v_subrev_co_u32_e32 v2, vcc, s10, v1
	s_cbranch_execnz .LBB23_6
.LBB23_5:
	v_cvt_f32_u32_e32 v1, s22
	s_sub_i32 s6, 0, s22
	s_mov_b32 s7, 0
	v_rcp_iflag_f32_e32 v1, v1
	s_nop 0
	v_mul_f32_e32 v1, 0x4f7ffffe, v1
	v_cvt_u32_f32_e32 v1, v1
	s_nop 0
	v_readfirstlane_b32 s8, v1
	s_mul_i32 s6, s6, s8
	s_mul_hi_u32 s6, s8, s6
	s_add_i32 s8, s8, s6
	s_mul_hi_u32 s6, s5, s8
	s_mul_i32 s9, s6, s22
	s_sub_i32 s5, s5, s9
	s_add_i32 s8, s6, 1
	s_sub_i32 s9, s5, s22
	s_cmp_ge_u32 s5, s22
	s_cselect_b32 s6, s8, s6
	s_cselect_b32 s5, s9, s5
	s_add_i32 s8, s6, 1
	s_cmp_ge_u32 s5, s22
	s_cselect_b32 s6, s8, s6
	v_mov_b64_e32 v[2:3], s[6:7]
.LBB23_6:
	s_waitcnt lgkmcnt(0)
	s_mul_hi_u32 s5, s20, s16
	s_add_i32 s5, s5, s20
	v_mul_hi_u32 v1, v2, s16
	s_lshr_b32 s19, s5, s17
	v_add_u32_e32 v1, v1, v2
	s_mul_i32 s5, s19, s18
	v_lshrrev_b32_e32 v1, s17, v1
	s_cmp_eq_u32 s5, s20
	v_cmp_eq_u32_e64 s[6:7], s19, v1
	v_mul_lo_u32 v1, v1, s18
	v_cmp_eq_u32_e32 vcc, s20, v2
	s_cselect_b64 s[10:11], -1, 0
	v_cmp_ne_u32_e64 s[8:9], v1, v2
	s_and_b64 s[6:7], s[6:7], s[8:9]
	s_or_b64 s[8:9], vcc, s[10:11]
	s_or_b64 s[6:7], s[8:9], s[6:7]
	s_and_b64 vcc, exec, s[6:7]
	s_cbranch_vccnz .LBB23_24
; %bb.7:
	s_load_dwordx8 s[24:31], s[0:1], 0x20
	s_load_dword s5, s[0:1], 0x40
	s_waitcnt lgkmcnt(0)
	s_mul_hi_u32 s6, s20, s24
	s_add_i32 s6, s6, s20
	s_lshr_b32 s7, s6, s25
	s_mul_i32 s6, s7, s26
	s_sub_i32 s6, s20, s6
	s_mul_hi_u32 s8, s6, s27
	s_add_i32 s8, s6, s8
	s_lshr_b32 s23, s8, s28
	s_mul_i32 s8, s23, s29
	s_sub_i32 s6, s6, s8
	;; [unrolled: 5-line block ×3, first 2 shown]
	s_mul_hi_u32 s6, s5, s16
	s_add_i32 s5, s5, s6
	s_lshr_b32 s24, s5, s17
	s_lshl_b32 s5, s24, 3
	s_lshl_b32 s25, s8, 2
	s_add_i32 s5, s5, s3
	s_cmp_lt_i32 s5, s12
	s_cselect_b64 s[8:9], -1, 0
	s_add_i32 s25, s25, s4
	s_cmp_lt_i32 s25, s14
	s_cselect_b64 s[10:11], -1, 0
	s_and_b64 s[8:9], s[8:9], s[10:11]
	s_andn2_b64 vcc, exec, s[8:9]
	s_mov_b32 s6, 0
	s_cbranch_vccnz .LBB23_24
; %bb.8:
	s_load_dwordx4 s[8:11], s[0:1], 0x0
	s_lshl_b32 s21, s3, 2
	s_lshl_b32 s0, s22, 7
	s_mov_b32 s1, s6
	s_add_i32 s21, s21, s4
	s_lshl_b64 s[0:1], s[0:1], 2
	s_waitcnt lgkmcnt(0)
	s_add_u32 s4, s10, s0
	s_mul_i32 s0, s7, s12
	s_addc_u32 s5, s11, s1
	s_mul_i32 s23, s23, s14
	s_add_i32 s0, s0, s3
	s_mul_i32 s0, s0, s13
	s_add_i32 s3, s25, s23
	;; [unrolled: 2-line block ×3, first 2 shown]
	s_mulk_i32 s1, 0x380
	s_mulk_i32 s0, 0x70
	s_add_i32 s1, s1, s0
	v_add_u32_e32 v4, s1, v0
	v_mov_b32_e32 v2, s8
	v_mov_b32_e32 v3, s9
	v_ashrrev_i32_e32 v5, 31, v4
	v_lshl_add_u64 v[2:3], v[4:5], 2, v[2:3]
	global_load_dword v5, v[2:3], off
	s_lshl_b32 s0, s2, 5
	s_add_i32 s0, s21, s0
	s_ashr_i32 s1, s0, 31
	s_lshl_b64 s[0:1], s[0:1], 3
	s_add_u32 s0, s10, s0
	s_addc_u32 s1, s11, s1
	s_add_i32 s12, s2, -1
	s_mul_i32 s2, s21, 0x70
	v_add_u32_e32 v4, s2, v0
	v_cvt_f32_u32_e32 v0, s22
	v_cvt_f32_ubyte0_e32 v1, 0
	s_load_dwordx2 s[0:1], s[0:1], 0x0
	v_mov_b32_e32 v8, s20
	v_fmac_f32_e32 v0, 0x4f800000, v1
	v_rcp_f32_e32 v0, v0
	v_cvt_f32_u32_e32 v1, s22
	s_waitcnt lgkmcnt(0)
	v_mov_b32_e32 v6, s1
	v_mov_b32_e32 v7, s0
	v_mul_f32_e32 v0, 0x5f7ffffc, v0
	v_rcp_iflag_f32_e32 v1, v1
	v_mul_f32_e32 v9, 0x2f800000, v0
	v_trunc_f32_e32 v10, v9
	v_fmac_f32_e32 v0, 0xcf800000, v10
	v_cvt_u32_f32_e32 v9, v0
	v_mul_f32_e32 v0, 0x4f7ffffe, v1
	v_cvt_u32_f32_e32 v10, v10
	v_cvt_u32_f32_e32 v11, v0
	s_mov_b32 s8, 0x3fb8aa3b
	s_mov_b32 s9, 0xc2ce8ed0
	;; [unrolled: 1-line block ×4, first 2 shown]
	v_mov_b32_e32 v12, 0x7f800000
	s_mul_hi_i32 s7, s12, s15
	s_cmp_lg_u64 s[6:7], 0
	s_mul_i32 s2, s12, s15
	s_cbranch_scc0 .LBB23_15
.LBB23_9:
	s_sub_u32 s0, 0, s22
	v_readfirstlane_b32 s3, v9
	v_readfirstlane_b32 s24, v10
	s_subb_u32 s1, 0, 0
	s_mul_hi_u32 s23, s0, s3
	s_mul_i32 s25, s0, s24
	s_mul_i32 s20, s1, s3
	s_add_i32 s23, s23, s25
	s_add_i32 s23, s23, s20
	s_mul_i32 s26, s0, s3
	s_mul_hi_u32 s20, s3, s23
	s_mul_i32 s25, s3, s23
	s_mul_hi_u32 s3, s3, s26
	s_add_u32 s3, s3, s25
	s_addc_u32 s20, 0, s20
	s_mul_hi_u32 s27, s24, s26
	s_mul_i32 s26, s24, s26
	s_add_u32 s3, s3, s26
	s_mul_hi_u32 s25, s24, s23
	s_addc_u32 s3, s20, s27
	s_addc_u32 s20, s25, 0
	s_mul_i32 s23, s24, s23
	s_add_u32 s3, s3, s23
	s_addc_u32 s20, 0, s20
	v_add_co_u32_e32 v0, vcc, s3, v9
	s_cmp_lg_u64 vcc, 0
	s_addc_u32 s3, s24, s20
	v_readfirstlane_b32 s23, v0
	s_mul_i32 s20, s0, s3
	s_mul_hi_u32 s24, s0, s23
	s_add_i32 s20, s24, s20
	s_mul_i32 s1, s1, s23
	s_add_i32 s20, s20, s1
	s_mul_i32 s0, s0, s23
	s_mul_hi_u32 s24, s3, s0
	s_mul_i32 s25, s3, s0
	s_mul_i32 s27, s23, s20
	s_mul_hi_u32 s0, s23, s0
	s_mul_hi_u32 s26, s23, s20
	s_add_u32 s0, s0, s27
	s_addc_u32 s23, 0, s26
	s_add_u32 s0, s0, s25
	s_mul_hi_u32 s1, s3, s20
	s_addc_u32 s0, s23, s24
	s_addc_u32 s1, s1, 0
	s_mul_i32 s20, s3, s20
	s_add_u32 s0, s0, s20
	s_addc_u32 s1, 0, s1
	v_add_co_u32_e32 v0, vcc, s0, v0
	s_cmp_lg_u64 vcc, 0
	s_addc_u32 s3, s3, s1
	s_ashr_i32 s0, s7, 31
	s_add_u32 s24, s2, s0
	s_mov_b32 s1, s0
	s_addc_u32 s25, s7, s0
	s_xor_b64 s[24:25], s[24:25], s[0:1]
	v_readfirstlane_b32 s20, v0
	s_mul_i32 s7, s24, s3
	s_mul_hi_u32 s23, s24, s20
	s_mul_hi_u32 s1, s24, s3
	s_add_u32 s7, s23, s7
	s_addc_u32 s1, 0, s1
	s_mul_hi_u32 s26, s25, s20
	s_mul_i32 s20, s25, s20
	s_add_u32 s7, s7, s20
	s_mul_hi_u32 s23, s25, s3
	s_addc_u32 s1, s1, s26
	s_addc_u32 s7, s23, 0
	s_mul_i32 s3, s25, s3
	s_add_u32 s1, s1, s3
	s_addc_u32 s3, 0, s7
	s_mul_i32 s3, s22, s3
	s_mul_hi_u32 s23, s22, s1
	s_add_i32 s23, s23, s3
	s_mul_i32 s3, s22, s1
	v_mov_b32_e32 v0, s3
	s_add_u32 s7, s1, 1
	s_add_u32 s20, s1, 2
	v_sub_co_u32_e32 v0, vcc, s24, v0
	s_cmp_lg_u64 vcc, 0
	s_subb_u32 s3, s25, s23
	v_subrev_co_u32_e32 v1, vcc, s22, v0
	s_cmp_lg_u64 vcc, 0
	s_subb_u32 s23, s3, 0
	v_cmp_le_u32_e32 vcc, s22, v1
	s_cmp_eq_u32 s23, 0
	v_mov_b32_e32 v13, s7
	v_cndmask_b32_e64 v1, 0, -1, vcc
	s_cselect_b64 vcc, -1, 0
	v_cndmask_b32_e32 v1, -1, v1, vcc
	v_mov_b32_e32 v14, s20
	v_cmp_ne_u32_e32 vcc, 0, v1
	s_cmp_eq_u32 s3, 0
	s_nop 0
	v_cndmask_b32_e32 v1, v13, v14, vcc
	v_cmp_le_u32_e32 vcc, s22, v0
	v_mov_b32_e32 v13, s1
	s_nop 0
	v_cndmask_b32_e64 v0, 0, -1, vcc
	s_cselect_b64 vcc, -1, 0
	v_cndmask_b32_e32 v0, -1, v0, vcc
	v_cmp_ne_u32_e32 vcc, 0, v0
	s_nop 1
	v_cndmask_b32_e32 v0, v13, v1, vcc
	v_xor_b32_e32 v0, s0, v0
	v_subrev_co_u32_e32 v0, vcc, s0, v0
	s_cbranch_execnz .LBB23_11
.LBB23_10:
	s_sub_i32 s0, 0, s22
	v_mul_lo_u32 v0, s0, v11
	v_mul_hi_u32 v0, v11, v0
	v_add_u32_e32 v0, v11, v0
	v_mul_hi_u32 v0, s2, v0
	v_mul_lo_u32 v13, v0, s22
	v_sub_u32_e32 v13, s2, v13
	v_add_u32_e32 v1, 1, v0
	v_subrev_u32_e32 v14, s22, v13
	v_cmp_le_u32_e32 vcc, s22, v13
	s_nop 1
	v_cndmask_b32_e32 v13, v13, v14, vcc
	v_cndmask_b32_e32 v0, v0, v1, vcc
	v_add_u32_e32 v1, 1, v0
	v_cmp_le_u32_e32 vcc, s22, v13
	s_nop 1
	v_cndmask_b32_e32 v0, v0, v1, vcc
.LBB23_11:
	v_cmp_ne_u32_e32 vcc, v8, v0
	s_cbranch_vccz .LBB23_14
; %bb.12:
	s_add_i32 s0, s12, s22
	s_lshl_b32 s0, s0, 5
	v_mul_hi_u32 v1, v0, s16
	s_add_i32 s0, s0, s21
	s_mov_b32 s1, s6
	v_add_u32_e32 v1, v1, v0
	s_lshl_b64 s[0:1], s[0:1], 3
	v_lshrrev_b32_e32 v1, s17, v1
	s_add_u32 s2, s10, s0
	v_mul_lo_u32 v13, v1, s18
	s_addc_u32 s3, s11, s1
	v_cmp_eq_u32_e32 vcc, v13, v0
	v_cmp_gt_u32_e64 s[0:1], s19, v1
	s_or_b64 s[0:1], s[0:1], vcc
	s_and_b64 vcc, exec, s[0:1]
	s_cbranch_vccnz .LBB23_16
; %bb.13:
	s_add_i32 s7, s12, -1
	s_mov_b64 s[0:1], 0
	s_branch .LBB23_17
.LBB23_14:
                                        ; implicit-def: $sgpr0_sgpr1
                                        ; implicit-def: $vgpr14
                                        ; implicit-def: $vgpr1
                                        ; implicit-def: $vgpr13
                                        ; implicit-def: $sgpr7
                                        ; implicit-def: $vgpr0
	s_branch .LBB23_18
.LBB23_15:
                                        ; implicit-def: $vgpr0_vgpr1
	s_branch .LBB23_10
.LBB23_16:
	s_mov_b64 s[0:1], -1
	s_mov_b32 s7, s12
	v_mov_b32_e32 v0, v8
.LBB23_17:
	s_mul_i32 s20, s12, 0xe00
	v_add_u32_e32 v14, s20, v4
	v_ashrrev_i32_e32 v15, 31, v14
	v_lshl_add_u64 v[14:15], v[14:15], 2, s[4:5]
	global_load_dword v14, v[14:15], off
	s_load_dwordx2 s[2:3], s[2:3], 0x0
	v_max_f32_e32 v1, v7, v7
	s_waitcnt lgkmcnt(0)
	v_max_f32_e64 v13, s2, s2
	v_max_f32_e32 v1, v1, v13
	v_sub_f32_e32 v13, v7, v1
	v_sub_f32_e32 v15, s2, v1
	v_mul_f32_e32 v16, 0x3fb8aa3b, v13
	v_mul_f32_e32 v17, 0x3fb8aa3b, v15
	v_fma_f32 v18, v13, s8, -v16
	v_rndne_f32_e32 v19, v16
	v_fma_f32 v20, v15, s8, -v17
	v_rndne_f32_e32 v21, v17
	v_fmac_f32_e32 v18, 0x32a5705f, v13
	v_sub_f32_e32 v16, v16, v19
	v_fmac_f32_e32 v20, 0x32a5705f, v15
	v_sub_f32_e32 v17, v17, v21
	v_add_f32_e32 v16, v16, v18
	v_cvt_i32_f32_e32 v19, v19
	v_add_f32_e32 v17, v17, v20
	v_exp_f32_e32 v16, v16
	v_cvt_i32_f32_e32 v21, v21
	v_exp_f32_e32 v17, v17
	v_cmp_ngt_f32_e32 vcc, s9, v13
	v_ldexp_f32 v16, v16, v19
	v_ldexp_f32 v17, v17, v21
	v_cndmask_b32_e32 v16, 0, v16, vcc
	v_cmp_ngt_f32_e32 vcc, s9, v15
	s_nop 1
	v_cndmask_b32_e32 v17, 0, v17, vcc
	v_cmp_nlt_f32_e32 vcc, s13, v13
	s_nop 1
	v_cndmask_b32_e32 v16, v12, v16, vcc
	v_cmp_nlt_f32_e32 vcc, s13, v15
	s_nop 1
	v_cndmask_b32_e32 v17, v12, v17, vcc
	v_cmp_le_f32_e32 vcc, s14, v13
	s_nop 1
	v_cndmask_b32_e32 v16, 0, v16, vcc
	v_cmp_le_f32_e32 vcc, s14, v15
	s_nop 1
	v_cndmask_b32_e32 v15, 0, v17, vcc
	v_mul_f32_e32 v13, s3, v15
	v_fmac_f32_e32 v13, v6, v16
	s_waitcnt vmcnt(0)
	v_mul_f32_e32 v14, v14, v15
	v_fmac_f32_e32 v14, v5, v16
	s_cbranch_execnz .LBB23_19
.LBB23_18:
	s_add_i32 s7, s12, -1
	s_mov_b64 s[0:1], 0
	v_mov_b32_e32 v0, v8
	v_mov_b32_e32 v13, v6
	;; [unrolled: 1-line block ×3, first 2 shown]
	s_waitcnt vmcnt(0)
	v_mov_b32_e32 v14, v5
.LBB23_19:
	s_andn2_b64 vcc, exec, s[0:1]
	s_cbranch_vccz .LBB23_23
; %bb.20:
	v_mov_b32_e32 v8, v0
	s_mov_b32 s12, s7
	v_mov_b32_e32 v6, v13
	v_mov_b32_e32 v7, v1
	s_waitcnt vmcnt(0)
	v_mov_b32_e32 v5, v14
	s_mul_hi_i32 s7, s12, s15
	s_cmp_lg_u64 s[6:7], 0
	s_mul_i32 s2, s12, s15
	s_cbranch_scc1 .LBB23_9
	s_branch .LBB23_15
.LBB23_21:
                                        ; implicit-def: $sgpr20_sgpr21
	s_load_dwordx4 s[16:19], s[0:1], 0x44
	s_branch .LBB23_2
.LBB23_22:
                                        ; implicit-def: $vgpr2_vgpr3
	s_branch .LBB23_5
.LBB23_23:
	v_div_scale_f32 v0, s[0:1], v13, v13, v14
	v_rcp_f32_e32 v1, v0
	v_div_scale_f32 v4, vcc, v14, v13, v14
	s_waitcnt vmcnt(0)
	v_fma_f32 v5, -v0, v1, 1.0
	v_fmac_f32_e32 v1, v5, v1
	v_mul_f32_e32 v5, v4, v1
	v_fma_f32 v6, -v0, v5, v4
	v_fmac_f32_e32 v5, v6, v1
	v_fma_f32 v0, -v0, v5, v4
	v_div_fmas_f32 v0, v0, v1, v5
	v_div_fixup_f32 v0, v0, v13, v14
	global_store_dword v[2:3], v0, off
.LBB23_24:
	s_endpgm
	.section	.rodata,"a",@progbits
	.p2align	6, 0x0
	.amdhsa_kernel _ZL33flash_attn_stream_k_fixup_generalILi112ELi8ELi4EEvPfPK15HIP_vector_typeIfLj2EEiiiiS1_IjLj3EES5_S5_S5_
		.amdhsa_group_segment_fixed_size 0
		.amdhsa_private_segment_fixed_size 0
		.amdhsa_kernarg_size 336
		.amdhsa_user_sgpr_count 2
		.amdhsa_user_sgpr_dispatch_ptr 0
		.amdhsa_user_sgpr_queue_ptr 0
		.amdhsa_user_sgpr_kernarg_segment_ptr 1
		.amdhsa_user_sgpr_dispatch_id 0
		.amdhsa_user_sgpr_kernarg_preload_length 0
		.amdhsa_user_sgpr_kernarg_preload_offset 0
		.amdhsa_user_sgpr_private_segment_size 0
		.amdhsa_uses_dynamic_stack 0
		.amdhsa_enable_private_segment 0
		.amdhsa_system_sgpr_workgroup_id_x 1
		.amdhsa_system_sgpr_workgroup_id_y 1
		.amdhsa_system_sgpr_workgroup_id_z 1
		.amdhsa_system_sgpr_workgroup_info 0
		.amdhsa_system_vgpr_workitem_id 0
		.amdhsa_next_free_vgpr 22
		.amdhsa_next_free_sgpr 32
		.amdhsa_accum_offset 24
		.amdhsa_reserve_vcc 1
		.amdhsa_float_round_mode_32 0
		.amdhsa_float_round_mode_16_64 0
		.amdhsa_float_denorm_mode_32 3
		.amdhsa_float_denorm_mode_16_64 3
		.amdhsa_dx10_clamp 1
		.amdhsa_ieee_mode 1
		.amdhsa_fp16_overflow 0
		.amdhsa_tg_split 0
		.amdhsa_exception_fp_ieee_invalid_op 0
		.amdhsa_exception_fp_denorm_src 0
		.amdhsa_exception_fp_ieee_div_zero 0
		.amdhsa_exception_fp_ieee_overflow 0
		.amdhsa_exception_fp_ieee_underflow 0
		.amdhsa_exception_fp_ieee_inexact 0
		.amdhsa_exception_int_div_zero 0
	.end_amdhsa_kernel
	.section	.text._ZL33flash_attn_stream_k_fixup_generalILi112ELi8ELi4EEvPfPK15HIP_vector_typeIfLj2EEiiiiS1_IjLj3EES5_S5_S5_,"axG",@progbits,_ZL33flash_attn_stream_k_fixup_generalILi112ELi8ELi4EEvPfPK15HIP_vector_typeIfLj2EEiiiiS1_IjLj3EES5_S5_S5_,comdat
.Lfunc_end23:
	.size	_ZL33flash_attn_stream_k_fixup_generalILi112ELi8ELi4EEvPfPK15HIP_vector_typeIfLj2EEiiiiS1_IjLj3EES5_S5_S5_, .Lfunc_end23-_ZL33flash_attn_stream_k_fixup_generalILi112ELi8ELi4EEvPfPK15HIP_vector_typeIfLj2EEiiiiS1_IjLj3EES5_S5_S5_
                                        ; -- End function
	.section	.AMDGPU.csdata,"",@progbits
; Kernel info:
; codeLenInByte = 2868
; NumSgprs: 38
; NumVgprs: 22
; NumAgprs: 0
; TotalNumVgprs: 22
; ScratchSize: 0
; MemoryBound: 0
; FloatMode: 240
; IeeeMode: 1
; LDSByteSize: 0 bytes/workgroup (compile time only)
; SGPRBlocks: 4
; VGPRBlocks: 2
; NumSGPRsForWavesPerEU: 38
; NumVGPRsForWavesPerEU: 22
; AccumOffset: 24
; Occupancy: 8
; WaveLimiterHint : 0
; COMPUTE_PGM_RSRC2:SCRATCH_EN: 0
; COMPUTE_PGM_RSRC2:USER_SGPR: 2
; COMPUTE_PGM_RSRC2:TRAP_HANDLER: 0
; COMPUTE_PGM_RSRC2:TGID_X_EN: 1
; COMPUTE_PGM_RSRC2:TGID_Y_EN: 1
; COMPUTE_PGM_RSRC2:TGID_Z_EN: 1
; COMPUTE_PGM_RSRC2:TIDIG_COMP_CNT: 0
; COMPUTE_PGM_RSRC3_GFX90A:ACCUM_OFFSET: 5
; COMPUTE_PGM_RSRC3_GFX90A:TG_SPLIT: 0
	.section	.text._ZL15flash_attn_tileILi112ELi112ELi4ELi4ELb0EEvPKcS1_S1_S1_S1_PKiPfP15HIP_vector_typeIfLj2EEffffjfiS5_IjLj3EEiiiiiiiiiiiliiliiiiil,"axG",@progbits,_ZL15flash_attn_tileILi112ELi112ELi4ELi4ELb0EEvPKcS1_S1_S1_S1_PKiPfP15HIP_vector_typeIfLj2EEffffjfiS5_IjLj3EEiiiiiiiiiiiliiliiiiil,comdat
	.globl	_ZL15flash_attn_tileILi112ELi112ELi4ELi4ELb0EEvPKcS1_S1_S1_S1_PKiPfP15HIP_vector_typeIfLj2EEffffjfiS5_IjLj3EEiiiiiiiiiiiliiliiiiil ; -- Begin function _ZL15flash_attn_tileILi112ELi112ELi4ELi4ELb0EEvPKcS1_S1_S1_S1_PKiPfP15HIP_vector_typeIfLj2EEffffjfiS5_IjLj3EEiiiiiiiiiiiliiliiiiil
	.p2align	8
	.type	_ZL15flash_attn_tileILi112ELi112ELi4ELi4ELb0EEvPKcS1_S1_S1_S1_PKiPfP15HIP_vector_typeIfLj2EEffffjfiS5_IjLj3EEiiiiiiiiiiiliiliiiiil,@function
_ZL15flash_attn_tileILi112ELi112ELi4ELi4ELb0EEvPKcS1_S1_S1_S1_PKiPfP15HIP_vector_typeIfLj2EEffffjfiS5_IjLj3EEiiiiiiiiiiiliiliiiiil: ; @_ZL15flash_attn_tileILi112ELi112ELi4ELi4ELb0EEvPKcS1_S1_S1_S1_PKiPfP15HIP_vector_typeIfLj2EEffffjfiS5_IjLj3EEiiiiiiiiiiiliiliiiiil
; %bb.0:
	s_load_dwordx4 s[36:39], s[0:1], 0x5c
	s_load_dwordx2 s[34:35], s[0:1], 0x80
	s_load_dwordx16 s[16:31], s[0:1], 0x0
	s_mov_b64 s[40:41], 0
	s_waitcnt lgkmcnt(0)
	s_ashr_i32 s5, s39, 31
	s_lshr_b32 s5, s5, 30
	s_add_i32 s5, s39, s5
	s_ashr_i32 s5, s5, 2
	v_cvt_f32_u32_e32 v1, s5
	s_sub_i32 s6, 0, s5
	v_rcp_iflag_f32_e32 v1, v1
	s_nop 0
	v_mul_f32_e32 v1, 0x4f7ffffe, v1
	v_cvt_u32_f32_e32 v1, v1
	s_nop 0
	v_readfirstlane_b32 s7, v1
	s_mul_i32 s6, s6, s7
	s_mul_hi_u32 s6, s7, s6
	s_add_i32 s7, s7, s6
	s_mul_hi_u32 s6, s4, s7
	s_mul_i32 s7, s6, s5
	s_sub_i32 s7, s4, s7
	s_add_i32 s8, s6, 1
	s_sub_i32 s9, s7, s5
	s_cmp_ge_u32 s7, s5
	s_cselect_b32 s6, s8, s6
	s_cselect_b32 s7, s9, s7
	s_add_i32 s8, s6, 1
	s_cmp_ge_u32 s7, s5
	s_cselect_b32 s33, s8, s6
	s_abs_i32 s5, s35
	v_cvt_f32_u32_e32 v1, s5
	s_sub_i32 s8, 0, s5
	s_abs_i32 s7, s39
	s_lshl_b32 s6, s4, 2
	v_rcp_iflag_f32_e32 v1, v1
	s_xor_b32 s4, s39, s35
	s_ashr_i32 s4, s4, 31
	v_mul_f32_e32 v1, 0x4f7ffffe, v1
	v_cvt_u32_f32_e32 v1, v1
	s_nop 0
	v_readfirstlane_b32 s9, v1
	s_mul_i32 s8, s8, s9
	s_mul_hi_u32 s8, s9, s8
	s_add_i32 s9, s9, s8
	s_mul_hi_u32 s8, s7, s9
	s_mul_i32 s9, s8, s5
	s_sub_i32 s7, s7, s9
	s_add_i32 s10, s8, 1
	s_sub_i32 s9, s7, s5
	s_cmp_ge_u32 s7, s5
	s_cselect_b32 s8, s10, s8
	s_cselect_b32 s7, s9, s7
	s_add_i32 s9, s8, 1
	s_cmp_ge_u32 s7, s5
	s_cselect_b32 s5, s9, s8
	s_xor_b32 s5, s5, s4
	s_sub_i32 s11, s5, s4
	s_abs_i32 s10, s11
	v_cvt_f32_u32_e32 v1, s10
	s_load_dwordx2 s[4:5], s[0:1], 0xb8
	s_mul_i32 s7, s33, s39
	s_cmp_eq_u64 s[22:23], 0
	v_rcp_iflag_f32_e32 v1, v1
	s_nop 0
	v_mul_f32_e32 v1, 0x4f7ffffe, v1
	v_cvt_u32_f32_e32 v1, v1
	s_nop 0
	v_readfirstlane_b32 s12, v1
	s_cbranch_scc1 .LBB24_2
; %bb.1:
	s_waitcnt lgkmcnt(0)
	s_abs_i32 s4, s4
	v_cvt_f32_u32_e32 v1, s4
	s_sub_i32 s15, 0, s4
	s_abs_i32 s14, s33
	s_ashr_i32 s13, s33, 31
	v_rcp_iflag_f32_e32 v1, v1
	s_load_dwordx2 s[8:9], s[0:1], 0xc8
	v_mul_f32_e32 v1, 0x4f7ffffe, v1
	v_cvt_u32_f32_e32 v1, v1
	s_nop 0
	v_readfirstlane_b32 s35, v1
	s_mul_i32 s15, s15, s35
	s_mul_hi_u32 s15, s35, s15
	s_add_i32 s35, s35, s15
	s_mul_hi_u32 s15, s14, s35
	s_mul_i32 s15, s15, s4
	s_sub_i32 s14, s14, s15
	s_sub_i32 s15, s14, s4
	s_cmp_ge_u32 s14, s4
	s_cselect_b32 s14, s15, s14
	s_sub_i32 s15, s14, s4
	s_cmp_ge_u32 s14, s4
	s_cselect_b32 s4, s15, s14
	s_xor_b32 s4, s4, s13
	s_sub_i32 s4, s4, s13
	s_ashr_i32 s13, s4, 31
	s_waitcnt lgkmcnt(0)
	s_mul_i32 s9, s4, s9
	s_mul_hi_u32 s14, s4, s8
	s_add_i32 s9, s14, s9
	s_mul_i32 s13, s13, s8
	s_add_i32 s9, s9, s13
	s_mul_i32 s4, s4, s8
	s_add_u32 s40, s22, s4
	s_addc_u32 s41, s23, s9
.LBB24_2:
	v_bfe_u32 v1, v0, 10, 10
	v_and_b32_e32 v50, 0x3ff, v0
	v_lshrrev_b32_e32 v0, 1, v1
	v_lshl_add_u32 v49, s2, 2, v0
	v_mul_hi_u32 v0, s36, v49
	v_add_u32_e32 v0, v49, v0
	v_lshrrev_b32_e32 v0, s37, v0
	v_lshlrev_b32_e32 v3, 1, v1
	v_mul_lo_u32 v0, v0, s38
	s_sub_i32 s35, s6, s7
	v_cmp_gt_u32_e64 s[22:23], 28, v50
	v_sub_u32_e32 v2, v49, v0
	v_lshlrev_b32_e32 v48, 2, v50
	v_lshlrev_b32_e32 v0, 1, v50
	v_and_b32_e32 v51, 2, v3
	s_and_saveexec_b64 s[6:7], s[22:23]
	s_cbranch_execz .LBB24_4
; %bb.3:
	s_load_dwordx4 s[44:47], s[0:1], 0x70
	v_or_b32_e32 v3, 1, v3
	v_and_b32_e32 v12, 3, v3
	v_mul_u32_u24_e32 v3, 56, v3
	v_add_lshl_u32 v3, v3, v0, 2
	s_waitcnt lgkmcnt(0)
	s_mul_i32 s4, s33, s46
	s_ashr_i32 s9, s4, 31
	s_mul_i32 s8, s35, s45
	s_add_u32 s4, s16, s4
	s_addc_u32 s9, s17, s9
	s_ashr_i32 s13, s8, 31
	s_add_u32 s8, s4, s8
	v_mov_b32_e32 v4, s44
	s_addc_u32 s9, s9, s13
	s_ashr_i32 s4, s44, 31
	v_alignbit_b32 v4, s4, v4, 2
	v_mad_u64_u32 v[4:5], s[14:15], v4, v2, 0
	v_mov_b32_e32 v6, v5
	s_lshr_b32 s4, s4, 2
	v_mad_u64_u32 v[6:7], s[14:15], s4, v2, v[6:7]
	v_mov_b32_e32 v5, v6
	v_lshl_add_u64 v[4:5], v[4:5], 2, s[8:9]
	v_lshlrev_b32_e32 v6, 2, v48
	v_mov_b32_e32 v7, 0
	v_lshl_add_u64 v[8:9], v[4:5], 0, v[6:7]
	s_ashr_i32 s4, s45, 31
	v_mov_b32_e32 v4, s45
	s_lshr_b32 s13, s4, 2
	v_alignbit_b32 v7, s4, v4, 2
	v_mul_lo_u32 v6, s13, v51
	v_mad_u64_u32 v[4:5], s[8:9], v7, v51, 0
	v_mad_u64_u32 v[10:11], s[8:9], v7, v12, 0
	v_or_b32_e32 v5, v5, v6
	v_mov_b32_e32 v6, v11
	v_mad_u64_u32 v[6:7], s[8:9], s13, v12, v[6:7]
	v_lshl_add_u64 v[4:5], v[4:5], 2, v[8:9]
	v_mov_b32_e32 v11, v6
	global_load_dwordx4 v[4:7], v[4:5], off
	v_lshl_add_u64 v[8:9], v[10:11], 2, v[8:9]
	global_load_dwordx4 v[8:11], v[8:9], off
	s_load_dword s4, s[0:1], 0x40
	v_mul_u32_u24_e32 v12, 0x70, v1
	v_add_lshl_u32 v12, v12, v0, 2
	s_waitcnt vmcnt(1) lgkmcnt(0)
	v_pk_mul_f32 v[4:5], v[4:5], s[4:5] op_sel_hi:[1,0]
	v_pk_mul_f32 v[6:7], v[6:7], s[4:5] op_sel_hi:[1,0]
	s_waitcnt vmcnt(0)
	v_pk_mul_f32 v[8:9], v[8:9], s[4:5] op_sel_hi:[1,0]
	v_pk_mul_f32 v[10:11], v[10:11], s[4:5] op_sel_hi:[1,0]
	v_cvt_f16_f32_e32 v13, v5
	v_cvt_f16_f32_e32 v4, v4
	;; [unrolled: 1-line block ×8, first 2 shown]
	v_pack_b32_f16 v5, v6, v5
	v_pack_b32_f16 v4, v4, v13
	;; [unrolled: 1-line block ×4, first 2 shown]
	ds_write_b64 v12, v[4:5] offset:4160
	ds_write_b64 v3, v[6:7] offset:4160
.LBB24_4:
	s_or_b64 exec, exec, s[6:7]
	s_cmp_eq_u64 s[26:27], 0
	s_waitcnt lgkmcnt(0)
	s_barrier
	s_cbranch_scc1 .LBB24_6
; %bb.5:
	s_load_dword s4, s[0:1], 0xd0
	s_mov_b32 s7, 0
	s_waitcnt lgkmcnt(0)
	s_mul_i32 s4, s4, s33
	s_add_i32 s6, s4, s2
	s_lshl_b64 s[6:7], s[6:7], 2
	s_add_u32 s6, s26, s6
	s_addc_u32 s7, s27, s7
	s_load_dword s34, s[6:7], 0x0
.LBB24_6:
	s_lshl_b32 s44, s3, 5
	s_waitcnt lgkmcnt(0)
	s_cmp_lt_i32 s44, s34
	v_mbcnt_lo_u32_b32 v3, -1, 0
	s_cbranch_scc1 .LBB24_8
; %bb.7:
	v_mbcnt_hi_u32_b32 v63, -1, v3
	v_and_b32_e32 v4, 0x60, v63
	s_mov_b32 s6, 0xfeffffff
	s_mov_b32 s2, 0
	v_add_u32_e32 v102, 32, v4
	v_xor_b32_e32 v104, 16, v63
	v_xor_b32_e32 v103, 8, v63
	;; [unrolled: 1-line block ×5, first 2 shown]
	s_mov_b32 s7, s6
	s_mov_b64 s[8:9], 0
	s_branch .LBB24_9
.LBB24_8:
	s_mov_b64 s[8:9], -1
                                        ; implicit-def: $sgpr2
                                        ; implicit-def: $sgpr6_sgpr7
                                        ; implicit-def: $vgpr63
                                        ; implicit-def: $vgpr102
                                        ; implicit-def: $vgpr104
                                        ; implicit-def: $vgpr103
                                        ; implicit-def: $vgpr101
                                        ; implicit-def: $vgpr100
                                        ; implicit-def: $vgpr99
.LBB24_9:
	s_andn2_b64 vcc, exec, s[8:9]
	v_mov_b32_e32 v55, s2
	v_mov_b32_e32 v53, s2
	v_mov_b64_e32 v[80:81], s[6:7]
	v_mov_b32_e32 v69, s2
	v_mov_b32_e32 v54, s2
	;; [unrolled: 1-line block ×4, first 2 shown]
	s_cbranch_vccnz .LBB24_37
; %bb.10:
	s_sub_i32 s2, 0, s10
	s_mul_i32 s2, s2, s12
	s_mul_hi_u32 s2, s12, s2
	s_add_i32 s2, s12, s2
	s_load_dwordx2 s[6:7], s[0:1], 0x8c
	s_load_dwordx4 s[12:15], s[0:1], 0x98
	s_abs_i32 s4, s35
	s_mul_hi_u32 s2, s4, s2
	s_ashr_i32 s16, s35, 31
	s_waitcnt lgkmcnt(0)
	s_ashr_i32 s46, s6, 2
	s_ashr_i32 s45, s14, 2
	;; [unrolled: 1-line block ×4, first 2 shown]
	s_mul_i32 s6, s33, s13
	s_mul_hi_u32 s13, s33, s12
	s_add_i32 s6, s13, s6
	s_mul_i32 s13, s5, s12
	s_ashr_i32 s11, s11, 31
	s_add_i32 s6, s6, s13
	s_mul_i32 s12, s33, s12
	s_add_u32 s12, s18, s12
	s_mul_i32 s13, s2, s10
	s_addc_u32 s6, s19, s6
	s_sub_i32 s4, s4, s13
	s_xor_b32 s11, s16, s11
	s_add_i32 s13, s2, 1
	s_sub_i32 s16, s4, s10
	s_cmp_ge_u32 s4, s10
	s_cselect_b32 s2, s13, s2
	s_cselect_b32 s4, s16, s4
	s_add_i32 s13, s2, 1
	s_cmp_ge_u32 s4, s10
	s_cselect_b32 s2, s13, s2
	s_load_dwordx2 s[8:9], s[0:1], 0xa8
	s_xor_b32 s2, s2, s11
	s_sub_i32 s2, s2, s11
	s_mul_i32 s4, s2, s7
	s_ashr_i32 s7, s4, 31
	s_add_u32 s47, s12, s4
	s_addc_u32 s48, s6, s7
	s_waitcnt lgkmcnt(0)
	s_mul_i32 s4, s33, s9
	s_mul_hi_u32 s6, s33, s8
	s_add_i32 s4, s6, s4
	s_mul_i32 s5, s5, s8
	s_add_i32 s4, s4, s5
	s_mul_i32 s5, s33, s8
	v_lshrrev_b32_e32 v5, 1, v50
	v_mad_u64_u32 v[68:69], s[8:9], v2, s14, v[50:51]
	v_mov_b32_e32 v2, 0x1e40
	v_lshl_add_u32 v5, v1, 4, v5
	v_and_b32_e32 v58, 4, v48
	v_lshl_add_u32 v92, v1, 7, v2
	s_add_u32 s5, s20, s5
	s_mul_i32 s2, s2, s15
	v_lshl_add_u32 v4, v1, 5, v50
	v_lshrrev_b32_e32 v6, 2, v50
	v_lshlrev_b32_e32 v7, 2, v58
	v_lshl_add_u32 v93, v0, 1, v92
	v_lshlrev_b32_e32 v94, 2, v0
	v_mul_u32_u24_e32 v0, 0xe0, v5
	s_addc_u32 s4, s21, s4
	s_ashr_i32 s6, s2, 31
	v_cmp_gt_u32_e32 vcc, 32, v4
	v_lshl_add_u32 v6, v1, 3, v6
	v_mul_lo_u32 v56, s46, v4
	v_lshlrev_b32_e32 v4, 7, v5
	v_and_b32_e32 v62, 12, v48
	v_or_b32_e32 v0, v0, v7
	s_add_u32 s49, s5, s2
	v_or3_b32 v90, v4, v7, 64
	v_lshlrev_b32_e32 v4, 2, v62
	v_lshrrev_b32_e32 v2, 3, v50
	v_add_u32_e32 v95, 0xc0, v0
	v_mul_u32_u24_e32 v0, 0xe0, v6
	s_movk_i32 s14, 0x80
	v_and_b32_e32 v74, 28, v48
	s_addc_u32 s50, s4, s6
	v_mul_u32_u24_e32 v88, 0x1c0, v1
	v_lshl_add_u32 v1, v1, 2, v2
	s_movk_i32 s2, 0xe0
	v_add3_u32 v96, v0, v4, s14
	v_lshlrev_b32_e32 v0, 2, v74
	v_lshlrev_b32_e32 v75, 7, v50
	v_mul_lo_u32 v60, s46, v5
	v_mov_b32_e32 v65, 0
	v_mul_lo_u32 v66, s46, v6
	v_mul_lo_u32 v70, s45, v5
	;; [unrolled: 1-line block ×3, first 2 shown]
	v_mad_u32_u24 v97, v1, s2, v0
	v_mul_lo_u32 v76, s45, v1
	s_add_u32 s26, s0, 0xd0
	v_mov_b32_e32 v0, 0xfeffffff
	v_cmp_gt_u32_e64 s[4:5], 32, v5
	v_cmp_gt_u32_e64 s[6:7], 32, v6
	v_or_b32_e32 v89, 0x60, v75
	v_ashrrev_i32_e32 v57, 31, v56
	v_ashrrev_i32_e32 v61, 31, v60
	v_lshl_or_b32 v91, v6, 7, v4
	v_ashrrev_i32_e32 v67, 31, v66
	v_cmp_gt_u32_e64 s[8:9], 16, v5
	v_cmp_gt_u32_e64 s[10:11], 16, v6
	;; [unrolled: 1-line block ×3, first 2 shown]
	v_ashrrev_i32_e32 v71, 31, v70
	v_ashrrev_i32_e32 v73, 31, v72
	v_ashrrev_i32_e32 v77, 31, v76
	s_addc_u32 s27, s1, 0
	v_mbcnt_hi_u32_b32 v63, -1, v3
	s_mov_b32 s2, 0x40051340
	s_mov_b32 s51, 0x3fb8aa3b
	;; [unrolled: 1-line block ×4, first 2 shown]
	v_mov_b32_e32 v98, 0x7f800000
	v_mov_b32_e32 v59, 0
	;; [unrolled: 1-line block ×8, first 2 shown]
.LBB24_11:                              ; =>This Inner Loop Header: Depth=1
	s_mul_hi_i32 s15, s44, s46
	s_mul_i32 s14, s44, s46
	s_lshl_b64 s[14:15], s[14:15], 2
	s_add_u32 s14, s47, s14
	s_addc_u32 s15, s48, s15
	v_lshl_add_u64 v[6:7], v[56:57], 2, s[14:15]
	s_and_saveexec_b64 s[16:17], vcc
	s_cbranch_execz .LBB24_13
; %bb.12:                               ;   in Loop: Header=BB24_11 Depth=1
	global_load_dwordx4 v[2:5], v[6:7], off offset:96
	s_waitcnt vmcnt(0)
	ds_write_b128 v89, v[2:5]
.LBB24_13:                              ;   in Loop: Header=BB24_11 Depth=1
	s_or_b64 exec, exec, s[16:17]
	v_lshl_add_u64 v[4:5], v[60:61], 2, s[14:15]
	v_lshlrev_b32_e32 v64, 2, v58
	s_and_saveexec_b64 s[16:17], s[4:5]
	s_cbranch_execz .LBB24_15
; %bb.14:                               ;   in Loop: Header=BB24_11 Depth=1
	v_lshl_add_u64 v[2:3], v[4:5], 0, v[64:65]
	global_load_dwordx4 v[8:11], v[2:3], off offset:64
	s_waitcnt vmcnt(0)
	ds_write_b128 v90, v[8:11]
.LBB24_15:                              ;   in Loop: Header=BB24_11 Depth=1
	s_or_b64 exec, exec, s[16:17]
	v_lshl_add_u64 v[8:9], v[66:67], 2, s[14:15]
	v_lshlrev_b32_e32 v78, 2, v62
	s_and_saveexec_b64 s[14:15], s[6:7]
	s_cbranch_execz .LBB24_17
; %bb.16:                               ;   in Loop: Header=BB24_11 Depth=1
	v_mov_b32_e32 v79, v65
	v_lshl_add_u64 v[2:3], v[8:9], 0, v[78:79]
	global_load_dwordx4 v[10:13], v[2:3], off
	s_waitcnt vmcnt(0)
	ds_write_b128 v91, v[10:13]
.LBB24_17:                              ;   in Loop: Header=BB24_11 Depth=1
	s_or_b64 exec, exec, s[14:15]
	s_waitcnt lgkmcnt(0)
	s_barrier
	ds_read_b128 v[10:13], v75
	ds_read_b128 v[14:17], v88 offset:4160
	ds_read_b128 v[18:21], v88 offset:4384
	v_mov_b32_e32 v2, 0
	s_waitcnt lgkmcnt(1)
	;;#ASMSTART
	v_dot2_f32_f16 v2, v10, v14, v2
	;;#ASMEND
	s_nop 0
	;;#ASMSTART
	v_dot2_f32_f16 v2, v11, v15, v2
	;;#ASMEND
	v_mov_b32_e32 v3, 0
	;;#ASMSTART
	v_dot2_f32_f16 v2, v12, v16, v2
	;;#ASMEND
	s_nop 0
	;;#ASMSTART
	v_dot2_f32_f16 v2, v13, v17, v2
	;;#ASMEND
	s_waitcnt lgkmcnt(0)
	;;#ASMSTART
	v_dot2_f32_f16 v3, v10, v18, v3
	;;#ASMEND
	s_nop 0
	;;#ASMSTART
	v_dot2_f32_f16 v3, v11, v19, v3
	;;#ASMEND
	s_nop 0
	;;#ASMSTART
	v_dot2_f32_f16 v3, v12, v20, v3
	;;#ASMEND
	s_nop 0
	;;#ASMSTART
	v_dot2_f32_f16 v3, v13, v21, v3
	;;#ASMEND
	ds_read_b128 v[10:13], v75 offset:16
	ds_read_b128 v[14:17], v88 offset:4176
	ds_read_b128 v[18:21], v88 offset:4400
	s_waitcnt lgkmcnt(1)
	;;#ASMSTART
	v_dot2_f32_f16 v2, v10, v14, v2
	;;#ASMEND
	s_nop 0
	;;#ASMSTART
	v_dot2_f32_f16 v2, v11, v15, v2
	;;#ASMEND
	s_nop 0
	;;#ASMSTART
	v_dot2_f32_f16 v2, v12, v16, v2
	;;#ASMEND
	s_nop 0
	;;#ASMSTART
	v_dot2_f32_f16 v2, v13, v17, v2
	;;#ASMEND
	s_waitcnt lgkmcnt(0)
	;;#ASMSTART
	v_dot2_f32_f16 v3, v10, v18, v3
	;;#ASMEND
	s_nop 0
	;;#ASMSTART
	v_dot2_f32_f16 v3, v11, v19, v3
	;;#ASMEND
	s_nop 0
	;;#ASMSTART
	v_dot2_f32_f16 v3, v12, v20, v3
	;;#ASMEND
	s_nop 0
	;;#ASMSTART
	v_dot2_f32_f16 v3, v13, v21, v3
	;;#ASMEND
	ds_read_b128 v[10:13], v75 offset:32
	ds_read_b128 v[14:17], v88 offset:4192
	ds_read_b128 v[18:21], v88 offset:4416
	s_waitcnt lgkmcnt(1)
	;;#ASMSTART
	v_dot2_f32_f16 v2, v10, v14, v2
	;;#ASMEND
	s_nop 0
	;;#ASMSTART
	v_dot2_f32_f16 v2, v11, v15, v2
	;;#ASMEND
	s_nop 0
	;; [unrolled: 35-line block ×6, first 2 shown]
	;;#ASMSTART
	v_dot2_f32_f16 v2, v12, v16, v2
	;;#ASMEND
	s_nop 0
	;;#ASMSTART
	v_dot2_f32_f16 v2, v13, v17, v2
	;;#ASMEND
	s_waitcnt lgkmcnt(0)
	;;#ASMSTART
	v_dot2_f32_f16 v3, v10, v18, v3
	;;#ASMEND
	s_nop 0
	;;#ASMSTART
	v_dot2_f32_f16 v3, v11, v19, v3
	;;#ASMEND
	s_nop 0
	;;#ASMSTART
	v_dot2_f32_f16 v3, v12, v20, v3
	;;#ASMEND
	s_nop 0
	;;#ASMSTART
	v_dot2_f32_f16 v3, v13, v21, v3
	;;#ASMEND
	s_barrier
	s_and_saveexec_b64 s[14:15], vcc
	s_cbranch_execnz .LBB24_31
; %bb.18:                               ;   in Loop: Header=BB24_11 Depth=1
	s_or_b64 exec, exec, s[14:15]
	s_and_saveexec_b64 s[14:15], s[4:5]
	s_cbranch_execnz .LBB24_32
.LBB24_19:                              ;   in Loop: Header=BB24_11 Depth=1
	s_or_b64 exec, exec, s[14:15]
	s_and_saveexec_b64 s[14:15], s[6:7]
	s_cbranch_execz .LBB24_21
.LBB24_20:                              ;   in Loop: Header=BB24_11 Depth=1
	v_mov_b32_e32 v79, v65
	v_lshl_add_u64 v[4:5], v[8:9], 0, v[78:79]
	global_load_dwordx4 v[4:7], v[4:5], off offset:112
	s_waitcnt vmcnt(0)
	ds_write_b128 v91, v[4:7]
.LBB24_21:                              ;   in Loop: Header=BB24_11 Depth=1
	s_or_b64 exec, exec, s[14:15]
	s_waitcnt lgkmcnt(0)
	s_barrier
	ds_read_b128 v[4:7], v75
	ds_read_b128 v[8:11], v88 offset:4272
	ds_read_b128 v[12:15], v88 offset:4496
	s_waitcnt lgkmcnt(1)
	;;#ASMSTART
	v_dot2_f32_f16 v2, v4, v8, v2
	;;#ASMEND
	s_nop 0
	;;#ASMSTART
	v_dot2_f32_f16 v2, v5, v9, v2
	;;#ASMEND
	v_xor_b32_e32 v104, 16, v63
	;;#ASMSTART
	v_dot2_f32_f16 v2, v6, v10, v2
	;;#ASMEND
	v_xor_b32_e32 v103, 8, v63
	;;#ASMSTART
	v_dot2_f32_f16 v2, v7, v11, v2
	;;#ASMEND
	s_waitcnt lgkmcnt(0)
	;;#ASMSTART
	v_dot2_f32_f16 v3, v4, v12, v3
	;;#ASMEND
	v_xor_b32_e32 v101, 4, v63
	;;#ASMSTART
	v_dot2_f32_f16 v3, v5, v13, v3
	;;#ASMEND
	v_xor_b32_e32 v100, 2, v63
	;; [unrolled: 4-line block ×3, first 2 shown]
	;;#ASMSTART
	v_dot2_f32_f16 v3, v7, v15, v3
	;;#ASMEND
	ds_read_b128 v[4:7], v75 offset:16
	ds_read_b128 v[8:11], v88 offset:4288
	ds_read_b128 v[12:15], v88 offset:4512
	s_waitcnt lgkmcnt(1)
	;;#ASMSTART
	v_dot2_f32_f16 v2, v4, v8, v2
	;;#ASMEND
	s_nop 0
	;;#ASMSTART
	v_dot2_f32_f16 v2, v5, v9, v2
	;;#ASMEND
	s_nop 0
	;;#ASMSTART
	v_dot2_f32_f16 v2, v6, v10, v2
	;;#ASMEND
	s_nop 0
	;;#ASMSTART
	v_dot2_f32_f16 v2, v7, v11, v2
	;;#ASMEND
	s_waitcnt lgkmcnt(0)
	;;#ASMSTART
	v_dot2_f32_f16 v3, v4, v12, v3
	;;#ASMEND
	s_nop 0
	;;#ASMSTART
	v_dot2_f32_f16 v3, v5, v13, v3
	;;#ASMEND
	s_nop 0
	;;#ASMSTART
	v_dot2_f32_f16 v3, v6, v14, v3
	;;#ASMEND
	s_nop 0
	;;#ASMSTART
	v_dot2_f32_f16 v3, v7, v15, v3
	;;#ASMEND
	ds_read_b128 v[4:7], v75 offset:32
	ds_read_b128 v[8:11], v88 offset:4304
	ds_read_b128 v[12:15], v88 offset:4528
	s_waitcnt lgkmcnt(1)
	;;#ASMSTART
	v_dot2_f32_f16 v2, v4, v8, v2
	;;#ASMEND
	s_nop 0
	;;#ASMSTART
	v_dot2_f32_f16 v2, v5, v9, v2
	;;#ASMEND
	s_nop 0
	;;#ASMSTART
	v_dot2_f32_f16 v2, v6, v10, v2
	;;#ASMEND
	s_nop 0
	;;#ASMSTART
	v_dot2_f32_f16 v2, v7, v11, v2
	;;#ASMEND
	s_waitcnt lgkmcnt(0)
	;;#ASMSTART
	v_dot2_f32_f16 v3, v4, v12, v3
	;;#ASMEND
	s_nop 0
	;;#ASMSTART
	v_dot2_f32_f16 v3, v5, v13, v3
	;;#ASMEND
	s_nop 0
	;;#ASMSTART
	v_dot2_f32_f16 v3, v6, v14, v3
	;;#ASMEND
	s_nop 0
	;; [unrolled: 35-line block ×5, first 2 shown]
	;;#ASMSTART
	v_dot2_f32_f16 v3, v7, v15, v3
	;;#ASMEND
	ds_read_b128 v[4:7], v75 offset:96
	ds_read_b128 v[8:11], v88 offset:4368
	;; [unrolled: 1-line block ×3, first 2 shown]
	s_waitcnt lgkmcnt(1)
	;;#ASMSTART
	v_dot2_f32_f16 v2, v4, v8, v2
	;;#ASMEND
	s_nop 0
	;;#ASMSTART
	v_dot2_f32_f16 v2, v5, v9, v2
	;;#ASMEND
	s_nop 0
	;; [unrolled: 4-line block ×3, first 2 shown]
	;;#ASMSTART
	v_dot2_f32_f16 v2, v7, v11, v2
	;;#ASMEND
	s_waitcnt lgkmcnt(0)
	;;#ASMSTART
	v_dot2_f32_f16 v3, v4, v12, v3
	;;#ASMEND
	v_add_u32_e32 v4, s44, v68
	;;#ASMSTART
	v_dot2_f32_f16 v3, v5, v13, v3
	;;#ASMEND
	v_ashrrev_i32_e32 v5, 31, v4
	;;#ASMSTART
	v_dot2_f32_f16 v3, v6, v14, v3
	;;#ASMEND
	v_lshl_add_u64 v[4:5], v[4:5], 1, s[40:41]
	;;#ASMSTART
	v_dot2_f32_f16 v3, v7, v15, v3
	;;#ASMEND
	flat_load_ushort v4, v[4:5]
	v_and_b32_e32 v5, 0x60, v63
	v_add_u32_e32 v102, 32, v5
	v_cmp_lt_i32_e64 s[14:15], v104, v102
	v_max_f32_e32 v6, v1, v1
	v_max_f32_e32 v7, v0, v0
	v_cndmask_b32_e64 v5, v63, v104, s[14:15]
	v_lshlrev_b32_e32 v8, 2, v5
	v_cmp_lt_i32_e64 s[14:15], v103, v102
	s_waitcnt lgkmcnt(0)
	s_barrier
	s_waitcnt vmcnt(0)
	v_cvt_f32_f16_e32 v4, v4
	v_pk_add_f32 v[2:3], v[2:3], v[4:5] op_sel_hi:[1,0]
	s_nop 0
	v_pk_add_f32 v[4:5], v[2:3], s[2:3] op_sel_hi:[1,0]
	s_nop 0
	v_max_f32_e32 v5, v6, v5
	v_max_f32_e32 v4, v7, v4
	ds_bpermute_b32 v6, v8, v5
	ds_bpermute_b32 v7, v8, v4
	v_cndmask_b32_e64 v8, v63, v103, s[14:15]
	v_lshlrev_b32_e32 v8, 2, v8
	v_cmp_lt_i32_e64 s[14:15], v101, v102
	s_waitcnt lgkmcnt(1)
	v_max_f32_e32 v6, v6, v6
	s_waitcnt lgkmcnt(0)
	v_max_f32_e32 v7, v7, v7
	v_max_f32_e32 v5, v5, v6
	v_max_f32_e32 v4, v4, v7
	ds_bpermute_b32 v6, v8, v5
	ds_bpermute_b32 v7, v8, v4
	v_cndmask_b32_e64 v8, v63, v101, s[14:15]
	v_lshlrev_b32_e32 v8, 2, v8
	v_cmp_lt_i32_e64 s[14:15], v100, v102
	s_waitcnt lgkmcnt(1)
	v_max_f32_e32 v6, v6, v6
	s_waitcnt lgkmcnt(0)
	v_max_f32_e32 v7, v7, v7
	;; [unrolled: 11-line block ×3, first 2 shown]
	v_max_f32_e32 v5, v5, v6
	v_max_f32_e32 v4, v4, v7
	ds_bpermute_b32 v6, v8, v5
	ds_bpermute_b32 v7, v8, v4
	v_cndmask_b32_e64 v8, v63, v99, s[14:15]
	v_lshlrev_b32_e32 v8, 2, v8
	s_mul_hi_i32 s15, s44, s45
	s_waitcnt lgkmcnt(1)
	v_max_f32_e32 v6, v6, v6
	s_waitcnt lgkmcnt(0)
	v_max_f32_e32 v7, v7, v7
	v_max_f32_e32 v5, v5, v6
	;; [unrolled: 1-line block ×3, first 2 shown]
	ds_bpermute_b32 v6, v8, v5
	ds_bpermute_b32 v7, v8, v4
	s_mul_i32 s14, s44, s45
	s_lshl_b64 s[16:17], s[14:15], 2
	s_add_u32 s16, s49, s16
	s_waitcnt lgkmcnt(1)
	v_max_f32_e32 v6, v6, v6
	s_waitcnt lgkmcnt(0)
	v_max_f32_e32 v7, v7, v7
	v_max_f32_e32 v81, v5, v6
	;; [unrolled: 1-line block ×3, first 2 shown]
	v_pk_add_f32 v[2:3], v[2:3], v[80:81] neg_lo:[0,1] neg_hi:[0,1]
	s_addc_u32 s17, s50, s17
	v_mul_f32_e32 v4, 0x3fb8aa3b, v3
	v_mul_f32_e32 v5, 0x3fb8aa3b, v2
	v_fma_f32 v6, v3, s51, -v4
	v_rndne_f32_e32 v7, v4
	v_fma_f32 v8, v2, s51, -v5
	v_rndne_f32_e32 v9, v5
	v_fmac_f32_e32 v6, 0x32a5705f, v3
	v_sub_f32_e32 v4, v4, v7
	v_fmac_f32_e32 v8, 0x32a5705f, v2
	v_sub_f32_e32 v5, v5, v9
	v_add_f32_e32 v4, v4, v6
	v_cvt_i32_f32_e32 v7, v7
	v_add_f32_e32 v5, v5, v8
	v_exp_f32_e32 v4, v4
	v_cvt_i32_f32_e32 v9, v9
	v_exp_f32_e32 v5, v5
	v_cmp_ngt_f32_e64 s[14:15], s52, v3
	v_ldexp_f32 v4, v4, v7
	v_ldexp_f32 v5, v5, v9
	v_cndmask_b32_e64 v4, 0, v4, s[14:15]
	v_cmp_ngt_f32_e64 s[14:15], s52, v2
	s_nop 1
	v_cndmask_b32_e64 v5, 0, v5, s[14:15]
	v_cmp_nlt_f32_e64 s[14:15], s53, v3
	s_nop 1
	v_cndmask_b32_e64 v83, v98, v4, s[14:15]
	v_cmp_nlt_f32_e64 s[14:15], s53, v2
	v_cvt_f16_f32_e32 v2, v83
	s_nop 0
	v_cndmask_b32_e64 v82, v98, v5, s[14:15]
	v_cvt_f16_f32_e32 v3, v82
	v_pack_b32_f16 v2, v3, v2
	ds_write_b32 v93, v2
	s_and_saveexec_b64 s[14:15], s[8:9]
	s_cbranch_execnz .LBB24_33
; %bb.22:                               ;   in Loop: Header=BB24_11 Depth=1
	s_or_b64 exec, exec, s[14:15]
	s_and_saveexec_b64 s[14:15], s[10:11]
	s_cbranch_execnz .LBB24_34
.LBB24_23:                              ;   in Loop: Header=BB24_11 Depth=1
	s_or_b64 exec, exec, s[14:15]
	v_lshlrev_b32_e32 v86, 2, v74
	s_and_saveexec_b64 s[14:15], s[12:13]
	s_cbranch_execz .LBB24_25
.LBB24_24:                              ;   in Loop: Header=BB24_11 Depth=1
	v_lshl_add_u64 v[2:3], v[76:77], 2, s[16:17]
	v_mov_b32_e32 v87, v65
	v_lshl_add_u64 v[2:3], v[2:3], 0, v[86:87]
	global_load_dwordx4 v[2:5], v[2:3], off
	s_waitcnt vmcnt(0)
	ds_write_b128 v97, v[2:5]
.LBB24_25:                              ;   in Loop: Header=BB24_11 Depth=1
	s_or_b64 exec, exec, s[14:15]
	v_pk_add_f32 v[84:85], v[0:1], v[80:81] neg_lo:[0,1] neg_hi:[0,1]
	s_waitcnt lgkmcnt(0)
	s_barrier
	ds_read2_b64 v[44:47], v94 offset1:28
	ds_read_b128 v[36:39], v92
	ds_read_b128 v[16:19], v92 offset:16
	ds_read_b128 v[4:7], v92 offset:32
	;; [unrolled: 1-line block ×3, first 2 shown]
	ds_read2_b64 v[40:43], v94 offset0:56 offset1:84
	ds_read2_b64 v[32:35], v94 offset0:112 offset1:140
	ds_read2_b64 v[28:31], v94 offset0:168 offset1:196
	ds_read2_b64 v[24:27], v94 offset0:224 offset1:252
	v_add_u32_e32 v105, 0x800, v94
	ds_read2_b64 v[20:23], v105 offset0:24 offset1:52
	ds_read2_b64 v[12:15], v105 offset0:80 offset1:108
	;; [unrolled: 1-line block ×3, first 2 shown]
	s_or_b32 s36, s44, 16
	s_mul_hi_i32 s37, s36, s45
	s_mul_i32 s36, s36, s45
	s_lshl_b64 s[36:37], s[36:37], 2
	s_add_u32 s36, s49, s36
	v_cmp_ngt_f32_e64 s[18:19], s52, v85
	v_cmp_nlt_f32_e64 s[20:21], s53, v85
	v_cmp_ngt_f32_e64 s[16:17], s52, v84
	v_cmp_nlt_f32_e64 s[14:15], s53, v84
	s_addc_u32 s37, s50, s37
	s_waitcnt lgkmcnt(0)
	s_barrier
	s_and_saveexec_b64 s[42:43], s[8:9]
	s_cbranch_execnz .LBB24_35
; %bb.26:                               ;   in Loop: Header=BB24_11 Depth=1
	s_or_b64 exec, exec, s[42:43]
	s_and_saveexec_b64 s[42:43], s[10:11]
	s_cbranch_execnz .LBB24_36
.LBB24_27:                              ;   in Loop: Header=BB24_11 Depth=1
	s_or_b64 exec, exec, s[42:43]
	s_and_saveexec_b64 s[42:43], s[12:13]
	s_cbranch_execz .LBB24_29
.LBB24_28:                              ;   in Loop: Header=BB24_11 Depth=1
	v_lshl_add_u64 v[78:79], v[76:77], 2, s[36:37]
	v_mov_b32_e32 v87, v65
	v_lshl_add_u64 v[78:79], v[78:79], 0, v[86:87]
	global_load_dwordx4 v[106:109], v[78:79], off
	s_waitcnt vmcnt(0)
	ds_write_b128 v97, v[106:109]
.LBB24_29:                              ;   in Loop: Header=BB24_11 Depth=1
	s_or_b64 exec, exec, s[42:43]
	v_mul_f32_e32 v64, 0x3fb8aa3b, v85
	v_fma_f32 v78, v85, s51, -v64
	v_rndne_f32_e32 v79, v64
	v_fmac_f32_e32 v78, 0x32a5705f, v85
	v_sub_f32_e32 v64, v64, v79
	v_add_f32_e32 v64, v64, v78
	v_cvt_i32_f32_e32 v78, v79
	v_mul_f32_e32 v79, 0x3fb8aa3b, v84
	v_fma_f32 v85, v84, s51, -v79
	v_fmac_f32_e32 v85, 0x32a5705f, v84
	v_rndne_f32_e32 v84, v79
	v_exp_f32_e32 v64, v64
	v_sub_f32_e32 v79, v79, v84
	v_add_f32_e32 v79, v79, v85
	v_exp_f32_e32 v85, v79
	v_cvt_i32_f32_e32 v84, v84
	v_ldexp_f32 v64, v64, v78
	v_cndmask_b32_e64 v64, 0, v64, s[18:19]
	v_cndmask_b32_e64 v79, v98, v64, s[20:21]
	v_ldexp_f32 v64, v85, v84
	v_cndmask_b32_e64 v64, 0, v64, s[16:17]
	v_cvt_f16_f32_e32 v84, v79
	v_cndmask_b32_e64 v78, v98, v64, s[14:15]
	v_cvt_f16_f32_e32 v64, v78
	v_pk_mul_f16 v85, v44, v36 op_sel_hi:[1,0]
	v_pk_mul_f16 v44, v44, v36 op_sel:[0,1]
	v_pk_mul_f16 v59, v84, v59 op_sel_hi:[0,1]
	v_pk_fma_f16 v44, v84, v53, v44 op_sel_hi:[0,1,1]
	v_pk_mul_f16 v53, v45, v36 op_sel_hi:[1,0]
	v_pk_fma_f16 v69, v64, v69, v85 op_sel_hi:[0,1,1]
	v_pk_fma_f16 v52, v64, v52, v53 op_sel_hi:[0,1,1]
	v_pk_fma_f16 v36, v45, v36, v59 op_sel:[0,1,0]
	v_pk_fma_f16 v45, v46, v37, v69 op_sel_hi:[1,0,1]
	v_pk_fma_f16 v44, v46, v37, v44 op_sel:[0,1,0]
	;; [unrolled: 2-line block ×31, first 2 shown]
	s_waitcnt lgkmcnt(0)
	s_barrier
	ds_read2_b64 v[0:3], v94 offset1:28
	ds_read_b128 v[4:7], v92 offset:64
	ds_read_b128 v[8:11], v92 offset:80
	;; [unrolled: 1-line block ×4, first 2 shown]
	v_pk_fma_f32 v[54:55], v[54:55], v[78:79], v[82:83]
	s_waitcnt lgkmcnt(3)
	v_pk_fma_f16 v24, v0, v4, v20 op_sel_hi:[1,0,1]
	v_pk_fma_f16 v0, v0, v4, v21 op_sel:[0,1,0]
	v_pk_fma_f16 v25, v1, v4, v22 op_sel_hi:[1,0,1]
	v_pk_fma_f16 v1, v1, v4, v23 op_sel:[0,1,0]
	ds_read2_b64 v[20:23], v94 offset0:56 offset1:84
	v_pk_fma_f16 v4, v2, v5, v24 op_sel_hi:[1,0,1]
	v_pk_fma_f16 v0, v2, v5, v0 op_sel:[0,1,0]
	v_pk_fma_f16 v2, v3, v5, v25 op_sel_hi:[1,0,1]
	v_pk_fma_f16 v1, v3, v5, v1 op_sel:[0,1,0]
	s_waitcnt lgkmcnt(0)
	v_pk_fma_f16 v4, v20, v6, v4 op_sel_hi:[1,0,1]
	v_pk_fma_f16 v5, v20, v6, v0 op_sel:[0,1,0]
	v_pk_fma_f16 v20, v21, v6, v2 op_sel_hi:[1,0,1]
	v_pk_fma_f16 v6, v21, v6, v1 op_sel:[0,1,0]
	ds_read2_b64 v[0:3], v94 offset0:112 offset1:140
	v_pk_fma_f16 v4, v22, v7, v4 op_sel_hi:[1,0,1]
	v_pk_fma_f16 v5, v22, v7, v5 op_sel:[0,1,0]
	v_pk_fma_f16 v20, v23, v7, v20 op_sel_hi:[1,0,1]
	v_pk_fma_f16 v6, v23, v7, v6 op_sel:[0,1,0]
	;; [unrolled: 10-line block ×6, first 2 shown]
	s_waitcnt lgkmcnt(0)
	v_pk_fma_f16 v8, v0, v16, v8 op_sel_hi:[1,0,1]
	v_pk_fma_f16 v0, v0, v16, v4 op_sel:[0,1,0]
	v_pk_fma_f16 v9, v1, v16, v6 op_sel_hi:[1,0,1]
	v_pk_fma_f16 v1, v1, v16, v5 op_sel:[0,1,0]
	ds_read2_b64 v[4:7], v105 offset0:136 offset1:164
	s_waitcnt lgkmcnt(0)
	s_barrier
	s_load_dword s14, s[26:27], 0x4
	v_pk_fma_f16 v8, v2, v17, v8 op_sel_hi:[1,0,1]
	v_pk_fma_f16 v0, v2, v17, v0 op_sel:[0,1,0]
	v_pk_fma_f16 v2, v3, v17, v9 op_sel_hi:[1,0,1]
	v_pk_fma_f16 v1, v3, v17, v1 op_sel:[0,1,0]
	s_waitcnt lgkmcnt(0)
	s_lshl_b32 s14, s14, 5
	v_pk_fma_f16 v3, v4, v18, v8 op_sel_hi:[1,0,1]
	v_pk_fma_f16 v0, v4, v18, v0 op_sel:[0,1,0]
	v_pk_fma_f16 v2, v5, v18, v2 op_sel_hi:[1,0,1]
	v_pk_fma_f16 v1, v5, v18, v1 op_sel:[0,1,0]
	s_add_i32 s44, s14, s44
	v_pk_fma_f16 v69, v6, v19, v3 op_sel_hi:[1,0,1]
	v_pk_fma_f16 v53, v6, v19, v0 op_sel:[0,1,0]
	v_pk_fma_f16 v52, v7, v19, v2 op_sel_hi:[1,0,1]
	v_pk_fma_f16 v59, v7, v19, v1 op_sel:[0,1,0]
	s_cmp_ge_i32 s44, s34
	s_cbranch_scc1 .LBB24_37
; %bb.30:                               ;   in Loop: Header=BB24_11 Depth=1
	v_mov_b32_e32 v0, v80
	v_mov_b32_e32 v1, v81
	s_branch .LBB24_11
.LBB24_31:                              ;   in Loop: Header=BB24_11 Depth=1
	global_load_dwordx4 v[10:13], v[6:7], off offset:208
	s_waitcnt vmcnt(0)
	ds_write_b128 v89, v[10:13]
	s_or_b64 exec, exec, s[14:15]
	s_and_saveexec_b64 s[14:15], s[4:5]
	s_cbranch_execz .LBB24_19
.LBB24_32:                              ;   in Loop: Header=BB24_11 Depth=1
	v_lshl_add_u64 v[4:5], v[4:5], 0, v[64:65]
	global_load_dwordx4 v[4:7], v[4:5], off offset:176
	s_waitcnt vmcnt(0)
	ds_write_b128 v90, v[4:7]
	s_or_b64 exec, exec, s[14:15]
	s_and_saveexec_b64 s[14:15], s[6:7]
	s_cbranch_execnz .LBB24_20
	s_branch .LBB24_21
.LBB24_33:                              ;   in Loop: Header=BB24_11 Depth=1
	v_lshl_add_u64 v[2:3], v[70:71], 2, s[16:17]
	v_lshl_add_u64 v[2:3], v[2:3], 0, v[64:65]
	global_load_dwordx4 v[2:5], v[2:3], off offset:192
	s_waitcnt vmcnt(0)
	ds_write_b128 v95, v[2:5]
	s_or_b64 exec, exec, s[14:15]
	s_and_saveexec_b64 s[14:15], s[10:11]
	s_cbranch_execz .LBB24_23
.LBB24_34:                              ;   in Loop: Header=BB24_11 Depth=1
	v_lshl_add_u64 v[2:3], v[72:73], 2, s[16:17]
	v_mov_b32_e32 v79, v65
	v_lshl_add_u64 v[2:3], v[2:3], 0, v[78:79]
	global_load_dwordx4 v[2:5], v[2:3], off offset:128
	s_waitcnt vmcnt(0)
	ds_write_b128 v96, v[2:5]
	s_or_b64 exec, exec, s[14:15]
	v_lshlrev_b32_e32 v86, 2, v74
	s_and_saveexec_b64 s[14:15], s[12:13]
	s_cbranch_execnz .LBB24_24
	s_branch .LBB24_25
.LBB24_35:                              ;   in Loop: Header=BB24_11 Depth=1
	v_lshl_add_u64 v[106:107], v[70:71], 2, s[36:37]
	v_lshl_add_u64 v[106:107], v[106:107], 0, v[64:65]
	global_load_dwordx4 v[106:109], v[106:107], off offset:192
	s_waitcnt vmcnt(0)
	ds_write_b128 v95, v[106:109]
	s_or_b64 exec, exec, s[42:43]
	s_and_saveexec_b64 s[42:43], s[10:11]
	s_cbranch_execz .LBB24_27
.LBB24_36:                              ;   in Loop: Header=BB24_11 Depth=1
	v_lshl_add_u64 v[106:107], v[72:73], 2, s[36:37]
	v_mov_b32_e32 v79, v65
	v_lshl_add_u64 v[78:79], v[106:107], 0, v[78:79]
	global_load_dwordx4 v[106:109], v[78:79], off offset:128
	s_waitcnt vmcnt(0)
	ds_write_b128 v96, v[106:109]
	s_or_b64 exec, exec, s[42:43]
	s_and_saveexec_b64 s[42:43], s[12:13]
	s_cbranch_execnz .LBB24_28
	s_branch .LBB24_29
.LBB24_37:
	v_cmp_lt_i32_e32 vcc, v104, v102
	s_cmp_lg_u64 s[24:25], 0
	s_cselect_b64 s[4:5], -1, 0
	v_cndmask_b32_e32 v0, v63, v104, vcc
	v_lshlrev_b32_e32 v1, 2, v0
	ds_bpermute_b32 v0, v1, v54
	ds_bpermute_b32 v1, v1, v55
	v_cmp_lt_i32_e32 vcc, v103, v102
	s_cmp_eq_u32 s3, 0
	s_cselect_b64 s[6:7], -1, 0
	v_cndmask_b32_e32 v2, v63, v103, vcc
	v_lshlrev_b32_e32 v3, 2, v2
	s_waitcnt lgkmcnt(0)
	v_pk_add_f32 v[0:1], v[54:55], v[0:1]
	ds_bpermute_b32 v2, v3, v0
	ds_bpermute_b32 v3, v3, v1
	v_cmp_lt_i32_e32 vcc, v101, v102
	s_and_b64 s[4:5], s[6:7], s[4:5]
	s_waitcnt lgkmcnt(0)
	v_pk_add_f32 v[0:1], v[0:1], v[2:3]
	v_cndmask_b32_e32 v4, v63, v101, vcc
	v_lshlrev_b32_e32 v4, 2, v4
	ds_bpermute_b32 v2, v4, v0
	ds_bpermute_b32 v3, v4, v1
	v_cmp_lt_i32_e32 vcc, v100, v102
	s_waitcnt lgkmcnt(0)
	v_pk_add_f32 v[0:1], v[0:1], v[2:3]
	v_cndmask_b32_e32 v4, v63, v100, vcc
	v_lshlrev_b32_e32 v4, 2, v4
	ds_bpermute_b32 v2, v4, v0
	ds_bpermute_b32 v3, v4, v1
	v_cmp_lt_i32_e32 vcc, v99, v102
	s_waitcnt lgkmcnt(0)
	v_pk_add_f32 v[0:1], v[0:1], v[2:3]
	v_cndmask_b32_e32 v4, v63, v99, vcc
	v_lshlrev_b32_e32 v4, 2, v4
	ds_bpermute_b32 v2, v4, v0
	ds_bpermute_b32 v3, v4, v1
	s_and_b64 vcc, exec, s[4:5]
	s_waitcnt lgkmcnt(0)
	v_pk_add_f32 v[0:1], v[0:1], v[2:3]
	s_cbranch_vccz .LBB24_39
; %bb.38:
	v_add_u32_e32 v2, s35, v51
	v_ashrrev_i32_e32 v3, 31, v2
	v_lshl_add_u64 v[2:3], v[2:3], 2, s[24:25]
	global_load_dwordx2 v[2:3], v[2:3], off
	v_max_f32_e32 v4, v81, v81
	v_max_f32_e32 v6, v80, v80
	s_mov_b32 s2, 0x3fb8aa3b
	s_mov_b32 s4, 0xc2ce8ed0
	;; [unrolled: 1-line block ×3, first 2 shown]
	v_mov_b32_e32 v8, 0x7f800000
	s_waitcnt vmcnt(0)
	v_max_f32_e32 v5, v3, v3
	v_max_f32_e32 v7, v2, v2
	;; [unrolled: 1-line block ×4, first 2 shown]
	v_pk_add_f32 v[6:7], v[80:81], v[4:5] neg_lo:[0,1] neg_hi:[0,1]
	v_pk_add_f32 v[2:3], v[2:3], v[4:5] neg_lo:[0,1] neg_hi:[0,1]
	v_mul_f32_e32 v9, 0x3fb8aa3b, v7
	v_mul_f32_e32 v10, 0x3fb8aa3b, v6
	v_fma_f32 v13, v7, s2, -v9
	v_rndne_f32_e32 v14, v9
	v_mul_f32_e32 v11, 0x3fb8aa3b, v3
	v_fma_f32 v15, v6, s2, -v10
	v_rndne_f32_e32 v16, v10
	v_fmac_f32_e32 v13, 0x32a5705f, v7
	v_sub_f32_e32 v9, v9, v14
	v_mul_f32_e32 v12, 0x3fb8aa3b, v2
	v_fma_f32 v17, v3, s2, -v11
	v_rndne_f32_e32 v18, v11
	v_fmac_f32_e32 v15, 0x32a5705f, v6
	v_sub_f32_e32 v10, v10, v16
	v_add_f32_e32 v9, v9, v13
	v_fma_f32 v19, v2, s2, -v12
	v_rndne_f32_e32 v20, v12
	v_cvt_i32_f32_e32 v14, v14
	v_fmac_f32_e32 v17, 0x32a5705f, v3
	v_sub_f32_e32 v11, v11, v18
	v_add_f32_e32 v10, v10, v15
	v_exp_f32_e32 v9, v9
	v_cvt_i32_f32_e32 v16, v16
	v_fmac_f32_e32 v19, 0x32a5705f, v2
	v_sub_f32_e32 v12, v12, v20
	v_add_f32_e32 v11, v11, v17
	v_exp_f32_e32 v10, v10
	v_cvt_i32_f32_e32 v18, v18
	v_add_f32_e32 v12, v12, v19
	v_exp_f32_e32 v11, v11
	v_cvt_i32_f32_e32 v20, v20
	v_exp_f32_e32 v12, v12
	v_ldexp_f32 v9, v9, v14
	v_cmp_ngt_f32_e32 vcc, s4, v7
	v_ldexp_f32 v10, v10, v16
	v_ldexp_f32 v11, v11, v18
	v_cndmask_b32_e32 v9, 0, v9, vcc
	v_cmp_ngt_f32_e32 vcc, s4, v6
	v_ldexp_f32 v12, v12, v20
	v_mov_b64_e32 v[80:81], v[4:5]
	v_cndmask_b32_e32 v10, 0, v10, vcc
	v_cmp_ngt_f32_e32 vcc, s4, v3
	s_nop 1
	v_cndmask_b32_e32 v11, 0, v11, vcc
	v_cmp_ngt_f32_e32 vcc, s4, v2
	s_nop 1
	v_cndmask_b32_e32 v12, 0, v12, vcc
	v_cmp_nlt_f32_e32 vcc, s5, v7
	s_nop 1
	v_cndmask_b32_e32 v7, v8, v9, vcc
	v_cmp_nlt_f32_e32 vcc, s5, v6
	;; [unrolled: 3-line block ×3, first 2 shown]
	v_cvt_f16_f32_e32 v9, v6
	v_pk_mul_f16 v69, v9, v69 op_sel_hi:[0,1]
	v_cndmask_b32_e32 v3, v8, v11, vcc
	v_cmp_nlt_f32_e32 vcc, s5, v2
	v_pk_mul_f16 v52, v9, v52 op_sel_hi:[0,1]
	s_nop 0
	v_cndmask_b32_e32 v2, v8, v12, vcc
	v_cvt_f16_f32_e32 v8, v7
	v_pk_fma_f32 v[0:1], v[0:1], v[6:7], v[2:3]
	v_pk_mul_f16 v53, v8, v53 op_sel_hi:[0,1]
	v_pk_mul_f16 v59, v8, v59 op_sel_hi:[0,1]
.LBB24_39:
	v_cmp_gt_i32_e32 vcc, s38, v49
	s_and_saveexec_b64 s[4:5], vcc
	s_cbranch_execz .LBB24_49
; %bb.40:
	s_load_dword s2, s[0:1], 0xd4
	v_mov_b32_e32 v4, 1.0
	s_waitcnt lgkmcnt(0)
	s_cmp_lg_u32 s2, 1
	s_cselect_b64 s[4:5], -1, 0
	s_cmp_eq_u32 s2, 1
	s_cselect_b64 s[0:1], -1, 0
	s_and_b64 vcc, exec, s[4:5]
	s_cbranch_vccnz .LBB24_42
; %bb.41:
	v_div_scale_f32 v2, s[6:7], v0, v0, 1.0
	v_rcp_f32_e32 v3, v2
	v_div_scale_f32 v4, vcc, 1.0, v0, 1.0
	v_fma_f32 v5, -v2, v3, 1.0
	v_fmac_f32_e32 v3, v5, v3
	v_mul_f32_e32 v5, v4, v3
	v_fma_f32 v6, -v2, v5, v4
	v_fmac_f32_e32 v5, v6, v3
	v_fma_f32 v2, -v2, v5, v4
	v_div_fmas_f32 v2, v2, v3, v5
	v_div_fixup_f32 v4, v2, v0, 1.0
.LBB24_42:
	s_mul_i32 s33, s33, s38
	v_add_u32_e32 v2, s33, v49
	v_mul_lo_u32 v2, v2, s39
	v_add3_u32 v2, s35, v51, v2
	v_mul_lo_u32 v5, s2, v2
	v_add_u32_e32 v2, s3, v5
	s_and_saveexec_b64 s[6:7], s[22:23]
	s_cbranch_execz .LBB24_44
; %bb.43:
	v_cvt_f32_f16_sdwa v9, v69 dst_sel:DWORD dst_unused:UNUSED_PAD src0_sel:WORD_1
	v_cvt_f32_f16_e32 v8, v69
	v_cvt_f32_f16_sdwa v11, v52 dst_sel:DWORD dst_unused:UNUSED_PAD src0_sel:WORD_1
	v_cvt_f32_f16_e32 v10, v52
	s_movk_i32 s8, 0x70
	v_mad_u64_u32 v[6:7], s[8:9], v2, s8, v[48:49]
	v_mov_b32_e32 v7, 0
	v_lshl_add_u64 v[12:13], v[6:7], 2, s[28:29]
	v_pk_mul_f32 v[6:7], v[4:5], v[8:9] op_sel_hi:[0,1]
	v_pk_mul_f32 v[8:9], v[4:5], v[10:11] op_sel_hi:[0,1]
	global_store_dwordx4 v[12:13], v[6:9], off
.LBB24_44:
	s_or_b64 exec, exec, s[6:7]
	v_cmp_eq_u32_e32 vcc, 0, v50
	s_and_b64 s[4:5], vcc, s[4:5]
	s_and_saveexec_b64 s[6:7], s[4:5]
	s_cbranch_execnz .LBB24_50
; %bb.45:
	s_or_b64 exec, exec, s[6:7]
	s_andn2_b64 vcc, exec, s[0:1]
	v_mov_b32_e32 v0, 1.0
	s_cbranch_vccz .LBB24_51
.LBB24_46:
	s_add_i32 s3, s3, s2
	v_add_u32_e32 v2, s3, v5
	s_and_saveexec_b64 s[0:1], s[22:23]
	s_cbranch_execnz .LBB24_52
.LBB24_47:
	s_or_b64 exec, exec, s[0:1]
	s_and_b64 exec, exec, s[4:5]
	s_cbranch_execz .LBB24_49
.LBB24_48:
	v_ashrrev_i32_e32 v3, 31, v2
	v_lshl_add_u64 v[2:3], v[2:3], 3, s[30:31]
	v_mov_b32_e32 v0, v81
	global_store_dwordx2 v[2:3], v[0:1], off
.LBB24_49:
	s_endpgm
.LBB24_50:
	v_ashrrev_i32_e32 v3, 31, v2
	v_lshl_add_u64 v[2:3], v[2:3], 3, s[30:31]
	v_mov_b32_e32 v6, v80
	v_mov_b32_e32 v7, v0
	global_store_dwordx2 v[2:3], v[6:7], off
	s_or_b64 exec, exec, s[6:7]
	s_andn2_b64 vcc, exec, s[0:1]
	v_mov_b32_e32 v0, 1.0
	s_cbranch_vccnz .LBB24_46
.LBB24_51:
	v_div_scale_f32 v0, s[0:1], v1, v1, 1.0
	v_rcp_f32_e32 v2, v0
	v_div_scale_f32 v3, vcc, 1.0, v1, 1.0
	v_fma_f32 v4, -v0, v2, 1.0
	v_fmac_f32_e32 v2, v4, v2
	v_mul_f32_e32 v4, v3, v2
	v_fma_f32 v6, -v0, v4, v3
	v_fmac_f32_e32 v4, v6, v2
	v_fma_f32 v0, -v0, v4, v3
	v_div_fmas_f32 v0, v0, v2, v4
	v_div_fixup_f32 v0, v0, v1, 1.0
	s_add_i32 s3, s3, s2
	v_add_u32_e32 v2, s3, v5
	s_and_saveexec_b64 s[0:1], s[22:23]
	s_cbranch_execz .LBB24_47
.LBB24_52:
	v_cvt_f32_f16_sdwa v7, v53 dst_sel:DWORD dst_unused:UNUSED_PAD src0_sel:WORD_1
	v_cvt_f32_f16_e32 v6, v53
	v_cvt_f32_f16_sdwa v9, v59 dst_sel:DWORD dst_unused:UNUSED_PAD src0_sel:WORD_1
	v_cvt_f32_f16_e32 v8, v59
	s_movk_i32 s2, 0x70
	v_mad_u64_u32 v[4:5], s[2:3], v2, s2, v[48:49]
	v_mov_b32_e32 v5, 0
	v_lshl_add_u64 v[10:11], v[4:5], 2, s[28:29]
	v_pk_mul_f32 v[4:5], v[0:1], v[6:7] op_sel_hi:[0,1]
	v_pk_mul_f32 v[6:7], v[0:1], v[8:9] op_sel_hi:[0,1]
	global_store_dwordx4 v[10:11], v[4:7], off
	s_or_b64 exec, exec, s[0:1]
	s_and_b64 exec, exec, s[4:5]
	s_cbranch_execnz .LBB24_48
	s_branch .LBB24_49
	.section	.rodata,"a",@progbits
	.p2align	6, 0x0
	.amdhsa_kernel _ZL15flash_attn_tileILi112ELi112ELi4ELi4ELb0EEvPKcS1_S1_S1_S1_PKiPfP15HIP_vector_typeIfLj2EEffffjfiS5_IjLj3EEiiiiiiiiiiiliiliiiiil
		.amdhsa_group_segment_fixed_size 8768
		.amdhsa_private_segment_fixed_size 0
		.amdhsa_kernarg_size 464
		.amdhsa_user_sgpr_count 2
		.amdhsa_user_sgpr_dispatch_ptr 0
		.amdhsa_user_sgpr_queue_ptr 0
		.amdhsa_user_sgpr_kernarg_segment_ptr 1
		.amdhsa_user_sgpr_dispatch_id 0
		.amdhsa_user_sgpr_kernarg_preload_length 0
		.amdhsa_user_sgpr_kernarg_preload_offset 0
		.amdhsa_user_sgpr_private_segment_size 0
		.amdhsa_uses_dynamic_stack 0
		.amdhsa_enable_private_segment 0
		.amdhsa_system_sgpr_workgroup_id_x 1
		.amdhsa_system_sgpr_workgroup_id_y 1
		.amdhsa_system_sgpr_workgroup_id_z 1
		.amdhsa_system_sgpr_workgroup_info 0
		.amdhsa_system_vgpr_workitem_id 1
		.amdhsa_next_free_vgpr 110
		.amdhsa_next_free_sgpr 54
		.amdhsa_accum_offset 112
		.amdhsa_reserve_vcc 1
		.amdhsa_float_round_mode_32 0
		.amdhsa_float_round_mode_16_64 0
		.amdhsa_float_denorm_mode_32 3
		.amdhsa_float_denorm_mode_16_64 3
		.amdhsa_dx10_clamp 1
		.amdhsa_ieee_mode 1
		.amdhsa_fp16_overflow 0
		.amdhsa_tg_split 0
		.amdhsa_exception_fp_ieee_invalid_op 0
		.amdhsa_exception_fp_denorm_src 0
		.amdhsa_exception_fp_ieee_div_zero 0
		.amdhsa_exception_fp_ieee_overflow 0
		.amdhsa_exception_fp_ieee_underflow 0
		.amdhsa_exception_fp_ieee_inexact 0
		.amdhsa_exception_int_div_zero 0
	.end_amdhsa_kernel
	.section	.text._ZL15flash_attn_tileILi112ELi112ELi4ELi4ELb0EEvPKcS1_S1_S1_S1_PKiPfP15HIP_vector_typeIfLj2EEffffjfiS5_IjLj3EEiiiiiiiiiiiliiliiiiil,"axG",@progbits,_ZL15flash_attn_tileILi112ELi112ELi4ELi4ELb0EEvPKcS1_S1_S1_S1_PKiPfP15HIP_vector_typeIfLj2EEffffjfiS5_IjLj3EEiiiiiiiiiiiliiliiiiil,comdat
.Lfunc_end24:
	.size	_ZL15flash_attn_tileILi112ELi112ELi4ELi4ELb0EEvPKcS1_S1_S1_S1_PKiPfP15HIP_vector_typeIfLj2EEffffjfiS5_IjLj3EEiiiiiiiiiiiliiliiiiil, .Lfunc_end24-_ZL15flash_attn_tileILi112ELi112ELi4ELi4ELb0EEvPKcS1_S1_S1_S1_PKiPfP15HIP_vector_typeIfLj2EEffffjfiS5_IjLj3EEiiiiiiiiiiiliiliiiiil
                                        ; -- End function
	.section	.AMDGPU.csdata,"",@progbits
; Kernel info:
; codeLenInByte = 7552
; NumSgprs: 60
; NumVgprs: 110
; NumAgprs: 0
; TotalNumVgprs: 110
; ScratchSize: 0
; MemoryBound: 0
; FloatMode: 240
; IeeeMode: 1
; LDSByteSize: 8768 bytes/workgroup (compile time only)
; SGPRBlocks: 7
; VGPRBlocks: 13
; NumSGPRsForWavesPerEU: 60
; NumVGPRsForWavesPerEU: 110
; AccumOffset: 112
; Occupancy: 4
; WaveLimiterHint : 1
; COMPUTE_PGM_RSRC2:SCRATCH_EN: 0
; COMPUTE_PGM_RSRC2:USER_SGPR: 2
; COMPUTE_PGM_RSRC2:TRAP_HANDLER: 0
; COMPUTE_PGM_RSRC2:TGID_X_EN: 1
; COMPUTE_PGM_RSRC2:TGID_Y_EN: 1
; COMPUTE_PGM_RSRC2:TGID_Z_EN: 1
; COMPUTE_PGM_RSRC2:TIDIG_COMP_CNT: 1
; COMPUTE_PGM_RSRC3_GFX90A:ACCUM_OFFSET: 27
; COMPUTE_PGM_RSRC3_GFX90A:TG_SPLIT: 0
	.section	.text._ZL33flash_attn_stream_k_fixup_uniformILi112ELi4ELi4EEvPfPK15HIP_vector_typeIfLj2EEiiiiiiS1_IjLj3EES5_S5_,"axG",@progbits,_ZL33flash_attn_stream_k_fixup_uniformILi112ELi4ELi4EEvPfPK15HIP_vector_typeIfLj2EEiiiiiiS1_IjLj3EES5_S5_,comdat
	.globl	_ZL33flash_attn_stream_k_fixup_uniformILi112ELi4ELi4EEvPfPK15HIP_vector_typeIfLj2EEiiiiiiS1_IjLj3EES5_S5_ ; -- Begin function _ZL33flash_attn_stream_k_fixup_uniformILi112ELi4ELi4EEvPfPK15HIP_vector_typeIfLj2EEiiiiiiS1_IjLj3EES5_S5_
	.p2align	8
	.type	_ZL33flash_attn_stream_k_fixup_uniformILi112ELi4ELi4EEvPfPK15HIP_vector_typeIfLj2EEiiiiiiS1_IjLj3EES5_S5_,@function
_ZL33flash_attn_stream_k_fixup_uniformILi112ELi4ELi4EEvPfPK15HIP_vector_typeIfLj2EEiiiiiiS1_IjLj3EES5_S5_: ; @_ZL33flash_attn_stream_k_fixup_uniformILi112ELi4ELi4EEvPfPK15HIP_vector_typeIfLj2EEiiiiiiS1_IjLj3EES5_S5_
; %bb.0:
	s_load_dwordx8 s[8:15], s[0:1], 0x1c
	s_load_dwordx2 s[6:7], s[0:1], 0x10
	s_load_dwordx4 s[16:19], s[0:1], 0x3c
	s_waitcnt lgkmcnt(0)
	s_mul_hi_u32 s5, s11, s2
	s_add_i32 s5, s2, s5
	s_lshr_b32 s5, s5, s12
	s_mul_i32 s11, s5, s13
	s_sub_i32 s12, s2, s11
	s_mul_hi_u32 s11, s12, s14
	s_add_i32 s11, s12, s11
	s_lshr_b32 s11, s11, s15
	s_mul_i32 s13, s11, s16
	s_sub_i32 s12, s12, s13
	;; [unrolled: 5-line block ×3, first 2 shown]
	s_lshl_b32 s12, s16, 2
	s_lshl_b32 s17, s13, 2
	s_add_i32 s12, s12, s3
	s_cmp_lt_i32 s12, s6
	s_cselect_b64 s[12:13], -1, 0
	s_add_i32 s17, s17, s4
	s_cmp_lt_i32 s17, s9
	s_cselect_b64 s[14:15], -1, 0
	s_and_b64 s[12:13], s[12:13], s[14:15]
	s_andn2_b64 vcc, exec, s[12:13]
	s_cbranch_vccnz .LBB25_6
; %bb.1:
	s_load_dwordx4 s[12:15], s[0:1], 0x0
	s_mul_i32 s0, s5, s6
	s_mul_i32 s11, s11, s9
	s_add_i32 s0, s0, s3
	s_mul_i32 s0, s0, s7
	s_add_i32 s5, s17, s11
	;; [unrolled: 2-line block ×3, first 2 shown]
	s_mulk_i32 s1, 0x1c0
	s_mulk_i32 s0, 0x70
	s_add_i32 s0, s0, s1
	v_add_u32_e32 v4, s0, v0
	s_waitcnt lgkmcnt(0)
	v_mov_b32_e32 v2, s12
	v_mov_b32_e32 v3, s13
	v_ashrrev_i32_e32 v5, 31, v4
	v_lshl_add_u64 v[2:3], v[4:5], 2, v[2:3]
	global_load_dword v7, v[2:3], off
	s_mul_i32 s5, s2, s10
	s_lshl_b32 s11, s3, 2
	s_add_i32 s9, s5, s10
	s_add_i32 s0, s11, s4
	s_lshl_b32 s1, s9, 4
	s_add_i32 s0, s0, s1
	s_add_i32 s0, s0, -16
	s_ashr_i32 s1, s0, 31
	s_lshl_b64 s[0:1], s[0:1], 3
	s_add_u32 s0, s14, s0
	s_addc_u32 s1, s15, s1
	s_load_dword s12, s[0:1], 0x4
	s_add_i32 s6, s9, -2
	s_cmp_lt_i32 s6, s5
	s_cbranch_scc1 .LBB25_4
; %bb.2:
	s_lshl_b32 s6, s8, 6
	s_ashr_i32 s7, s6, 31
	s_lshl_b64 s[6:7], s[6:7], 2
	s_add_u32 s6, s14, s6
	s_addc_u32 s7, s15, s7
	s_add_i32 s2, s2, 1
	s_load_dword s0, s[0:1], 0x0
	s_mul_i32 s1, s10, s2
	s_lshl_b32 s2, s1, 4
	s_add_i32 s2, s4, s2
	s_mulk_i32 s3, 0x1c0
	s_mulk_i32 s4, 0x70
	s_lshl_b32 s8, s8, 4
	s_mulk_i32 s1, 0x700
	s_add_i32 s3, s4, s3
	s_add_i32 s2, s2, s8
	;; [unrolled: 1-line block ×4, first 2 shown]
	v_add_u32_e32 v0, s3, v0
	s_add_i32 s9, s9, -1
	s_sub_i32 s2, s2, 32
	v_add_u32_e32 v0, 0xfffff200, v0
	s_waitcnt lgkmcnt(0)
	v_mov_b32_e32 v6, s12
	v_mov_b32_e32 v5, s0
	s_mov_b32 s4, 0x3fb8aa3b
	s_mov_b32 s8, 0xc2ce8ed0
	;; [unrolled: 1-line block ×3, first 2 shown]
	v_mov_b32_e32 v4, 0x7f800000
	s_mov_b32 s11, 0xc1a00000
.LBB25_3:                               ; =>This Inner Loop Header: Depth=1
	v_ashrrev_i32_e32 v1, 31, v0
	v_lshl_add_u64 v[8:9], v[0:1], 2, s[6:7]
	global_load_dword v1, v[8:9], off
	s_ashr_i32 s3, s2, 31
	s_lshl_b64 s[0:1], s[2:3], 3
	s_add_u32 s0, s14, s0
	s_addc_u32 s1, s15, s1
	s_load_dwordx2 s[12:13], s[0:1], 0x0
	s_waitcnt vmcnt(1)
	v_mov_b32_e32 v8, v7
	v_max_f32_e32 v7, v5, v5
	v_mov_b32_e32 v9, v6
	s_add_i32 s9, s9, -1
	s_waitcnt lgkmcnt(0)
	v_max_f32_e64 v6, s12, s12
	v_max_f32_e32 v6, v7, v6
	v_sub_f32_e32 v10, s12, v6
	v_sub_f32_e32 v7, v5, v6
	v_mul_f32_e32 v11, 0x3fb8aa3b, v10
	v_mov_b32_e32 v5, v6
	v_mul_f32_e32 v6, 0x3fb8aa3b, v7
	v_fma_f32 v14, v10, s4, -v11
	v_rndne_f32_e32 v15, v11
	v_fma_f32 v12, v7, s4, -v6
	v_rndne_f32_e32 v13, v6
	v_fmac_f32_e32 v14, 0x32a5705f, v10
	v_sub_f32_e32 v11, v11, v15
	v_fmac_f32_e32 v12, 0x32a5705f, v7
	v_sub_f32_e32 v6, v6, v13
	v_add_f32_e32 v11, v11, v14
	v_cvt_i32_f32_e32 v15, v15
	v_add_f32_e32 v6, v6, v12
	v_exp_f32_e32 v11, v11
	v_cvt_i32_f32_e32 v13, v13
	v_exp_f32_e32 v6, v6
	v_cmp_ngt_f32_e32 vcc, s8, v10
	v_ldexp_f32 v11, v11, v15
	v_cmp_ngt_f32_e64 s[0:1], s8, v7
	v_ldexp_f32 v6, v6, v13
	v_cndmask_b32_e32 v11, 0, v11, vcc
	v_cmp_nlt_f32_e32 vcc, s10, v10
	v_cndmask_b32_e64 v6, 0, v6, s[0:1]
	v_cmp_nlt_f32_e64 s[0:1], s10, v7
	v_cndmask_b32_e32 v11, v4, v11, vcc
	v_cmp_le_f32_e32 vcc, s11, v10
	v_cndmask_b32_e64 v6, v4, v6, s[0:1]
	v_cmp_le_f32_e64 s[0:1], s11, v7
	v_cndmask_b32_e32 v7, 0, v11, vcc
	s_add_i32 s2, s2, -16
	v_cndmask_b32_e64 v10, 0, v6, s[0:1]
	v_mul_f32_e32 v6, s13, v7
	v_add_u32_e32 v0, 0xfffff900, v0
	s_cmp_le_i32 s9, s5
	v_fmac_f32_e32 v6, v9, v10
	s_waitcnt vmcnt(0)
	v_mul_f32_e32 v7, v1, v7
	v_fmac_f32_e32 v7, v8, v10
	s_cbranch_scc0 .LBB25_3
	s_branch .LBB25_5
.LBB25_4:
	s_waitcnt lgkmcnt(0)
	v_mov_b32_e32 v6, s12
.LBB25_5:
	s_waitcnt vmcnt(0)
	v_div_scale_f32 v0, s[0:1], v6, v6, v7
	v_rcp_f32_e32 v1, v0
	v_div_scale_f32 v4, vcc, v7, v6, v7
	v_fma_f32 v5, -v0, v1, 1.0
	v_fmac_f32_e32 v1, v5, v1
	v_mul_f32_e32 v5, v4, v1
	v_fma_f32 v8, -v0, v5, v4
	v_fmac_f32_e32 v5, v8, v1
	v_fma_f32 v0, -v0, v5, v4
	v_div_fmas_f32 v0, v0, v1, v5
	v_div_fixup_f32 v0, v0, v6, v7
	global_store_dword v[2:3], v0, off
.LBB25_6:
	s_endpgm
	.section	.rodata,"a",@progbits
	.p2align	6, 0x0
	.amdhsa_kernel _ZL33flash_attn_stream_k_fixup_uniformILi112ELi4ELi4EEvPfPK15HIP_vector_typeIfLj2EEiiiiiiS1_IjLj3EES5_S5_
		.amdhsa_group_segment_fixed_size 0
		.amdhsa_private_segment_fixed_size 0
		.amdhsa_kernarg_size 76
		.amdhsa_user_sgpr_count 2
		.amdhsa_user_sgpr_dispatch_ptr 0
		.amdhsa_user_sgpr_queue_ptr 0
		.amdhsa_user_sgpr_kernarg_segment_ptr 1
		.amdhsa_user_sgpr_dispatch_id 0
		.amdhsa_user_sgpr_kernarg_preload_length 0
		.amdhsa_user_sgpr_kernarg_preload_offset 0
		.amdhsa_user_sgpr_private_segment_size 0
		.amdhsa_uses_dynamic_stack 0
		.amdhsa_enable_private_segment 0
		.amdhsa_system_sgpr_workgroup_id_x 1
		.amdhsa_system_sgpr_workgroup_id_y 1
		.amdhsa_system_sgpr_workgroup_id_z 1
		.amdhsa_system_sgpr_workgroup_info 0
		.amdhsa_system_vgpr_workitem_id 0
		.amdhsa_next_free_vgpr 16
		.amdhsa_next_free_sgpr 20
		.amdhsa_accum_offset 16
		.amdhsa_reserve_vcc 1
		.amdhsa_float_round_mode_32 0
		.amdhsa_float_round_mode_16_64 0
		.amdhsa_float_denorm_mode_32 3
		.amdhsa_float_denorm_mode_16_64 3
		.amdhsa_dx10_clamp 1
		.amdhsa_ieee_mode 1
		.amdhsa_fp16_overflow 0
		.amdhsa_tg_split 0
		.amdhsa_exception_fp_ieee_invalid_op 0
		.amdhsa_exception_fp_denorm_src 0
		.amdhsa_exception_fp_ieee_div_zero 0
		.amdhsa_exception_fp_ieee_overflow 0
		.amdhsa_exception_fp_ieee_underflow 0
		.amdhsa_exception_fp_ieee_inexact 0
		.amdhsa_exception_int_div_zero 0
	.end_amdhsa_kernel
	.section	.text._ZL33flash_attn_stream_k_fixup_uniformILi112ELi4ELi4EEvPfPK15HIP_vector_typeIfLj2EEiiiiiiS1_IjLj3EES5_S5_,"axG",@progbits,_ZL33flash_attn_stream_k_fixup_uniformILi112ELi4ELi4EEvPfPK15HIP_vector_typeIfLj2EEiiiiiiS1_IjLj3EES5_S5_,comdat
.Lfunc_end25:
	.size	_ZL33flash_attn_stream_k_fixup_uniformILi112ELi4ELi4EEvPfPK15HIP_vector_typeIfLj2EEiiiiiiS1_IjLj3EES5_S5_, .Lfunc_end25-_ZL33flash_attn_stream_k_fixup_uniformILi112ELi4ELi4EEvPfPK15HIP_vector_typeIfLj2EEiiiiiiS1_IjLj3EES5_S5_
                                        ; -- End function
	.section	.AMDGPU.csdata,"",@progbits
; Kernel info:
; codeLenInByte = 836
; NumSgprs: 26
; NumVgprs: 16
; NumAgprs: 0
; TotalNumVgprs: 16
; ScratchSize: 0
; MemoryBound: 0
; FloatMode: 240
; IeeeMode: 1
; LDSByteSize: 0 bytes/workgroup (compile time only)
; SGPRBlocks: 3
; VGPRBlocks: 1
; NumSGPRsForWavesPerEU: 26
; NumVGPRsForWavesPerEU: 16
; AccumOffset: 16
; Occupancy: 8
; WaveLimiterHint : 0
; COMPUTE_PGM_RSRC2:SCRATCH_EN: 0
; COMPUTE_PGM_RSRC2:USER_SGPR: 2
; COMPUTE_PGM_RSRC2:TRAP_HANDLER: 0
; COMPUTE_PGM_RSRC2:TGID_X_EN: 1
; COMPUTE_PGM_RSRC2:TGID_Y_EN: 1
; COMPUTE_PGM_RSRC2:TGID_Z_EN: 1
; COMPUTE_PGM_RSRC2:TIDIG_COMP_CNT: 0
; COMPUTE_PGM_RSRC3_GFX90A:ACCUM_OFFSET: 3
; COMPUTE_PGM_RSRC3_GFX90A:TG_SPLIT: 0
	.section	.text._ZL33flash_attn_stream_k_fixup_generalILi112ELi4ELi4EEvPfPK15HIP_vector_typeIfLj2EEiiiiS1_IjLj3EES5_S5_S5_,"axG",@progbits,_ZL33flash_attn_stream_k_fixup_generalILi112ELi4ELi4EEvPfPK15HIP_vector_typeIfLj2EEiiiiS1_IjLj3EES5_S5_S5_,comdat
	.globl	_ZL33flash_attn_stream_k_fixup_generalILi112ELi4ELi4EEvPfPK15HIP_vector_typeIfLj2EEiiiiS1_IjLj3EES5_S5_S5_ ; -- Begin function _ZL33flash_attn_stream_k_fixup_generalILi112ELi4ELi4EEvPfPK15HIP_vector_typeIfLj2EEiiiiS1_IjLj3EES5_S5_S5_
	.p2align	8
	.type	_ZL33flash_attn_stream_k_fixup_generalILi112ELi4ELi4EEvPfPK15HIP_vector_typeIfLj2EEiiiiS1_IjLj3EES5_S5_S5_,@function
_ZL33flash_attn_stream_k_fixup_generalILi112ELi4ELi4EEvPfPK15HIP_vector_typeIfLj2EEiiiiS1_IjLj3EES5_S5_S5_: ; @_ZL33flash_attn_stream_k_fixup_generalILi112ELi4ELi4EEvPfPK15HIP_vector_typeIfLj2EEiiiiS1_IjLj3EES5_S5_S5_
; %bb.0:
	s_load_dwordx4 s[12:15], s[0:1], 0x10
	s_load_dword s22, s[0:1], 0x50
	s_mov_b32 s8, 0
	s_waitcnt lgkmcnt(0)
	s_mul_hi_i32 s9, s15, s2
	s_cmp_lg_u64 s[8:9], 0
	s_mul_i32 s5, s15, s2
	s_cbranch_scc0 .LBB26_21
; %bb.1:
	v_cvt_f32_u32_e32 v1, s22
	v_cvt_f32_ubyte0_e32 v2, 0
	s_sub_u32 s8, 0, s22
	s_subb_u32 s10, 0, 0
	v_fmamk_f32 v1, v2, 0x4f800000, v1
	v_rcp_f32_e32 v1, v1
	s_nop 0
	v_mul_f32_e32 v1, 0x5f7ffffc, v1
	v_mul_f32_e32 v2, 0x2f800000, v1
	v_trunc_f32_e32 v2, v2
	v_fmamk_f32 v1, v2, 0xcf800000, v1
	v_cvt_u32_f32_e32 v2, v2
	v_cvt_u32_f32_e32 v1, v1
	v_readfirstlane_b32 s11, v2
	v_readfirstlane_b32 s16, v1
	s_mul_i32 s17, s8, s11
	s_mul_hi_u32 s19, s8, s16
	s_mul_i32 s18, s10, s16
	s_add_i32 s17, s19, s17
	s_add_i32 s17, s17, s18
	s_mul_i32 s20, s8, s16
	s_mul_hi_u32 s18, s16, s17
	s_mul_i32 s19, s16, s17
	s_mul_hi_u32 s16, s16, s20
	s_add_u32 s16, s16, s19
	s_addc_u32 s18, 0, s18
	s_mul_hi_u32 s21, s11, s20
	s_mul_i32 s20, s11, s20
	s_add_u32 s16, s16, s20
	s_mul_hi_u32 s19, s11, s17
	s_addc_u32 s16, s18, s21
	s_addc_u32 s18, s19, 0
	s_mul_i32 s17, s11, s17
	s_add_u32 s16, s16, s17
	s_addc_u32 s17, 0, s18
	v_add_co_u32_e32 v1, vcc, s16, v1
	s_cmp_lg_u64 vcc, 0
	s_addc_u32 s11, s11, s17
	v_readfirstlane_b32 s17, v1
	s_mul_i32 s16, s8, s11
	s_mul_hi_u32 s18, s8, s17
	s_add_i32 s16, s18, s16
	s_mul_i32 s10, s10, s17
	s_add_i32 s16, s16, s10
	s_mul_i32 s8, s8, s17
	s_mul_hi_u32 s18, s11, s8
	s_mul_i32 s19, s11, s8
	s_mul_i32 s21, s17, s16
	s_mul_hi_u32 s8, s17, s8
	s_mul_hi_u32 s20, s17, s16
	s_add_u32 s8, s8, s21
	s_addc_u32 s17, 0, s20
	s_add_u32 s8, s8, s19
	s_mul_hi_u32 s10, s11, s16
	s_addc_u32 s8, s17, s18
	s_addc_u32 s10, s10, 0
	s_mul_i32 s16, s11, s16
	s_add_u32 s8, s8, s16
	s_addc_u32 s10, 0, s10
	v_add_co_u32_e32 v1, vcc, s8, v1
	s_cmp_lg_u64 vcc, 0
	s_addc_u32 s16, s11, s10
	s_ashr_i32 s10, s9, 31
	s_add_u32 s8, s5, s10
	s_mov_b32 s11, s10
	s_addc_u32 s9, s9, s10
	s_xor_b64 s[8:9], s[8:9], s[10:11]
	v_readfirstlane_b32 s19, v1
	s_mul_i32 s18, s8, s16
	s_mul_hi_u32 s20, s8, s19
	s_mul_hi_u32 s17, s8, s16
	s_add_u32 s18, s20, s18
	s_addc_u32 s17, 0, s17
	s_mul_hi_u32 s21, s9, s19
	s_mul_i32 s19, s9, s19
	s_add_u32 s18, s18, s19
	s_mul_hi_u32 s20, s9, s16
	s_addc_u32 s17, s17, s21
	s_addc_u32 s18, s20, 0
	s_mul_i32 s16, s9, s16
	s_add_u32 s16, s17, s16
	s_addc_u32 s17, 0, s18
	s_add_u32 s18, s16, 1
	s_addc_u32 s19, s17, 0
	s_add_u32 s20, s16, 2
	s_mul_i32 s23, s22, s17
	s_mul_hi_u32 s24, s22, s16
	s_addc_u32 s21, s17, 0
	s_add_i32 s24, s24, s23
	s_mul_i32 s23, s22, s16
	v_mov_b32_e32 v1, s23
	v_sub_co_u32_e32 v1, vcc, s8, v1
	s_cmp_lg_u64 vcc, 0
	s_subb_u32 s8, s9, s24
	v_subrev_co_u32_e32 v2, vcc, s22, v1
	s_cmp_lg_u64 vcc, 0
	s_subb_u32 s9, s8, 0
	v_readfirstlane_b32 s23, v2
	s_cmp_ge_u32 s23, s22
	s_cselect_b32 s23, -1, 0
	s_cmp_eq_u32 s9, 0
	s_cselect_b32 s9, s23, -1
	s_cmp_lg_u32 s9, 0
	s_cselect_b32 s9, s21, s19
	v_readfirstlane_b32 s19, v1
	s_cselect_b32 s18, s20, s18
	s_cmp_ge_u32 s19, s22
	s_cselect_b32 s19, -1, 0
	s_cmp_eq_u32 s8, 0
	s_cselect_b32 s8, s19, -1
	s_cmp_lg_u32 s8, 0
	s_cselect_b32 s9, s9, s17
	s_cselect_b32 s8, s18, s16
	s_xor_b64 s[8:9], s[8:9], s[10:11]
	s_sub_u32 s20, s8, s10
	s_load_dwordx4 s[16:19], s[0:1], 0x44
	s_cbranch_execnz .LBB26_3
.LBB26_2:
	v_cvt_f32_u32_e32 v1, s22
	s_sub_i32 s6, 0, s22
	v_rcp_iflag_f32_e32 v1, v1
	s_nop 0
	v_mul_f32_e32 v1, 0x4f7ffffe, v1
	v_cvt_u32_f32_e32 v1, v1
	s_nop 0
	v_readfirstlane_b32 s7, v1
	s_mul_i32 s6, s6, s7
	s_mul_hi_u32 s6, s7, s6
	s_add_i32 s7, s7, s6
	s_mul_hi_u32 s6, s5, s7
	s_mul_i32 s8, s6, s22
	s_sub_i32 s5, s5, s8
	s_add_i32 s7, s6, 1
	s_sub_i32 s8, s5, s22
	s_cmp_ge_u32 s5, s22
	s_cselect_b32 s6, s7, s6
	s_cselect_b32 s5, s8, s5
	s_add_i32 s7, s6, 1
	s_cmp_ge_u32 s5, s22
	s_cselect_b32 s20, s7, s6
.LBB26_3:
	s_add_i32 s5, s2, 1
	s_mul_hi_i32 s9, s15, s5
	s_mov_b32 s8, 0
	s_cmp_lg_u64 s[8:9], 0
	s_mul_i32 s5, s15, s5
	s_cbranch_scc0 .LBB26_22
; %bb.4:
	v_cvt_f32_u32_e32 v1, s22
	v_cvt_f32_ubyte0_e32 v2, 0
	s_sub_u32 s8, 0, s22
	s_subb_u32 s10, 0, 0
	v_fmamk_f32 v1, v2, 0x4f800000, v1
	v_rcp_f32_e32 v1, v1
	s_nop 0
	v_mul_f32_e32 v1, 0x5f7ffffc, v1
	v_mul_f32_e32 v2, 0x2f800000, v1
	v_trunc_f32_e32 v2, v2
	v_fmamk_f32 v1, v2, 0xcf800000, v1
	v_cvt_u32_f32_e32 v2, v2
	v_cvt_u32_f32_e32 v1, v1
	v_readfirstlane_b32 s11, v2
	s_waitcnt lgkmcnt(0)
	v_readfirstlane_b32 s19, v1
	s_mul_i32 s21, s8, s11
	s_mul_hi_u32 s24, s8, s19
	s_mul_i32 s23, s10, s19
	s_add_i32 s21, s24, s21
	s_add_i32 s21, s21, s23
	s_mul_i32 s25, s8, s19
	s_mul_hi_u32 s23, s19, s21
	s_mul_i32 s24, s19, s21
	s_mul_hi_u32 s19, s19, s25
	s_add_u32 s19, s19, s24
	s_addc_u32 s23, 0, s23
	s_mul_hi_u32 s26, s11, s25
	s_mul_i32 s25, s11, s25
	s_add_u32 s19, s19, s25
	s_mul_hi_u32 s24, s11, s21
	s_addc_u32 s19, s23, s26
	s_addc_u32 s23, s24, 0
	s_mul_i32 s21, s11, s21
	s_add_u32 s19, s19, s21
	s_addc_u32 s21, 0, s23
	v_add_co_u32_e32 v1, vcc, s19, v1
	s_cmp_lg_u64 vcc, 0
	s_addc_u32 s11, s11, s21
	v_readfirstlane_b32 s21, v1
	s_mul_i32 s19, s8, s11
	s_mul_hi_u32 s23, s8, s21
	s_add_i32 s19, s23, s19
	s_mul_i32 s10, s10, s21
	s_add_i32 s19, s19, s10
	s_mul_i32 s8, s8, s21
	s_mul_hi_u32 s23, s11, s8
	s_mul_i32 s24, s11, s8
	s_mul_i32 s26, s21, s19
	s_mul_hi_u32 s8, s21, s8
	s_mul_hi_u32 s25, s21, s19
	s_add_u32 s8, s8, s26
	s_addc_u32 s21, 0, s25
	s_add_u32 s8, s8, s24
	s_mul_hi_u32 s10, s11, s19
	s_addc_u32 s8, s21, s23
	s_addc_u32 s10, s10, 0
	s_mul_i32 s19, s11, s19
	s_add_u32 s8, s8, s19
	s_addc_u32 s10, 0, s10
	v_add_co_u32_e32 v1, vcc, s8, v1
	s_cmp_lg_u64 vcc, 0
	s_addc_u32 s19, s11, s10
	s_ashr_i32 s10, s9, 31
	s_add_u32 s8, s5, s10
	s_mov_b32 s11, s10
	s_addc_u32 s9, s9, s10
	s_xor_b64 s[8:9], s[8:9], s[10:11]
	v_readfirstlane_b32 s23, v1
	s_mul_i32 s21, s8, s19
	s_mul_hi_u32 s24, s8, s23
	s_mul_hi_u32 s11, s8, s19
	s_add_u32 s21, s24, s21
	s_addc_u32 s11, 0, s11
	s_mul_hi_u32 s25, s9, s23
	s_mul_i32 s23, s9, s23
	s_add_u32 s21, s21, s23
	s_mul_hi_u32 s24, s9, s19
	s_addc_u32 s11, s11, s25
	s_addc_u32 s21, s24, 0
	s_mul_i32 s19, s9, s19
	s_add_u32 s11, s11, s19
	s_addc_u32 s19, 0, s21
	s_mul_i32 s19, s22, s19
	s_mul_hi_u32 s24, s22, s11
	s_add_i32 s24, s24, s19
	s_mul_i32 s19, s22, s11
	v_mov_b32_e32 v1, s19
	s_add_u32 s21, s11, 1
	s_add_u32 s23, s11, 2
	v_sub_co_u32_e32 v1, vcc, s8, v1
	s_cmp_lg_u64 vcc, 0
	s_subb_u32 s8, s9, s24
	v_subrev_co_u32_e32 v2, vcc, s22, v1
	s_cmp_lg_u64 vcc, 0
	s_subb_u32 s9, s8, 0
	v_cmp_le_u32_e32 vcc, s22, v2
	s_cmp_eq_u32 s9, 0
	v_mov_b32_e32 v3, s21
	v_cndmask_b32_e64 v2, 0, -1, vcc
	s_cselect_b64 vcc, -1, 0
	v_cndmask_b32_e32 v2, -1, v2, vcc
	v_mov_b32_e32 v4, s23
	v_cmp_ne_u32_e32 vcc, 0, v2
	s_cmp_eq_u32 s8, 0
	s_nop 0
	v_cndmask_b32_e32 v2, v3, v4, vcc
	v_cmp_le_u32_e32 vcc, s22, v1
	v_mov_b32_e32 v3, s11
	s_nop 0
	v_cndmask_b32_e64 v1, 0, -1, vcc
	s_cselect_b64 vcc, -1, 0
	v_cndmask_b32_e32 v1, -1, v1, vcc
	v_cmp_ne_u32_e32 vcc, 0, v1
	s_nop 1
	v_cndmask_b32_e32 v1, v3, v2, vcc
	v_xor_b32_e32 v1, s10, v1
	v_subrev_co_u32_e32 v2, vcc, s10, v1
	s_cbranch_execnz .LBB26_6
.LBB26_5:
	v_cvt_f32_u32_e32 v1, s22
	s_sub_i32 s6, 0, s22
	s_mov_b32 s7, 0
	v_rcp_iflag_f32_e32 v1, v1
	s_nop 0
	v_mul_f32_e32 v1, 0x4f7ffffe, v1
	v_cvt_u32_f32_e32 v1, v1
	s_nop 0
	v_readfirstlane_b32 s8, v1
	s_mul_i32 s6, s6, s8
	s_mul_hi_u32 s6, s8, s6
	s_add_i32 s8, s8, s6
	s_mul_hi_u32 s6, s5, s8
	s_mul_i32 s9, s6, s22
	s_sub_i32 s5, s5, s9
	s_add_i32 s8, s6, 1
	s_sub_i32 s9, s5, s22
	s_cmp_ge_u32 s5, s22
	s_cselect_b32 s6, s8, s6
	s_cselect_b32 s5, s9, s5
	s_add_i32 s8, s6, 1
	s_cmp_ge_u32 s5, s22
	s_cselect_b32 s6, s8, s6
	v_mov_b64_e32 v[2:3], s[6:7]
.LBB26_6:
	s_waitcnt lgkmcnt(0)
	s_mul_hi_u32 s5, s20, s16
	s_add_i32 s5, s5, s20
	v_mul_hi_u32 v1, v2, s16
	s_lshr_b32 s19, s5, s17
	v_add_u32_e32 v1, v1, v2
	s_mul_i32 s5, s19, s18
	v_lshrrev_b32_e32 v1, s17, v1
	s_cmp_eq_u32 s5, s20
	v_cmp_eq_u32_e64 s[6:7], s19, v1
	v_mul_lo_u32 v1, v1, s18
	v_cmp_eq_u32_e32 vcc, s20, v2
	s_cselect_b64 s[10:11], -1, 0
	v_cmp_ne_u32_e64 s[8:9], v1, v2
	s_and_b64 s[6:7], s[6:7], s[8:9]
	s_or_b64 s[8:9], vcc, s[10:11]
	s_or_b64 s[6:7], s[8:9], s[6:7]
	s_and_b64 vcc, exec, s[6:7]
	s_cbranch_vccnz .LBB26_24
; %bb.7:
	s_load_dwordx8 s[24:31], s[0:1], 0x20
	s_load_dword s5, s[0:1], 0x40
	s_waitcnt lgkmcnt(0)
	s_mul_hi_u32 s6, s20, s24
	s_add_i32 s6, s6, s20
	s_lshr_b32 s7, s6, s25
	s_mul_i32 s6, s7, s26
	s_sub_i32 s6, s20, s6
	s_mul_hi_u32 s8, s6, s27
	s_add_i32 s8, s6, s8
	s_lshr_b32 s23, s8, s28
	s_mul_i32 s8, s23, s29
	s_sub_i32 s6, s6, s8
	;; [unrolled: 5-line block ×3, first 2 shown]
	s_mul_hi_u32 s6, s5, s16
	s_add_i32 s5, s5, s6
	s_lshr_b32 s24, s5, s17
	s_lshl_b32 s5, s24, 2
	s_lshl_b32 s25, s8, 2
	s_add_i32 s5, s5, s3
	s_cmp_lt_i32 s5, s12
	s_cselect_b64 s[8:9], -1, 0
	s_add_i32 s25, s25, s4
	s_cmp_lt_i32 s25, s14
	s_cselect_b64 s[10:11], -1, 0
	s_and_b64 s[8:9], s[8:9], s[10:11]
	s_andn2_b64 vcc, exec, s[8:9]
	s_mov_b32 s6, 0
	s_cbranch_vccnz .LBB26_24
; %bb.8:
	s_load_dwordx4 s[8:11], s[0:1], 0x0
	s_lshl_b32 s21, s3, 2
	s_lshl_b32 s0, s22, 6
	s_mov_b32 s1, s6
	s_add_i32 s21, s21, s4
	s_lshl_b64 s[0:1], s[0:1], 2
	s_waitcnt lgkmcnt(0)
	s_add_u32 s4, s10, s0
	s_mul_i32 s0, s7, s12
	s_addc_u32 s5, s11, s1
	s_mul_i32 s23, s23, s14
	s_add_i32 s0, s0, s3
	s_mul_i32 s0, s0, s13
	s_add_i32 s3, s25, s23
	s_mul_i32 s1, s13, s24
	s_add_i32 s0, s3, s0
	s_mulk_i32 s1, 0x1c0
	s_mulk_i32 s0, 0x70
	s_add_i32 s1, s1, s0
	v_add_u32_e32 v4, s1, v0
	v_mov_b32_e32 v2, s8
	v_mov_b32_e32 v3, s9
	v_ashrrev_i32_e32 v5, 31, v4
	v_lshl_add_u64 v[2:3], v[4:5], 2, v[2:3]
	global_load_dword v5, v[2:3], off
	s_lshl_b32 s0, s2, 4
	s_add_i32 s0, s21, s0
	s_ashr_i32 s1, s0, 31
	s_lshl_b64 s[0:1], s[0:1], 3
	s_add_u32 s0, s10, s0
	s_addc_u32 s1, s11, s1
	s_add_i32 s12, s2, -1
	s_mul_i32 s2, s21, 0x70
	v_add_u32_e32 v4, s2, v0
	v_cvt_f32_u32_e32 v0, s22
	v_cvt_f32_ubyte0_e32 v1, 0
	s_load_dwordx2 s[0:1], s[0:1], 0x0
	v_mov_b32_e32 v8, s20
	v_fmac_f32_e32 v0, 0x4f800000, v1
	v_rcp_f32_e32 v0, v0
	v_cvt_f32_u32_e32 v1, s22
	s_waitcnt lgkmcnt(0)
	v_mov_b32_e32 v6, s1
	v_mov_b32_e32 v7, s0
	v_mul_f32_e32 v0, 0x5f7ffffc, v0
	v_rcp_iflag_f32_e32 v1, v1
	v_mul_f32_e32 v9, 0x2f800000, v0
	v_trunc_f32_e32 v10, v9
	v_fmac_f32_e32 v0, 0xcf800000, v10
	v_cvt_u32_f32_e32 v9, v0
	v_mul_f32_e32 v0, 0x4f7ffffe, v1
	v_cvt_u32_f32_e32 v10, v10
	v_cvt_u32_f32_e32 v11, v0
	s_mov_b32 s8, 0x3fb8aa3b
	s_mov_b32 s9, 0xc2ce8ed0
	s_mov_b32 s13, 0x42b17218
	s_mov_b32 s14, 0xc1a00000
	v_mov_b32_e32 v12, 0x7f800000
	s_mul_hi_i32 s7, s12, s15
	s_cmp_lg_u64 s[6:7], 0
	s_mul_i32 s2, s12, s15
	s_cbranch_scc0 .LBB26_15
.LBB26_9:
	s_sub_u32 s0, 0, s22
	v_readfirstlane_b32 s3, v9
	v_readfirstlane_b32 s24, v10
	s_subb_u32 s1, 0, 0
	s_mul_hi_u32 s23, s0, s3
	s_mul_i32 s25, s0, s24
	s_mul_i32 s20, s1, s3
	s_add_i32 s23, s23, s25
	s_add_i32 s23, s23, s20
	s_mul_i32 s26, s0, s3
	s_mul_hi_u32 s20, s3, s23
	s_mul_i32 s25, s3, s23
	s_mul_hi_u32 s3, s3, s26
	s_add_u32 s3, s3, s25
	s_addc_u32 s20, 0, s20
	s_mul_hi_u32 s27, s24, s26
	s_mul_i32 s26, s24, s26
	s_add_u32 s3, s3, s26
	s_mul_hi_u32 s25, s24, s23
	s_addc_u32 s3, s20, s27
	s_addc_u32 s20, s25, 0
	s_mul_i32 s23, s24, s23
	s_add_u32 s3, s3, s23
	s_addc_u32 s20, 0, s20
	v_add_co_u32_e32 v0, vcc, s3, v9
	s_cmp_lg_u64 vcc, 0
	s_addc_u32 s3, s24, s20
	v_readfirstlane_b32 s23, v0
	s_mul_i32 s20, s0, s3
	s_mul_hi_u32 s24, s0, s23
	s_add_i32 s20, s24, s20
	s_mul_i32 s1, s1, s23
	s_add_i32 s20, s20, s1
	s_mul_i32 s0, s0, s23
	s_mul_hi_u32 s24, s3, s0
	s_mul_i32 s25, s3, s0
	s_mul_i32 s27, s23, s20
	s_mul_hi_u32 s0, s23, s0
	s_mul_hi_u32 s26, s23, s20
	s_add_u32 s0, s0, s27
	s_addc_u32 s23, 0, s26
	s_add_u32 s0, s0, s25
	s_mul_hi_u32 s1, s3, s20
	s_addc_u32 s0, s23, s24
	s_addc_u32 s1, s1, 0
	s_mul_i32 s20, s3, s20
	s_add_u32 s0, s0, s20
	s_addc_u32 s1, 0, s1
	v_add_co_u32_e32 v0, vcc, s0, v0
	s_cmp_lg_u64 vcc, 0
	s_addc_u32 s3, s3, s1
	s_ashr_i32 s0, s7, 31
	s_add_u32 s24, s2, s0
	s_mov_b32 s1, s0
	s_addc_u32 s25, s7, s0
	s_xor_b64 s[24:25], s[24:25], s[0:1]
	v_readfirstlane_b32 s20, v0
	s_mul_i32 s7, s24, s3
	s_mul_hi_u32 s23, s24, s20
	s_mul_hi_u32 s1, s24, s3
	s_add_u32 s7, s23, s7
	s_addc_u32 s1, 0, s1
	s_mul_hi_u32 s26, s25, s20
	s_mul_i32 s20, s25, s20
	s_add_u32 s7, s7, s20
	s_mul_hi_u32 s23, s25, s3
	s_addc_u32 s1, s1, s26
	s_addc_u32 s7, s23, 0
	s_mul_i32 s3, s25, s3
	s_add_u32 s1, s1, s3
	s_addc_u32 s3, 0, s7
	s_mul_i32 s3, s22, s3
	s_mul_hi_u32 s23, s22, s1
	s_add_i32 s23, s23, s3
	s_mul_i32 s3, s22, s1
	v_mov_b32_e32 v0, s3
	s_add_u32 s7, s1, 1
	s_add_u32 s20, s1, 2
	v_sub_co_u32_e32 v0, vcc, s24, v0
	s_cmp_lg_u64 vcc, 0
	s_subb_u32 s3, s25, s23
	v_subrev_co_u32_e32 v1, vcc, s22, v0
	s_cmp_lg_u64 vcc, 0
	s_subb_u32 s23, s3, 0
	v_cmp_le_u32_e32 vcc, s22, v1
	s_cmp_eq_u32 s23, 0
	v_mov_b32_e32 v13, s7
	v_cndmask_b32_e64 v1, 0, -1, vcc
	s_cselect_b64 vcc, -1, 0
	v_cndmask_b32_e32 v1, -1, v1, vcc
	v_mov_b32_e32 v14, s20
	v_cmp_ne_u32_e32 vcc, 0, v1
	s_cmp_eq_u32 s3, 0
	s_nop 0
	v_cndmask_b32_e32 v1, v13, v14, vcc
	v_cmp_le_u32_e32 vcc, s22, v0
	v_mov_b32_e32 v13, s1
	s_nop 0
	v_cndmask_b32_e64 v0, 0, -1, vcc
	s_cselect_b64 vcc, -1, 0
	v_cndmask_b32_e32 v0, -1, v0, vcc
	v_cmp_ne_u32_e32 vcc, 0, v0
	s_nop 1
	v_cndmask_b32_e32 v0, v13, v1, vcc
	v_xor_b32_e32 v0, s0, v0
	v_subrev_co_u32_e32 v0, vcc, s0, v0
	s_cbranch_execnz .LBB26_11
.LBB26_10:
	s_sub_i32 s0, 0, s22
	v_mul_lo_u32 v0, s0, v11
	v_mul_hi_u32 v0, v11, v0
	v_add_u32_e32 v0, v11, v0
	v_mul_hi_u32 v0, s2, v0
	v_mul_lo_u32 v13, v0, s22
	v_sub_u32_e32 v13, s2, v13
	v_add_u32_e32 v1, 1, v0
	v_subrev_u32_e32 v14, s22, v13
	v_cmp_le_u32_e32 vcc, s22, v13
	s_nop 1
	v_cndmask_b32_e32 v13, v13, v14, vcc
	v_cndmask_b32_e32 v0, v0, v1, vcc
	v_add_u32_e32 v1, 1, v0
	v_cmp_le_u32_e32 vcc, s22, v13
	s_nop 1
	v_cndmask_b32_e32 v0, v0, v1, vcc
.LBB26_11:
	v_cmp_ne_u32_e32 vcc, v8, v0
	s_cbranch_vccz .LBB26_14
; %bb.12:
	s_add_i32 s0, s12, s22
	s_lshl_b32 s0, s0, 4
	v_mul_hi_u32 v1, v0, s16
	s_add_i32 s0, s0, s21
	s_mov_b32 s1, s6
	v_add_u32_e32 v1, v1, v0
	s_lshl_b64 s[0:1], s[0:1], 3
	v_lshrrev_b32_e32 v1, s17, v1
	s_add_u32 s2, s10, s0
	v_mul_lo_u32 v13, v1, s18
	s_addc_u32 s3, s11, s1
	v_cmp_eq_u32_e32 vcc, v13, v0
	v_cmp_gt_u32_e64 s[0:1], s19, v1
	s_or_b64 s[0:1], s[0:1], vcc
	s_and_b64 vcc, exec, s[0:1]
	s_cbranch_vccnz .LBB26_16
; %bb.13:
	s_add_i32 s7, s12, -1
	s_mov_b64 s[0:1], 0
	s_branch .LBB26_17
.LBB26_14:
                                        ; implicit-def: $sgpr0_sgpr1
                                        ; implicit-def: $vgpr14
                                        ; implicit-def: $vgpr1
                                        ; implicit-def: $vgpr13
                                        ; implicit-def: $sgpr7
                                        ; implicit-def: $vgpr0
	s_branch .LBB26_18
.LBB26_15:
                                        ; implicit-def: $vgpr0_vgpr1
	s_branch .LBB26_10
.LBB26_16:
	s_mov_b64 s[0:1], -1
	s_mov_b32 s7, s12
	v_mov_b32_e32 v0, v8
.LBB26_17:
	s_mul_i32 s20, s12, 0x700
	v_add_u32_e32 v14, s20, v4
	v_ashrrev_i32_e32 v15, 31, v14
	v_lshl_add_u64 v[14:15], v[14:15], 2, s[4:5]
	global_load_dword v14, v[14:15], off
	s_load_dwordx2 s[2:3], s[2:3], 0x0
	v_max_f32_e32 v1, v7, v7
	s_waitcnt lgkmcnt(0)
	v_max_f32_e64 v13, s2, s2
	v_max_f32_e32 v1, v1, v13
	v_sub_f32_e32 v13, v7, v1
	v_sub_f32_e32 v15, s2, v1
	v_mul_f32_e32 v16, 0x3fb8aa3b, v13
	v_mul_f32_e32 v17, 0x3fb8aa3b, v15
	v_fma_f32 v18, v13, s8, -v16
	v_rndne_f32_e32 v19, v16
	v_fma_f32 v20, v15, s8, -v17
	v_rndne_f32_e32 v21, v17
	v_fmac_f32_e32 v18, 0x32a5705f, v13
	v_sub_f32_e32 v16, v16, v19
	v_fmac_f32_e32 v20, 0x32a5705f, v15
	v_sub_f32_e32 v17, v17, v21
	v_add_f32_e32 v16, v16, v18
	v_cvt_i32_f32_e32 v19, v19
	v_add_f32_e32 v17, v17, v20
	v_exp_f32_e32 v16, v16
	v_cvt_i32_f32_e32 v21, v21
	v_exp_f32_e32 v17, v17
	v_cmp_ngt_f32_e32 vcc, s9, v13
	v_ldexp_f32 v16, v16, v19
	v_ldexp_f32 v17, v17, v21
	v_cndmask_b32_e32 v16, 0, v16, vcc
	v_cmp_ngt_f32_e32 vcc, s9, v15
	s_nop 1
	v_cndmask_b32_e32 v17, 0, v17, vcc
	v_cmp_nlt_f32_e32 vcc, s13, v13
	s_nop 1
	v_cndmask_b32_e32 v16, v12, v16, vcc
	v_cmp_nlt_f32_e32 vcc, s13, v15
	s_nop 1
	v_cndmask_b32_e32 v17, v12, v17, vcc
	v_cmp_le_f32_e32 vcc, s14, v13
	s_nop 1
	v_cndmask_b32_e32 v16, 0, v16, vcc
	v_cmp_le_f32_e32 vcc, s14, v15
	s_nop 1
	v_cndmask_b32_e32 v15, 0, v17, vcc
	v_mul_f32_e32 v13, s3, v15
	v_fmac_f32_e32 v13, v6, v16
	s_waitcnt vmcnt(0)
	v_mul_f32_e32 v14, v14, v15
	v_fmac_f32_e32 v14, v5, v16
	s_cbranch_execnz .LBB26_19
.LBB26_18:
	s_add_i32 s7, s12, -1
	s_mov_b64 s[0:1], 0
	v_mov_b32_e32 v0, v8
	v_mov_b32_e32 v13, v6
	;; [unrolled: 1-line block ×3, first 2 shown]
	s_waitcnt vmcnt(0)
	v_mov_b32_e32 v14, v5
.LBB26_19:
	s_andn2_b64 vcc, exec, s[0:1]
	s_cbranch_vccz .LBB26_23
; %bb.20:
	v_mov_b32_e32 v8, v0
	s_mov_b32 s12, s7
	v_mov_b32_e32 v6, v13
	v_mov_b32_e32 v7, v1
	s_waitcnt vmcnt(0)
	v_mov_b32_e32 v5, v14
	s_mul_hi_i32 s7, s12, s15
	s_cmp_lg_u64 s[6:7], 0
	s_mul_i32 s2, s12, s15
	s_cbranch_scc1 .LBB26_9
	s_branch .LBB26_15
.LBB26_21:
                                        ; implicit-def: $sgpr20_sgpr21
	s_load_dwordx4 s[16:19], s[0:1], 0x44
	s_branch .LBB26_2
.LBB26_22:
                                        ; implicit-def: $vgpr2_vgpr3
	s_branch .LBB26_5
.LBB26_23:
	v_div_scale_f32 v0, s[0:1], v13, v13, v14
	v_rcp_f32_e32 v1, v0
	v_div_scale_f32 v4, vcc, v14, v13, v14
	s_waitcnt vmcnt(0)
	v_fma_f32 v5, -v0, v1, 1.0
	v_fmac_f32_e32 v1, v5, v1
	v_mul_f32_e32 v5, v4, v1
	v_fma_f32 v6, -v0, v5, v4
	v_fmac_f32_e32 v5, v6, v1
	v_fma_f32 v0, -v0, v5, v4
	v_div_fmas_f32 v0, v0, v1, v5
	v_div_fixup_f32 v0, v0, v13, v14
	global_store_dword v[2:3], v0, off
.LBB26_24:
	s_endpgm
	.section	.rodata,"a",@progbits
	.p2align	6, 0x0
	.amdhsa_kernel _ZL33flash_attn_stream_k_fixup_generalILi112ELi4ELi4EEvPfPK15HIP_vector_typeIfLj2EEiiiiS1_IjLj3EES5_S5_S5_
		.amdhsa_group_segment_fixed_size 0
		.amdhsa_private_segment_fixed_size 0
		.amdhsa_kernarg_size 336
		.amdhsa_user_sgpr_count 2
		.amdhsa_user_sgpr_dispatch_ptr 0
		.amdhsa_user_sgpr_queue_ptr 0
		.amdhsa_user_sgpr_kernarg_segment_ptr 1
		.amdhsa_user_sgpr_dispatch_id 0
		.amdhsa_user_sgpr_kernarg_preload_length 0
		.amdhsa_user_sgpr_kernarg_preload_offset 0
		.amdhsa_user_sgpr_private_segment_size 0
		.amdhsa_uses_dynamic_stack 0
		.amdhsa_enable_private_segment 0
		.amdhsa_system_sgpr_workgroup_id_x 1
		.amdhsa_system_sgpr_workgroup_id_y 1
		.amdhsa_system_sgpr_workgroup_id_z 1
		.amdhsa_system_sgpr_workgroup_info 0
		.amdhsa_system_vgpr_workitem_id 0
		.amdhsa_next_free_vgpr 22
		.amdhsa_next_free_sgpr 32
		.amdhsa_accum_offset 24
		.amdhsa_reserve_vcc 1
		.amdhsa_float_round_mode_32 0
		.amdhsa_float_round_mode_16_64 0
		.amdhsa_float_denorm_mode_32 3
		.amdhsa_float_denorm_mode_16_64 3
		.amdhsa_dx10_clamp 1
		.amdhsa_ieee_mode 1
		.amdhsa_fp16_overflow 0
		.amdhsa_tg_split 0
		.amdhsa_exception_fp_ieee_invalid_op 0
		.amdhsa_exception_fp_denorm_src 0
		.amdhsa_exception_fp_ieee_div_zero 0
		.amdhsa_exception_fp_ieee_overflow 0
		.amdhsa_exception_fp_ieee_underflow 0
		.amdhsa_exception_fp_ieee_inexact 0
		.amdhsa_exception_int_div_zero 0
	.end_amdhsa_kernel
	.section	.text._ZL33flash_attn_stream_k_fixup_generalILi112ELi4ELi4EEvPfPK15HIP_vector_typeIfLj2EEiiiiS1_IjLj3EES5_S5_S5_,"axG",@progbits,_ZL33flash_attn_stream_k_fixup_generalILi112ELi4ELi4EEvPfPK15HIP_vector_typeIfLj2EEiiiiS1_IjLj3EES5_S5_S5_,comdat
.Lfunc_end26:
	.size	_ZL33flash_attn_stream_k_fixup_generalILi112ELi4ELi4EEvPfPK15HIP_vector_typeIfLj2EEiiiiS1_IjLj3EES5_S5_S5_, .Lfunc_end26-_ZL33flash_attn_stream_k_fixup_generalILi112ELi4ELi4EEvPfPK15HIP_vector_typeIfLj2EEiiiiS1_IjLj3EES5_S5_S5_
                                        ; -- End function
	.section	.AMDGPU.csdata,"",@progbits
; Kernel info:
; codeLenInByte = 2868
; NumSgprs: 38
; NumVgprs: 22
; NumAgprs: 0
; TotalNumVgprs: 22
; ScratchSize: 0
; MemoryBound: 0
; FloatMode: 240
; IeeeMode: 1
; LDSByteSize: 0 bytes/workgroup (compile time only)
; SGPRBlocks: 4
; VGPRBlocks: 2
; NumSGPRsForWavesPerEU: 38
; NumVGPRsForWavesPerEU: 22
; AccumOffset: 24
; Occupancy: 8
; WaveLimiterHint : 0
; COMPUTE_PGM_RSRC2:SCRATCH_EN: 0
; COMPUTE_PGM_RSRC2:USER_SGPR: 2
; COMPUTE_PGM_RSRC2:TRAP_HANDLER: 0
; COMPUTE_PGM_RSRC2:TGID_X_EN: 1
; COMPUTE_PGM_RSRC2:TGID_Y_EN: 1
; COMPUTE_PGM_RSRC2:TGID_Z_EN: 1
; COMPUTE_PGM_RSRC2:TIDIG_COMP_CNT: 0
; COMPUTE_PGM_RSRC3_GFX90A:ACCUM_OFFSET: 5
; COMPUTE_PGM_RSRC3_GFX90A:TG_SPLIT: 0
	.section	.text._ZL15flash_attn_tileILi112ELi112ELi2ELi4ELb0EEvPKcS1_S1_S1_S1_PKiPfP15HIP_vector_typeIfLj2EEffffjfiS5_IjLj3EEiiiiiiiiiiiliiliiiiil,"axG",@progbits,_ZL15flash_attn_tileILi112ELi112ELi2ELi4ELb0EEvPKcS1_S1_S1_S1_PKiPfP15HIP_vector_typeIfLj2EEffffjfiS5_IjLj3EEiiiiiiiiiiiliiliiiiil,comdat
	.globl	_ZL15flash_attn_tileILi112ELi112ELi2ELi4ELb0EEvPKcS1_S1_S1_S1_PKiPfP15HIP_vector_typeIfLj2EEffffjfiS5_IjLj3EEiiiiiiiiiiiliiliiiiil ; -- Begin function _ZL15flash_attn_tileILi112ELi112ELi2ELi4ELb0EEvPKcS1_S1_S1_S1_PKiPfP15HIP_vector_typeIfLj2EEffffjfiS5_IjLj3EEiiiiiiiiiiiliiliiiiil
	.p2align	8
	.type	_ZL15flash_attn_tileILi112ELi112ELi2ELi4ELb0EEvPKcS1_S1_S1_S1_PKiPfP15HIP_vector_typeIfLj2EEffffjfiS5_IjLj3EEiiiiiiiiiiiliiliiiiil,@function
_ZL15flash_attn_tileILi112ELi112ELi2ELi4ELb0EEvPKcS1_S1_S1_S1_PKiPfP15HIP_vector_typeIfLj2EEffffjfiS5_IjLj3EEiiiiiiiiiiiliiliiiiil: ; @_ZL15flash_attn_tileILi112ELi112ELi2ELi4ELb0EEvPKcS1_S1_S1_S1_PKiPfP15HIP_vector_typeIfLj2EEffffjfiS5_IjLj3EEiiiiiiiiiiiliiliiiiil
; %bb.0:
	s_load_dwordx4 s[28:31], s[0:1], 0x5c
	s_load_dwordx2 s[34:35], s[0:1], 0x80
	s_load_dwordx16 s[12:27], s[0:1], 0x0
	s_mov_b64 s[36:37], 0
	s_waitcnt lgkmcnt(0)
	s_ashr_i32 s5, s31, 31
	s_lshr_b32 s5, s5, 30
	s_add_i32 s5, s31, s5
	s_ashr_i32 s5, s5, 2
	v_cvt_f32_u32_e32 v1, s5
	s_sub_i32 s6, 0, s5
	v_rcp_iflag_f32_e32 v1, v1
	s_nop 0
	v_mul_f32_e32 v1, 0x4f7ffffe, v1
	v_cvt_u32_f32_e32 v1, v1
	s_nop 0
	v_readfirstlane_b32 s7, v1
	s_mul_i32 s6, s6, s7
	s_mul_hi_u32 s6, s7, s6
	s_add_i32 s7, s7, s6
	s_mul_hi_u32 s6, s4, s7
	s_mul_i32 s7, s6, s5
	s_sub_i32 s7, s4, s7
	s_add_i32 s8, s6, 1
	s_sub_i32 s9, s7, s5
	s_cmp_ge_u32 s7, s5
	s_cselect_b32 s6, s8, s6
	s_cselect_b32 s7, s9, s7
	s_add_i32 s8, s6, 1
	s_cmp_ge_u32 s7, s5
	s_cselect_b32 s33, s8, s6
	s_abs_i32 s5, s35
	v_cvt_f32_u32_e32 v1, s5
	s_sub_i32 s8, 0, s5
	s_abs_i32 s7, s31
	s_lshl_b32 s6, s4, 2
	v_rcp_iflag_f32_e32 v1, v1
	s_xor_b32 s4, s31, s35
	s_ashr_i32 s4, s4, 31
	v_mul_f32_e32 v1, 0x4f7ffffe, v1
	v_cvt_u32_f32_e32 v1, v1
	s_nop 0
	v_readfirstlane_b32 s9, v1
	s_mul_i32 s8, s8, s9
	s_mul_hi_u32 s8, s9, s8
	s_add_i32 s9, s9, s8
	s_mul_hi_u32 s8, s7, s9
	s_mul_i32 s9, s8, s5
	s_sub_i32 s7, s7, s9
	s_add_i32 s10, s8, 1
	s_sub_i32 s9, s7, s5
	s_cmp_ge_u32 s7, s5
	s_cselect_b32 s8, s10, s8
	s_cselect_b32 s7, s9, s7
	s_add_i32 s9, s8, 1
	s_cmp_ge_u32 s7, s5
	s_cselect_b32 s5, s9, s8
	s_xor_b32 s5, s5, s4
	s_sub_i32 s9, s5, s4
	s_abs_i32 s8, s9
	v_cvt_f32_u32_e32 v1, s8
	s_load_dwordx2 s[4:5], s[0:1], 0xb8
	s_mul_i32 s7, s33, s31
	s_cmp_eq_u64 s[18:19], 0
	v_rcp_iflag_f32_e32 v1, v1
	s_nop 0
	v_mul_f32_e32 v1, 0x4f7ffffe, v1
	v_cvt_u32_f32_e32 v1, v1
	s_nop 0
	v_readfirstlane_b32 s10, v1
	s_cbranch_scc1 .LBB27_2
; %bb.1:
	s_waitcnt lgkmcnt(0)
	s_abs_i32 s4, s4
	v_cvt_f32_u32_e32 v1, s4
	s_sub_i32 s38, 0, s4
	s_abs_i32 s35, s33
	s_ashr_i32 s11, s33, 31
	v_rcp_iflag_f32_e32 v1, v1
	s_load_dwordx2 s[36:37], s[0:1], 0xc8
	v_mul_f32_e32 v1, 0x4f7ffffe, v1
	v_cvt_u32_f32_e32 v1, v1
	s_nop 0
	v_readfirstlane_b32 s39, v1
	s_mul_i32 s38, s38, s39
	s_mul_hi_u32 s38, s39, s38
	s_add_i32 s39, s39, s38
	s_mul_hi_u32 s38, s35, s39
	s_mul_i32 s38, s38, s4
	s_sub_i32 s35, s35, s38
	s_sub_i32 s38, s35, s4
	s_cmp_ge_u32 s35, s4
	s_cselect_b32 s35, s38, s35
	s_sub_i32 s38, s35, s4
	s_cmp_ge_u32 s35, s4
	s_cselect_b32 s4, s38, s35
	s_xor_b32 s4, s4, s11
	s_sub_i32 s4, s4, s11
	s_ashr_i32 s11, s4, 31
	s_waitcnt lgkmcnt(0)
	s_mul_i32 s35, s4, s37
	s_mul_hi_u32 s37, s4, s36
	s_add_i32 s35, s37, s35
	s_mul_i32 s11, s11, s36
	s_add_i32 s35, s35, s11
	s_mul_i32 s4, s4, s36
	s_add_u32 s36, s18, s4
	s_addc_u32 s37, s19, s35
.LBB27_2:
	v_bfe_u32 v1, v0, 10, 10
	s_waitcnt lgkmcnt(0)
	s_lshl_b32 s4, s2, 1
	v_lshrrev_b32_e32 v2, 2, v1
	v_and_b32_e32 v40, 0x3ff, v0
	v_add_u32_e32 v45, s4, v2
	s_sub_i32 s35, s6, s7
	v_and_b32_e32 v41, 3, v1
	v_cmp_gt_u32_e64 s[18:19], 28, v40
	v_mul_hi_u32 v0, s28, v45
	s_and_saveexec_b64 s[6:7], s[18:19]
	s_cbranch_execz .LBB27_4
; %bb.3:
	s_load_dwordx4 s[40:43], s[0:1], 0x70
	s_waitcnt lgkmcnt(0)
	s_mul_i32 s4, s33, s42
	s_ashr_i32 s28, s4, 31
	s_mul_i32 s11, s35, s41
	s_add_u32 s4, s12, s4
	s_addc_u32 s13, s13, s28
	s_ashr_i32 s28, s11, 31
	s_add_u32 s12, s4, s11
	v_mov_b32_e32 v2, s41
	s_addc_u32 s13, s13, s28
	s_ashr_i32 s4, s41, 31
	v_alignbit_b32 v2, s4, v2, 2
	v_mad_u64_u32 v[2:3], s[38:39], v2, v41, 0
	v_mov_b32_e32 v4, v3
	s_lshr_b32 s4, s4, 2
	v_mad_u64_u32 v[4:5], s[38:39], s4, v41, v[4:5]
	v_mov_b32_e32 v3, v4
	v_add_u32_e32 v4, v45, v0
	v_lshrrev_b32_e32 v4, s29, v4
	v_mul_lo_u32 v4, v4, s30
	v_sub_u32_e32 v7, v45, v4
	s_ashr_i32 s4, s40, 31
	v_mov_b32_e32 v4, s40
	v_alignbit_b32 v4, s4, v4, 2
	v_mad_u64_u32 v[4:5], s[38:39], v4, v7, 0
	v_mov_b32_e32 v6, v5
	s_lshr_b32 s4, s4, 2
	v_mad_u64_u32 v[6:7], s[38:39], s4, v7, v[6:7]
	v_mov_b32_e32 v5, v6
	v_lshl_add_u64 v[2:3], v[2:3], 2, s[12:13]
	v_lshl_add_u64 v[2:3], v[4:5], 2, v[2:3]
	v_lshlrev_b32_e32 v4, 4, v40
	v_mov_b32_e32 v5, 0
	v_lshl_add_u64 v[2:3], v[2:3], 0, v[4:5]
	global_load_dwordx4 v[2:5], v[2:3], off
	s_load_dword s4, s[0:1], 0x40
	v_mul_u32_u24_e32 v6, 56, v1
	s_waitcnt vmcnt(0) lgkmcnt(0)
	v_pk_mul_f32 v[2:3], v[2:3], s[4:5] op_sel_hi:[1,0]
	v_pk_mul_f32 v[4:5], v[4:5], s[4:5] op_sel_hi:[1,0]
	v_cvt_f16_f32_e32 v7, v3
	v_cvt_f16_f32_e32 v3, v5
	;; [unrolled: 1-line block ×4, first 2 shown]
	v_lshlrev_b32_e32 v5, 1, v40
	v_add_lshl_u32 v5, v6, v5, 2
	v_pack_b32_f16 v3, v4, v3
	v_pack_b32_f16 v2, v2, v7
	ds_write_b64 v5, v[2:3] offset:4160
.LBB27_4:
	s_or_b64 exec, exec, s[6:7]
	s_cmp_eq_u64 s[22:23], 0
	s_waitcnt lgkmcnt(0)
	s_barrier
	s_cbranch_scc1 .LBB27_6
; %bb.5:
	s_load_dword s4, s[0:1], 0xd0
	s_mov_b32 s7, 0
	s_waitcnt lgkmcnt(0)
	s_mul_i32 s4, s4, s33
	s_add_i32 s6, s4, s2
	s_lshl_b64 s[6:7], s[6:7], 2
	s_add_u32 s6, s22, s6
	s_addc_u32 s7, s23, s7
	s_load_dword s34, s[6:7], 0x0
.LBB27_6:
	s_lshl_b32 s2, s3, 5
	s_waitcnt lgkmcnt(0)
	s_cmp_lt_i32 s2, s34
	v_mbcnt_lo_u32_b32 v2, -1, 0
	s_cbranch_scc1 .LBB27_8
; %bb.7:
	v_mbcnt_hi_u32_b32 v49, -1, v2
	v_and_b32_e32 v3, 0x60, v49
	s_mov_b32 s4, 0
	v_add_u32_e32 v82, 32, v3
	v_xor_b32_e32 v83, 16, v49
	v_xor_b32_e32 v84, 8, v49
	;; [unrolled: 1-line block ×5, first 2 shown]
	s_mov_b64 s[6:7], 0
	s_mov_b32 s11, 0xfeffffff
	s_branch .LBB27_9
.LBB27_8:
	s_mov_b64 s[6:7], -1
                                        ; implicit-def: $sgpr11
                                        ; implicit-def: $sgpr4
                                        ; implicit-def: $vgpr49
                                        ; implicit-def: $vgpr82
                                        ; implicit-def: $vgpr83
                                        ; implicit-def: $vgpr84
                                        ; implicit-def: $vgpr85
                                        ; implicit-def: $vgpr86
                                        ; implicit-def: $vgpr87
.LBB27_9:
	s_andn2_b64 vcc, exec, s[6:7]
	v_mov_b32_e32 v64, s11
	v_mov_b32_e32 v88, s4
	;; [unrolled: 1-line block ×4, first 2 shown]
	s_cbranch_vccnz .LBB27_37
; %bb.10:
	s_load_dwordx2 s[6:7], s[0:1], 0x8c
	s_load_dwordx4 s[44:47], s[0:1], 0x98
	s_sub_i32 s4, 0, s8
	s_mul_i32 s4, s4, s10
	s_ashr_i32 s22, s5, 1
	s_waitcnt lgkmcnt(0)
	s_ashr_i32 s41, s6, 2
	s_ashr_i32 s5, s33, 31
	s_mul_i32 s6, s33, s45
	s_mul_hi_u32 s23, s33, s44
	s_mul_hi_u32 s4, s10, s4
	s_add_i32 s6, s23, s6
	s_mul_i32 s23, s5, s44
	s_abs_i32 s12, s35
	s_add_i32 s10, s10, s4
	s_ashr_i32 s13, s35, 31
	s_ashr_i32 s9, s9, 31
	;; [unrolled: 1-line block ×3, first 2 shown]
	s_add_i32 s6, s6, s23
	s_mul_i32 s23, s33, s44
	s_mul_hi_u32 s4, s12, s10
	s_add_u32 s14, s14, s23
	s_addc_u32 s6, s15, s6
	s_xor_b32 s9, s13, s9
	s_mul_i32 s13, s4, s8
	s_sub_i32 s12, s12, s13
	s_add_i32 s13, s4, 1
	s_sub_i32 s15, s12, s8
	s_cmp_ge_u32 s12, s8
	s_cselect_b32 s4, s13, s4
	s_cselect_b32 s12, s15, s12
	s_add_i32 s13, s4, 1
	s_cmp_ge_u32 s12, s8
	s_cselect_b32 s4, s13, s4
	s_load_dwordx2 s[10:11], s[0:1], 0xa8
	s_xor_b32 s4, s4, s9
	s_sub_i32 s4, s4, s9
	s_mul_i32 s7, s4, s7
	s_ashr_i32 s8, s7, 31
	v_add_u32_e32 v0, v45, v0
	s_add_u32 s42, s14, s7
	v_lshrrev_b32_e32 v0, s29, v0
	s_addc_u32 s43, s6, s8
	s_waitcnt lgkmcnt(0)
	s_mul_i32 s6, s33, s11
	s_mul_hi_u32 s7, s33, s10
	v_mul_lo_u32 v0, v0, s30
	s_add_i32 s6, s7, s6
	s_mul_i32 s5, s5, s10
	v_lshl_add_u32 v3, v1, 5, v40
	v_sub_u32_e32 v0, v45, v0
	s_add_i32 s6, s6, s5
	s_mul_i32 s5, s33, s10
	v_cmp_gt_u32_e32 vcc, 32, v3
	v_lshrrev_b32_e32 v4, 1, v40
	v_mul_lo_u32 v42, s41, v3
	v_lshlrev_b32_e32 v3, 2, v40
	v_mad_u64_u32 v[54:55], s[8:9], v0, s22, v[40:41]
	v_mov_b32_e32 v0, 0x1740
	s_add_u32 s5, s16, s5
	s_mul_i32 s4, s4, s47
	v_lshl_add_u32 v4, v1, 4, v4
	v_lshrrev_b32_e32 v5, 2, v40
	s_movk_i32 s14, 0xe0
	v_mov_b32_e32 v6, 0x1040
	v_and_b32_e32 v44, 4, v3
	v_lshl_add_u32 v74, v1, 6, v0
	v_lshrrev_b32_e32 v0, 3, v40
	s_addc_u32 s6, s17, s6
	s_ashr_i32 s7, s4, 31
	v_lshl_add_u32 v5, v1, 3, v5
	v_mad_u32_u24 v65, v1, s14, v6
	v_lshlrev_b32_e32 v7, 2, v44
	v_lshl_add_u32 v0, v1, 2, v0
	v_mul_u32_u24_e32 v1, 0xe0, v4
	s_add_u32 s44, s5, s4
	v_lshlrev_b32_e32 v6, 7, v4
	v_and_b32_e32 v48, 12, v3
	v_or_b32_e32 v1, v1, v7
	s_addc_u32 s45, s6, s7
	v_or3_b32 v72, v6, v7, 64
	v_lshlrev_b32_e32 v6, 2, v48
	v_add_u32_e32 v77, 0xc0, v1
	v_mul_u32_u24_e32 v1, 0xe0, v5
	s_movk_i32 s15, 0x80
	v_and_b32_e32 v60, 28, v3
	v_lshlrev_b32_e32 v70, 7, v40
	v_mul_lo_u32 v46, s41, v4
	v_mul_lo_u32 v52, s41, v5
	;; [unrolled: 1-line block ×3, first 2 shown]
	v_add3_u32 v78, v1, v6, s15
	v_mul_lo_u32 v58, s40, v5
	v_lshlrev_b32_e32 v1, 2, v60
	v_mul_lo_u32 v62, s40, v0
	s_add_u32 s22, s0, 0xd0
	v_cmp_gt_u32_e64 s[4:5], 32, v4
	v_cmp_gt_u32_e64 s[6:7], 32, v5
	v_or_b32_e32 v71, 0x60, v70
	v_ashrrev_i32_e32 v43, 31, v42
	v_ashrrev_i32_e32 v47, 31, v46
	v_mov_b32_e32 v51, 0
	v_lshl_or_b32 v73, v5, 7, v6
	v_ashrrev_i32_e32 v53, 31, v52
	v_lshl_add_u32 v75, v40, 1, v74
	v_cmp_gt_u32_e64 s[8:9], 16, v4
	v_cmp_gt_u32_e64 s[10:11], 16, v5
	;; [unrolled: 1-line block ×3, first 2 shown]
	v_lshlrev_b32_e32 v76, 3, v40
	v_ashrrev_i32_e32 v57, 31, v56
	v_ashrrev_i32_e32 v59, 31, v58
	v_mad_u32_u24 v79, v0, s14, v1
	v_ashrrev_i32_e32 v63, 31, v62
	s_addc_u32 s23, s1, 0
	v_mov_b32_e32 v6, 0xfeffffff
	v_mbcnt_hi_u32_b32 v49, -1, v2
	s_mov_b32 s46, 0x3fb8aa3b
	s_mov_b32 s47, 0xc2ce8ed0
	;; [unrolled: 1-line block ×3, first 2 shown]
	v_mov_b32_e32 v80, 0x7f800000
	v_mov_b32_e32 v61, 0
	;; [unrolled: 1-line block ×4, first 2 shown]
.LBB27_11:                              ; =>This Inner Loop Header: Depth=1
	s_mul_hi_i32 s15, s2, s41
	s_mul_i32 s14, s2, s41
	s_lshl_b64 s[14:15], s[14:15], 2
	s_add_u32 s14, s42, s14
	s_addc_u32 s15, s43, s15
	v_lshl_add_u64 v[2:3], v[42:43], 2, s[14:15]
	s_and_saveexec_b64 s[16:17], vcc
	s_cbranch_execz .LBB27_13
; %bb.12:                               ;   in Loop: Header=BB27_11 Depth=1
	global_load_dwordx4 v[8:11], v[2:3], off offset:96
	s_waitcnt vmcnt(0)
	ds_write_b128 v71, v[8:11]
.LBB27_13:                              ;   in Loop: Header=BB27_11 Depth=1
	s_or_b64 exec, exec, s[16:17]
	v_lshl_add_u64 v[0:1], v[46:47], 2, s[14:15]
	v_lshlrev_b32_e32 v50, 2, v44
	s_and_saveexec_b64 s[16:17], s[4:5]
	s_cbranch_execz .LBB27_15
; %bb.14:                               ;   in Loop: Header=BB27_11 Depth=1
	v_lshl_add_u64 v[4:5], v[0:1], 0, v[50:51]
	global_load_dwordx4 v[8:11], v[4:5], off offset:64
	s_waitcnt vmcnt(0)
	ds_write_b128 v72, v[8:11]
.LBB27_15:                              ;   in Loop: Header=BB27_11 Depth=1
	s_or_b64 exec, exec, s[16:17]
	v_lshl_add_u64 v[4:5], v[52:53], 2, s[14:15]
	v_lshlrev_b32_e32 v66, 2, v48
	s_and_saveexec_b64 s[14:15], s[6:7]
	s_cbranch_execz .LBB27_17
; %bb.16:                               ;   in Loop: Header=BB27_11 Depth=1
	v_mov_b32_e32 v67, v51
	v_lshl_add_u64 v[8:9], v[4:5], 0, v[66:67]
	global_load_dwordx4 v[8:11], v[8:9], off
	s_waitcnt vmcnt(0)
	ds_write_b128 v73, v[8:11]
.LBB27_17:                              ;   in Loop: Header=BB27_11 Depth=1
	s_or_b64 exec, exec, s[14:15]
	s_waitcnt lgkmcnt(0)
	s_barrier
	ds_read_b128 v[8:11], v70
	ds_read_b128 v[12:15], v65
	v_mov_b32_e32 v7, 0
	s_waitcnt lgkmcnt(0)
	;;#ASMSTART
	v_dot2_f32_f16 v7, v8, v12, v7
	;;#ASMEND
	s_nop 0
	;;#ASMSTART
	v_dot2_f32_f16 v7, v9, v13, v7
	;;#ASMEND
	s_nop 0
	;;#ASMSTART
	v_dot2_f32_f16 v7, v10, v14, v7
	;;#ASMEND
	s_nop 0
	;;#ASMSTART
	v_dot2_f32_f16 v7, v11, v15, v7
	;;#ASMEND
	ds_read_b128 v[8:11], v70 offset:16
	ds_read_b128 v[12:15], v65 offset:16
	s_waitcnt lgkmcnt(0)
	;;#ASMSTART
	v_dot2_f32_f16 v7, v8, v12, v7
	;;#ASMEND
	s_nop 0
	;;#ASMSTART
	v_dot2_f32_f16 v7, v9, v13, v7
	;;#ASMEND
	s_nop 0
	;;#ASMSTART
	v_dot2_f32_f16 v7, v10, v14, v7
	;;#ASMEND
	s_nop 0
	;;#ASMSTART
	v_dot2_f32_f16 v7, v11, v15, v7
	;;#ASMEND
	ds_read_b128 v[8:11], v70 offset:32
	ds_read_b128 v[12:15], v65 offset:32
	;; [unrolled: 18-line block ×6, first 2 shown]
	s_waitcnt lgkmcnt(0)
	;;#ASMSTART
	v_dot2_f32_f16 v7, v8, v12, v7
	;;#ASMEND
	s_nop 0
	;;#ASMSTART
	v_dot2_f32_f16 v7, v9, v13, v7
	;;#ASMEND
	s_nop 0
	;; [unrolled: 4-line block ×3, first 2 shown]
	;;#ASMSTART
	v_dot2_f32_f16 v7, v11, v15, v7
	;;#ASMEND
	s_barrier
	s_and_saveexec_b64 s[14:15], vcc
	s_cbranch_execnz .LBB27_31
; %bb.18:                               ;   in Loop: Header=BB27_11 Depth=1
	s_or_b64 exec, exec, s[14:15]
	s_and_saveexec_b64 s[14:15], s[4:5]
	s_cbranch_execnz .LBB27_32
.LBB27_19:                              ;   in Loop: Header=BB27_11 Depth=1
	s_or_b64 exec, exec, s[14:15]
	s_and_saveexec_b64 s[14:15], s[6:7]
	s_cbranch_execz .LBB27_21
.LBB27_20:                              ;   in Loop: Header=BB27_11 Depth=1
	v_mov_b32_e32 v67, v51
	v_lshl_add_u64 v[0:1], v[4:5], 0, v[66:67]
	global_load_dwordx4 v[0:3], v[0:1], off offset:112
	s_waitcnt vmcnt(0)
	ds_write_b128 v73, v[0:3]
.LBB27_21:                              ;   in Loop: Header=BB27_11 Depth=1
	s_or_b64 exec, exec, s[14:15]
	s_waitcnt lgkmcnt(0)
	s_barrier
	ds_read_b128 v[0:3], v70
	ds_read_b128 v[8:11], v65 offset:112
	v_add_u32_e32 v4, s2, v54
	s_waitcnt lgkmcnt(0)
	;;#ASMSTART
	v_dot2_f32_f16 v7, v0, v8, v7
	;;#ASMEND
	s_nop 0
	;;#ASMSTART
	v_dot2_f32_f16 v7, v1, v9, v7
	;;#ASMEND
	v_ashrrev_i32_e32 v5, 31, v4
	;;#ASMSTART
	v_dot2_f32_f16 v7, v2, v10, v7
	;;#ASMEND
	v_lshl_add_u64 v[4:5], v[4:5], 1, s[36:37]
	;;#ASMSTART
	v_dot2_f32_f16 v7, v3, v11, v7
	;;#ASMEND
	ds_read_b128 v[0:3], v70 offset:16
	ds_read_b128 v[8:11], v65 offset:128
	s_waitcnt lgkmcnt(0)
	;;#ASMSTART
	v_dot2_f32_f16 v7, v0, v8, v7
	;;#ASMEND
	s_nop 0
	;;#ASMSTART
	v_dot2_f32_f16 v7, v1, v9, v7
	;;#ASMEND
	v_xor_b32_e32 v83, 16, v49
	;;#ASMSTART
	v_dot2_f32_f16 v7, v2, v10, v7
	;;#ASMEND
	v_xor_b32_e32 v84, 8, v49
	;;#ASMSTART
	v_dot2_f32_f16 v7, v3, v11, v7
	;;#ASMEND
	ds_read_b128 v[0:3], v70 offset:32
	ds_read_b128 v[8:11], v65 offset:144
	s_waitcnt lgkmcnt(0)
	;;#ASMSTART
	v_dot2_f32_f16 v7, v0, v8, v7
	;;#ASMEND
	s_nop 0
	;;#ASMSTART
	v_dot2_f32_f16 v7, v1, v9, v7
	;;#ASMEND
	v_xor_b32_e32 v85, 4, v49
	;;#ASMSTART
	v_dot2_f32_f16 v7, v2, v10, v7
	;;#ASMEND
	v_xor_b32_e32 v86, 2, v49
	;;#ASMSTART
	v_dot2_f32_f16 v7, v3, v11, v7
	;;#ASMEND
	ds_read_b128 v[0:3], v70 offset:48
	ds_read_b128 v[8:11], v65 offset:160
	s_waitcnt lgkmcnt(0)
	;;#ASMSTART
	v_dot2_f32_f16 v7, v0, v8, v7
	;;#ASMEND
	s_nop 0
	;;#ASMSTART
	v_dot2_f32_f16 v7, v1, v9, v7
	;;#ASMEND
	v_xor_b32_e32 v87, 1, v49
	;;#ASMSTART
	v_dot2_f32_f16 v7, v2, v10, v7
	;;#ASMEND
	s_nop 0
	;;#ASMSTART
	v_dot2_f32_f16 v7, v3, v11, v7
	;;#ASMEND
	ds_read_b128 v[0:3], v70 offset:64
	ds_read_b128 v[8:11], v65 offset:176
	s_waitcnt lgkmcnt(0)
	;;#ASMSTART
	v_dot2_f32_f16 v7, v0, v8, v7
	;;#ASMEND
	s_nop 0
	;;#ASMSTART
	v_dot2_f32_f16 v7, v1, v9, v7
	;;#ASMEND
	s_nop 0
	;; [unrolled: 4-line block ×3, first 2 shown]
	;;#ASMSTART
	v_dot2_f32_f16 v7, v3, v11, v7
	;;#ASMEND
	ds_read_b128 v[0:3], v70 offset:80
	ds_read_b128 v[8:11], v65 offset:192
	s_waitcnt lgkmcnt(0)
	;;#ASMSTART
	v_dot2_f32_f16 v7, v0, v8, v7
	;;#ASMEND
	s_nop 0
	;;#ASMSTART
	v_dot2_f32_f16 v7, v1, v9, v7
	;;#ASMEND
	s_nop 0
	;; [unrolled: 4-line block ×3, first 2 shown]
	;;#ASMSTART
	v_dot2_f32_f16 v7, v3, v11, v7
	;;#ASMEND
	ds_read_b128 v[0:3], v70 offset:96
	ds_read_b128 v[8:11], v65 offset:208
	s_waitcnt lgkmcnt(0)
	;;#ASMSTART
	v_dot2_f32_f16 v7, v0, v8, v7
	;;#ASMEND
	s_nop 0
	;;#ASMSTART
	v_dot2_f32_f16 v7, v1, v9, v7
	;;#ASMEND
	v_max_f32_e32 v1, v6, v6
	;;#ASMSTART
	v_dot2_f32_f16 v7, v2, v10, v7
	;;#ASMEND
	v_and_b32_e32 v2, 0x60, v49
	;;#ASMSTART
	v_dot2_f32_f16 v7, v3, v11, v7
	;;#ASMEND
	flat_load_ushort v0, v[4:5]
	v_add_u32_e32 v82, 32, v2
	v_cmp_lt_i32_e64 s[14:15], v83, v82
	s_waitcnt lgkmcnt(0)
	s_barrier
	v_cndmask_b32_e64 v2, v49, v83, s[14:15]
	v_lshlrev_b32_e32 v2, 2, v2
	v_cmp_lt_i32_e64 s[14:15], v84, v82
	s_waitcnt vmcnt(0)
	v_cvt_f32_f16_e32 v0, v0
	v_add_f32_e32 v0, v7, v0
	v_add_f32_e32 v3, 0x40051340, v0
	v_max_f32_e32 v1, v1, v3
	ds_bpermute_b32 v2, v2, v1
	v_cndmask_b32_e64 v3, v49, v84, s[14:15]
	v_lshlrev_b32_e32 v3, 2, v3
	v_cmp_lt_i32_e64 s[14:15], v85, v82
	s_waitcnt lgkmcnt(0)
	v_max_f32_e32 v2, v2, v2
	v_max_f32_e32 v1, v1, v2
	ds_bpermute_b32 v2, v3, v1
	v_cndmask_b32_e64 v3, v49, v85, s[14:15]
	v_lshlrev_b32_e32 v3, 2, v3
	v_cmp_lt_i32_e64 s[14:15], v86, v82
	s_waitcnt lgkmcnt(0)
	v_max_f32_e32 v2, v2, v2
	;; [unrolled: 7-line block ×3, first 2 shown]
	v_max_f32_e32 v1, v1, v2
	ds_bpermute_b32 v2, v3, v1
	v_cndmask_b32_e64 v3, v49, v87, s[14:15]
	v_lshlrev_b32_e32 v3, 2, v3
	s_mul_hi_i32 s15, s2, s40
	s_mul_i32 s14, s2, s40
	s_waitcnt lgkmcnt(0)
	v_max_f32_e32 v2, v2, v2
	v_max_f32_e32 v1, v1, v2
	ds_bpermute_b32 v2, v3, v1
	s_lshl_b64 s[16:17], s[14:15], 2
	s_add_u32 s16, s44, s16
	s_addc_u32 s17, s45, s17
	s_waitcnt lgkmcnt(0)
	v_max_f32_e32 v2, v2, v2
	v_max_f32_e32 v64, v1, v2
	v_sub_f32_e32 v0, v0, v64
	v_mul_f32_e32 v1, 0x3fb8aa3b, v0
	v_fma_f32 v2, v0, s46, -v1
	v_rndne_f32_e32 v3, v1
	v_fmac_f32_e32 v2, 0x32a5705f, v0
	v_sub_f32_e32 v1, v1, v3
	v_add_f32_e32 v1, v1, v2
	v_cvt_i32_f32_e32 v3, v3
	v_exp_f32_e32 v1, v1
	v_cmp_ngt_f32_e64 s[14:15], s47, v0
	v_ldexp_f32 v1, v1, v3
	s_nop 0
	v_cndmask_b32_e64 v1, 0, v1, s[14:15]
	v_cmp_nlt_f32_e64 s[14:15], s48, v0
	s_nop 1
	v_cndmask_b32_e64 v88, v80, v1, s[14:15]
	v_cvt_f16_f32_e32 v0, v88
	ds_write_b16 v75, v0
	s_and_saveexec_b64 s[14:15], s[8:9]
	s_cbranch_execnz .LBB27_33
; %bb.22:                               ;   in Loop: Header=BB27_11 Depth=1
	s_or_b64 exec, exec, s[14:15]
	s_and_saveexec_b64 s[14:15], s[10:11]
	s_cbranch_execnz .LBB27_34
.LBB27_23:                              ;   in Loop: Header=BB27_11 Depth=1
	s_or_b64 exec, exec, s[14:15]
	v_lshlrev_b32_e32 v68, 2, v60
	s_and_saveexec_b64 s[14:15], s[12:13]
	s_cbranch_execz .LBB27_25
.LBB27_24:                              ;   in Loop: Header=BB27_11 Depth=1
	v_lshl_add_u64 v[0:1], v[62:63], 2, s[16:17]
	v_mov_b32_e32 v69, v51
	v_lshl_add_u64 v[0:1], v[0:1], 0, v[68:69]
	global_load_dwordx4 v[0:3], v[0:1], off
	s_waitcnt vmcnt(0)
	ds_write_b128 v79, v[0:3]
.LBB27_25:                              ;   in Loop: Header=BB27_11 Depth=1
	s_or_b64 exec, exec, s[14:15]
	s_waitcnt lgkmcnt(0)
	s_barrier
	ds_read2_b64 v[28:31], v76 offset1:28
	ds_read_b128 v[8:11], v74
	ds_read_b128 v[0:3], v74 offset:16
	ds_read2_b64 v[36:39], v76 offset0:56 offset1:84
	ds_read2_b64 v[32:35], v76 offset0:112 offset1:140
	;; [unrolled: 1-line block ×4, first 2 shown]
	v_add_u32_e32 v89, 0x800, v76
	v_sub_f32_e32 v90, v6, v64
	ds_read2_b64 v[20:23], v89 offset0:24 offset1:52
	ds_read2_b64 v[12:15], v89 offset0:80 offset1:108
	;; [unrolled: 1-line block ×3, first 2 shown]
	s_or_b32 s28, s2, 16
	s_mul_hi_i32 s29, s28, s40
	s_mul_i32 s28, s28, s40
	s_lshl_b64 s[28:29], s[28:29], 2
	s_add_u32 s28, s44, s28
	v_cmp_ngt_f32_e64 s[14:15], s47, v90
	v_cmp_nlt_f32_e64 s[16:17], s48, v90
	s_addc_u32 s29, s45, s29
	s_waitcnt lgkmcnt(0)
	s_barrier
	s_and_saveexec_b64 s[38:39], s[8:9]
	s_cbranch_execnz .LBB27_35
; %bb.26:                               ;   in Loop: Header=BB27_11 Depth=1
	s_or_b64 exec, exec, s[38:39]
	s_and_saveexec_b64 s[38:39], s[10:11]
	s_cbranch_execnz .LBB27_36
.LBB27_27:                              ;   in Loop: Header=BB27_11 Depth=1
	s_or_b64 exec, exec, s[38:39]
	s_and_saveexec_b64 s[38:39], s[12:13]
	s_cbranch_execz .LBB27_29
.LBB27_28:                              ;   in Loop: Header=BB27_11 Depth=1
	v_lshl_add_u64 v[66:67], v[62:63], 2, s[28:29]
	v_mov_b32_e32 v69, v51
	v_lshl_add_u64 v[66:67], v[66:67], 0, v[68:69]
	global_load_dwordx4 v[66:69], v[66:67], off
	s_waitcnt vmcnt(0)
	ds_write_b128 v79, v[66:69]
.LBB27_29:                              ;   in Loop: Header=BB27_11 Depth=1
	s_or_b64 exec, exec, s[38:39]
	v_mul_f32_e32 v50, 0x3fb8aa3b, v90
	v_fma_f32 v66, v90, s46, -v50
	v_rndne_f32_e32 v67, v50
	v_fmac_f32_e32 v66, 0x32a5705f, v90
	v_sub_f32_e32 v50, v50, v67
	v_add_f32_e32 v50, v50, v66
	v_cvt_i32_f32_e32 v66, v67
	v_exp_f32_e32 v50, v50
	v_pk_mul_f16 v28, v28, v8 op_sel_hi:[1,0]
	v_pk_mul_f16 v29, v29, v8 op_sel_hi:[1,0]
	s_waitcnt lgkmcnt(0)
	v_ldexp_f32 v50, v50, v66
	v_cndmask_b32_e64 v50, 0, v50, s[14:15]
	v_cndmask_b32_e64 v50, v80, v50, s[16:17]
	v_cvt_f16_f32_e32 v66, v50
	s_barrier
	v_fmac_f32_e32 v88, v81, v50
	v_pk_fma_f16 v28, v61, v66, v28 op_sel_hi:[1,0,1]
	v_pk_fma_f16 v29, v55, v66, v29 op_sel_hi:[1,0,1]
	v_pk_fma_f16 v28, v30, v8, v28 op_sel:[0,1,0]
	v_pk_fma_f16 v8, v31, v8, v29 op_sel:[0,1,0]
	v_pk_fma_f16 v28, v36, v9, v28 op_sel_hi:[1,0,1]
	v_pk_fma_f16 v8, v37, v9, v8 op_sel_hi:[1,0,1]
	v_pk_fma_f16 v28, v38, v9, v28 op_sel:[0,1,0]
	v_pk_fma_f16 v8, v39, v9, v8 op_sel:[0,1,0]
	;; [unrolled: 4-line block ×7, first 2 shown]
	ds_read2_b64 v[8:11], v76 offset1:28
	ds_read_b128 v[12:15], v74 offset:32
	v_pk_fma_f16 v1, v4, v3, v1 op_sel_hi:[1,0,1]
	v_pk_fma_f16 v0, v5, v3, v0 op_sel_hi:[1,0,1]
	v_pk_fma_f16 v4, v6, v3, v1 op_sel:[0,1,0]
	v_pk_fma_f16 v16, v7, v3, v0 op_sel:[0,1,0]
	s_waitcnt lgkmcnt(0)
	v_pk_fma_f16 v8, v8, v12, v4 op_sel_hi:[1,0,1]
	ds_read2_b64 v[4:7], v76 offset0:56 offset1:84
	v_pk_fma_f16 v9, v9, v12, v16 op_sel_hi:[1,0,1]
	v_pk_fma_f16 v16, v10, v12, v8 op_sel:[0,1,0]
	v_pk_fma_f16 v12, v11, v12, v9 op_sel:[0,1,0]
	ds_read2_b64 v[8:11], v76 offset0:112 offset1:140
	s_waitcnt lgkmcnt(1)
	v_pk_fma_f16 v4, v4, v13, v16 op_sel_hi:[1,0,1]
	v_pk_fma_f16 v5, v5, v13, v12 op_sel_hi:[1,0,1]
	v_pk_fma_f16 v4, v6, v13, v4 op_sel:[0,1,0]
	v_pk_fma_f16 v12, v7, v13, v5 op_sel:[0,1,0]
	s_waitcnt lgkmcnt(0)
	v_pk_fma_f16 v8, v8, v14, v4 op_sel_hi:[1,0,1]
	ds_read2_b64 v[4:7], v76 offset0:168 offset1:196
	v_pk_fma_f16 v9, v9, v14, v12 op_sel_hi:[1,0,1]
	ds_read_b128 v[0:3], v74 offset:48
	v_pk_fma_f16 v12, v10, v14, v8 op_sel:[0,1,0]
	v_pk_fma_f16 v13, v11, v14, v9 op_sel:[0,1,0]
	ds_read2_b64 v[8:11], v76 offset0:224 offset1:252
	s_waitcnt lgkmcnt(2)
	v_pk_fma_f16 v4, v4, v15, v12 op_sel_hi:[1,0,1]
	v_pk_fma_f16 v5, v5, v15, v13 op_sel_hi:[1,0,1]
	v_pk_fma_f16 v4, v6, v15, v4 op_sel:[0,1,0]
	v_pk_fma_f16 v12, v7, v15, v5 op_sel:[0,1,0]
	s_waitcnt lgkmcnt(0)
	v_pk_fma_f16 v8, v8, v0, v4 op_sel_hi:[1,0,1]
	ds_read2_b64 v[4:7], v89 offset0:24 offset1:52
	v_pk_fma_f16 v9, v9, v0, v12 op_sel_hi:[1,0,1]
	v_pk_fma_f16 v12, v10, v0, v8 op_sel:[0,1,0]
	v_pk_fma_f16 v0, v11, v0, v9 op_sel:[0,1,0]
	ds_read2_b64 v[8:11], v89 offset0:80 offset1:108
	s_waitcnt lgkmcnt(1)
	v_pk_fma_f16 v4, v4, v1, v12 op_sel_hi:[1,0,1]
	v_pk_fma_f16 v0, v5, v1, v0 op_sel_hi:[1,0,1]
	v_pk_fma_f16 v4, v6, v1, v4 op_sel:[0,1,0]
	v_pk_fma_f16 v0, v7, v1, v0 op_sel:[0,1,0]
	s_waitcnt lgkmcnt(0)
	v_pk_fma_f16 v1, v8, v2, v4 op_sel_hi:[1,0,1]
	ds_read2_b64 v[4:7], v89 offset0:136 offset1:164
	s_waitcnt lgkmcnt(0)
	s_barrier
	s_load_dword s14, s[22:23], 0x4
	v_pk_fma_f16 v0, v9, v2, v0 op_sel_hi:[1,0,1]
	v_pk_fma_f16 v1, v10, v2, v1 op_sel:[0,1,0]
	v_pk_fma_f16 v0, v11, v2, v0 op_sel:[0,1,0]
	v_pk_fma_f16 v1, v4, v3, v1 op_sel_hi:[1,0,1]
	s_waitcnt lgkmcnt(0)
	s_lshl_b32 s14, s14, 5
	v_pk_fma_f16 v0, v5, v3, v0 op_sel_hi:[1,0,1]
	s_add_i32 s2, s14, s2
	v_pk_fma_f16 v61, v6, v3, v1 op_sel:[0,1,0]
	s_cmp_lt_i32 s2, s34
	v_pk_fma_f16 v55, v7, v3, v0 op_sel:[0,1,0]
	s_cbranch_scc0 .LBB27_37
; %bb.30:                               ;   in Loop: Header=BB27_11 Depth=1
	v_mov_b32_e32 v6, v64
	v_mov_b32_e32 v81, v88
	s_branch .LBB27_11
.LBB27_31:                              ;   in Loop: Header=BB27_11 Depth=1
	global_load_dwordx4 v[8:11], v[2:3], off offset:208
	s_waitcnt vmcnt(0)
	ds_write_b128 v71, v[8:11]
	s_or_b64 exec, exec, s[14:15]
	s_and_saveexec_b64 s[14:15], s[4:5]
	s_cbranch_execz .LBB27_19
.LBB27_32:                              ;   in Loop: Header=BB27_11 Depth=1
	v_lshl_add_u64 v[0:1], v[0:1], 0, v[50:51]
	global_load_dwordx4 v[0:3], v[0:1], off offset:176
	s_waitcnt vmcnt(0)
	ds_write_b128 v72, v[0:3]
	s_or_b64 exec, exec, s[14:15]
	s_and_saveexec_b64 s[14:15], s[6:7]
	s_cbranch_execnz .LBB27_20
	s_branch .LBB27_21
.LBB27_33:                              ;   in Loop: Header=BB27_11 Depth=1
	v_lshl_add_u64 v[0:1], v[56:57], 2, s[16:17]
	v_lshl_add_u64 v[0:1], v[0:1], 0, v[50:51]
	global_load_dwordx4 v[0:3], v[0:1], off offset:192
	s_waitcnt vmcnt(0)
	ds_write_b128 v77, v[0:3]
	s_or_b64 exec, exec, s[14:15]
	s_and_saveexec_b64 s[14:15], s[10:11]
	s_cbranch_execz .LBB27_23
.LBB27_34:                              ;   in Loop: Header=BB27_11 Depth=1
	v_lshl_add_u64 v[0:1], v[58:59], 2, s[16:17]
	v_mov_b32_e32 v67, v51
	v_lshl_add_u64 v[0:1], v[0:1], 0, v[66:67]
	global_load_dwordx4 v[0:3], v[0:1], off offset:128
	s_waitcnt vmcnt(0)
	ds_write_b128 v78, v[0:3]
	s_or_b64 exec, exec, s[14:15]
	v_lshlrev_b32_e32 v68, 2, v60
	s_and_saveexec_b64 s[14:15], s[12:13]
	s_cbranch_execnz .LBB27_24
	s_branch .LBB27_25
.LBB27_35:                              ;   in Loop: Header=BB27_11 Depth=1
	v_lshl_add_u64 v[92:93], v[56:57], 2, s[28:29]
	v_lshl_add_u64 v[92:93], v[92:93], 0, v[50:51]
	global_load_dwordx4 v[92:95], v[92:93], off offset:192
	s_waitcnt vmcnt(0)
	ds_write_b128 v77, v[92:95]
	s_or_b64 exec, exec, s[38:39]
	s_and_saveexec_b64 s[38:39], s[10:11]
	s_cbranch_execz .LBB27_27
.LBB27_36:                              ;   in Loop: Header=BB27_11 Depth=1
	v_lshl_add_u64 v[92:93], v[58:59], 2, s[28:29]
	v_mov_b32_e32 v67, v51
	v_lshl_add_u64 v[66:67], v[92:93], 0, v[66:67]
	global_load_dwordx4 v[92:95], v[66:67], off offset:128
	s_waitcnt vmcnt(0)
	ds_write_b128 v78, v[92:95]
	s_or_b64 exec, exec, s[38:39]
	s_and_saveexec_b64 s[38:39], s[12:13]
	s_cbranch_execnz .LBB27_28
	s_branch .LBB27_29
.LBB27_37:
	v_cmp_lt_i32_e32 vcc, v83, v82
	s_cmp_eq_u64 s[20:21], 0
	s_cselect_b64 s[4:5], -1, 0
	v_cndmask_b32_e32 v0, v49, v83, vcc
	v_lshlrev_b32_e32 v0, 2, v0
	ds_bpermute_b32 v0, v0, v88
	v_cmp_lt_i32_e32 vcc, v84, v82
	s_cmp_lg_u32 s3, 0
	s_cselect_b64 s[6:7], -1, 0
	v_cndmask_b32_e32 v1, v49, v84, vcc
	v_lshlrev_b32_e32 v1, 2, v1
	s_waitcnt lgkmcnt(0)
	v_add_f32_e32 v0, v88, v0
	ds_bpermute_b32 v1, v1, v0
	v_cmp_lt_i32_e32 vcc, v85, v82
	s_or_b64 s[4:5], s[6:7], s[4:5]
	s_waitcnt lgkmcnt(0)
	v_add_f32_e32 v0, v0, v1
	v_cndmask_b32_e32 v2, v49, v85, vcc
	v_lshlrev_b32_e32 v2, 2, v2
	ds_bpermute_b32 v1, v2, v0
	v_cmp_lt_i32_e32 vcc, v86, v82
	s_waitcnt lgkmcnt(0)
	v_add_f32_e32 v0, v0, v1
	v_cndmask_b32_e32 v2, v49, v86, vcc
	v_lshlrev_b32_e32 v2, 2, v2
	ds_bpermute_b32 v1, v2, v0
	v_cmp_lt_i32_e32 vcc, v87, v82
	s_waitcnt lgkmcnt(0)
	v_add_f32_e32 v0, v0, v1
	v_cndmask_b32_e32 v2, v49, v87, vcc
	v_lshlrev_b32_e32 v2, 2, v2
	ds_bpermute_b32 v1, v2, v0
	s_and_b64 vcc, exec, s[4:5]
	s_waitcnt lgkmcnt(0)
	v_add_f32_e32 v65, v0, v1
	s_cbranch_vccnz .LBB27_40
; %bb.38:
	v_add_u32_e32 v0, s35, v41
	v_ashrrev_i32_e32 v1, 31, v0
	v_lshl_add_u64 v[0:1], v[0:1], 2, s[20:21]
	global_load_dword v1, v[0:1], off
	v_max_f32_e32 v0, v64, v64
	s_mov_b32 s2, 0x3fb8aa3b
	s_mov_b32 s4, 0xc2ce8ed0
	s_waitcnt vmcnt(0)
	v_max_f32_e32 v2, v1, v1
	v_max_f32_e32 v0, v0, v2
	v_sub_f32_e32 v2, v64, v0
	v_sub_f32_e32 v1, v1, v0
	v_mul_f32_e32 v3, 0x3fb8aa3b, v2
	v_mul_f32_e32 v4, 0x3fb8aa3b, v1
	v_fma_f32 v5, v2, s2, -v3
	v_rndne_f32_e32 v6, v3
	v_fma_f32 v7, v1, s2, -v4
	v_rndne_f32_e32 v8, v4
	v_fmac_f32_e32 v5, 0x32a5705f, v2
	v_sub_f32_e32 v3, v3, v6
	v_fmac_f32_e32 v7, 0x32a5705f, v1
	v_sub_f32_e32 v4, v4, v8
	v_add_f32_e32 v3, v3, v5
	v_cvt_i32_f32_e32 v6, v6
	v_add_f32_e32 v4, v4, v7
	v_exp_f32_e32 v3, v3
	v_cvt_i32_f32_e32 v8, v8
	v_exp_f32_e32 v4, v4
	v_cmp_ngt_f32_e32 vcc, s4, v2
	v_ldexp_f32 v3, v3, v6
	s_mov_b32 s2, 0x42b17218
	v_ldexp_f32 v4, v4, v8
	v_cndmask_b32_e32 v3, 0, v3, vcc
	v_cmp_ngt_f32_e32 vcc, s4, v1
	v_mov_b32_e32 v5, 0x7f800000
	s_nop 0
	v_cndmask_b32_e32 v4, 0, v4, vcc
	v_cmp_nlt_f32_e32 vcc, s2, v2
	s_nop 1
	v_cndmask_b32_e32 v2, v5, v3, vcc
	v_cvt_f16_f32_e32 v3, v2
	v_cmp_nlt_f32_e32 vcc, s2, v1
	v_pk_mul_f16 v61, v3, v61 op_sel_hi:[0,1]
	s_nop 0
	v_cndmask_b32_e32 v1, v5, v4, vcc
	v_fmac_f32_e32 v1, v65, v2
	v_pk_mul_f16 v55, v3, v55 op_sel_hi:[0,1]
	v_mov_b64_e32 v[64:65], v[0:1]
	v_cmp_gt_i32_e32 vcc, s30, v45
	s_and_saveexec_b64 s[4:5], vcc
	s_cbranch_execnz .LBB27_41
.LBB27_39:
	s_endpgm
.LBB27_40:
	v_mov_b32_e32 v1, v65
	v_cmp_gt_i32_e32 vcc, s30, v45
	s_and_saveexec_b64 s[4:5], vcc
	s_cbranch_execz .LBB27_39
.LBB27_41:
	s_load_dword s2, s[0:1], 0xd4
	s_mul_i32 s33, s33, s30
	v_add_u32_e32 v0, s33, v45
	v_mul_lo_u32 v0, v0, s31
	v_add3_u32 v0, s35, v41, v0
	s_waitcnt lgkmcnt(0)
	s_cmp_lg_u32 s2, 1
	v_mul_lo_u32 v0, s2, v0
	s_cselect_b64 s[0:1], -1, 0
	v_add_u32_e32 v0, s3, v0
	s_and_saveexec_b64 s[2:3], s[18:19]
	s_cbranch_execz .LBB27_43
; %bb.42:
	v_div_scale_f32 v4, s[4:5], v1, v1, 1.0
	v_rcp_f32_e32 v5, v4
	v_cvt_f32_f16_sdwa v9, v61 dst_sel:DWORD dst_unused:UNUSED_PAD src0_sel:WORD_1
	v_cvt_f32_f16_sdwa v11, v55 dst_sel:DWORD dst_unused:UNUSED_PAD src0_sel:WORD_1
	v_cvt_f32_f16_e32 v10, v55
	v_fma_f32 v6, -v4, v5, 1.0
	v_fmac_f32_e32 v5, v6, v5
	v_div_scale_f32 v6, vcc, 1.0, v1, 1.0
	v_mul_f32_e32 v7, v6, v5
	v_fma_f32 v8, -v4, v7, v6
	v_fmac_f32_e32 v7, v8, v5
	v_fma_f32 v4, -v4, v7, v6
	v_div_fmas_f32 v4, v4, v5, v7
	v_cvt_f32_f16_e32 v8, v61
	v_div_fixup_f32 v1, v4, v1, 1.0
	s_movk_i32 s4, 0x70
	v_cndmask_b32_e64 v4, v1, 1.0, s[0:1]
	v_mul_lo_u32 v1, v0, s4
	v_mov_b32_e32 v2, s24
	v_mov_b32_e32 v3, s25
	v_lshl_add_u32 v6, v40, 2, v1
	v_mov_b32_e32 v7, 0
	v_lshl_add_u64 v[6:7], v[6:7], 2, v[2:3]
	v_pk_mul_f32 v[2:3], v[4:5], v[8:9] op_sel_hi:[0,1]
	v_pk_mul_f32 v[4:5], v[4:5], v[10:11] op_sel_hi:[0,1]
	global_store_dwordx4 v[6:7], v[2:5], off
.LBB27_43:
	s_or_b64 exec, exec, s[2:3]
	v_cmp_eq_u32_e32 vcc, 0, v40
	s_and_b64 s[0:1], vcc, s[0:1]
	s_and_b64 exec, exec, s[0:1]
	s_cbranch_execz .LBB27_39
; %bb.44:
	v_mov_b32_e32 v2, s26
	v_mov_b32_e32 v3, s27
	v_ashrrev_i32_e32 v1, 31, v0
	v_lshl_add_u64 v[0:1], v[0:1], 3, v[2:3]
	global_store_dwordx2 v[0:1], v[64:65], off
	s_endpgm
	.section	.rodata,"a",@progbits
	.p2align	6, 0x0
	.amdhsa_kernel _ZL15flash_attn_tileILi112ELi112ELi2ELi4ELb0EEvPKcS1_S1_S1_S1_PKiPfP15HIP_vector_typeIfLj2EEffffjfiS5_IjLj3EEiiiiiiiiiiiliiliiiiil
		.amdhsa_group_segment_fixed_size 6464
		.amdhsa_private_segment_fixed_size 0
		.amdhsa_kernarg_size 464
		.amdhsa_user_sgpr_count 2
		.amdhsa_user_sgpr_dispatch_ptr 0
		.amdhsa_user_sgpr_queue_ptr 0
		.amdhsa_user_sgpr_kernarg_segment_ptr 1
		.amdhsa_user_sgpr_dispatch_id 0
		.amdhsa_user_sgpr_kernarg_preload_length 0
		.amdhsa_user_sgpr_kernarg_preload_offset 0
		.amdhsa_user_sgpr_private_segment_size 0
		.amdhsa_uses_dynamic_stack 0
		.amdhsa_enable_private_segment 0
		.amdhsa_system_sgpr_workgroup_id_x 1
		.amdhsa_system_sgpr_workgroup_id_y 1
		.amdhsa_system_sgpr_workgroup_id_z 1
		.amdhsa_system_sgpr_workgroup_info 0
		.amdhsa_system_vgpr_workitem_id 1
		.amdhsa_next_free_vgpr 96
		.amdhsa_next_free_sgpr 49
		.amdhsa_accum_offset 96
		.amdhsa_reserve_vcc 1
		.amdhsa_float_round_mode_32 0
		.amdhsa_float_round_mode_16_64 0
		.amdhsa_float_denorm_mode_32 3
		.amdhsa_float_denorm_mode_16_64 3
		.amdhsa_dx10_clamp 1
		.amdhsa_ieee_mode 1
		.amdhsa_fp16_overflow 0
		.amdhsa_tg_split 0
		.amdhsa_exception_fp_ieee_invalid_op 0
		.amdhsa_exception_fp_denorm_src 0
		.amdhsa_exception_fp_ieee_div_zero 0
		.amdhsa_exception_fp_ieee_overflow 0
		.amdhsa_exception_fp_ieee_underflow 0
		.amdhsa_exception_fp_ieee_inexact 0
		.amdhsa_exception_int_div_zero 0
	.end_amdhsa_kernel
	.section	.text._ZL15flash_attn_tileILi112ELi112ELi2ELi4ELb0EEvPKcS1_S1_S1_S1_PKiPfP15HIP_vector_typeIfLj2EEffffjfiS5_IjLj3EEiiiiiiiiiiiliiliiiiil,"axG",@progbits,_ZL15flash_attn_tileILi112ELi112ELi2ELi4ELb0EEvPKcS1_S1_S1_S1_PKiPfP15HIP_vector_typeIfLj2EEffffjfiS5_IjLj3EEiiiiiiiiiiiliiliiiiil,comdat
.Lfunc_end27:
	.size	_ZL15flash_attn_tileILi112ELi112ELi2ELi4ELb0EEvPKcS1_S1_S1_S1_PKiPfP15HIP_vector_typeIfLj2EEffffjfiS5_IjLj3EEiiiiiiiiiiiliiliiiiil, .Lfunc_end27-_ZL15flash_attn_tileILi112ELi112ELi2ELi4ELb0EEvPKcS1_S1_S1_S1_PKiPfP15HIP_vector_typeIfLj2EEffffjfiS5_IjLj3EEiiiiiiiiiiiliiliiiiil
                                        ; -- End function
	.section	.AMDGPU.csdata,"",@progbits
; Kernel info:
; codeLenInByte = 5268
; NumSgprs: 55
; NumVgprs: 96
; NumAgprs: 0
; TotalNumVgprs: 96
; ScratchSize: 0
; MemoryBound: 0
; FloatMode: 240
; IeeeMode: 1
; LDSByteSize: 6464 bytes/workgroup (compile time only)
; SGPRBlocks: 6
; VGPRBlocks: 11
; NumSGPRsForWavesPerEU: 55
; NumVGPRsForWavesPerEU: 96
; AccumOffset: 96
; Occupancy: 5
; WaveLimiterHint : 1
; COMPUTE_PGM_RSRC2:SCRATCH_EN: 0
; COMPUTE_PGM_RSRC2:USER_SGPR: 2
; COMPUTE_PGM_RSRC2:TRAP_HANDLER: 0
; COMPUTE_PGM_RSRC2:TGID_X_EN: 1
; COMPUTE_PGM_RSRC2:TGID_Y_EN: 1
; COMPUTE_PGM_RSRC2:TGID_Z_EN: 1
; COMPUTE_PGM_RSRC2:TIDIG_COMP_CNT: 1
; COMPUTE_PGM_RSRC3_GFX90A:ACCUM_OFFSET: 23
; COMPUTE_PGM_RSRC3_GFX90A:TG_SPLIT: 0
	.section	.text._ZL33flash_attn_stream_k_fixup_uniformILi112ELi2ELi4EEvPfPK15HIP_vector_typeIfLj2EEiiiiiiS1_IjLj3EES5_S5_,"axG",@progbits,_ZL33flash_attn_stream_k_fixup_uniformILi112ELi2ELi4EEvPfPK15HIP_vector_typeIfLj2EEiiiiiiS1_IjLj3EES5_S5_,comdat
	.globl	_ZL33flash_attn_stream_k_fixup_uniformILi112ELi2ELi4EEvPfPK15HIP_vector_typeIfLj2EEiiiiiiS1_IjLj3EES5_S5_ ; -- Begin function _ZL33flash_attn_stream_k_fixup_uniformILi112ELi2ELi4EEvPfPK15HIP_vector_typeIfLj2EEiiiiiiS1_IjLj3EES5_S5_
	.p2align	8
	.type	_ZL33flash_attn_stream_k_fixup_uniformILi112ELi2ELi4EEvPfPK15HIP_vector_typeIfLj2EEiiiiiiS1_IjLj3EES5_S5_,@function
_ZL33flash_attn_stream_k_fixup_uniformILi112ELi2ELi4EEvPfPK15HIP_vector_typeIfLj2EEiiiiiiS1_IjLj3EES5_S5_: ; @_ZL33flash_attn_stream_k_fixup_uniformILi112ELi2ELi4EEvPfPK15HIP_vector_typeIfLj2EEiiiiiiS1_IjLj3EES5_S5_
; %bb.0:
	s_load_dwordx8 s[8:15], s[0:1], 0x1c
	s_load_dwordx2 s[6:7], s[0:1], 0x10
	s_load_dwordx4 s[16:19], s[0:1], 0x3c
	s_waitcnt lgkmcnt(0)
	s_mul_hi_u32 s5, s11, s2
	s_add_i32 s5, s2, s5
	s_lshr_b32 s5, s5, s12
	s_mul_i32 s11, s5, s13
	s_sub_i32 s12, s2, s11
	s_mul_hi_u32 s11, s12, s14
	s_add_i32 s11, s12, s11
	s_lshr_b32 s11, s11, s15
	s_mul_i32 s13, s11, s16
	s_sub_i32 s12, s12, s13
	;; [unrolled: 5-line block ×3, first 2 shown]
	s_lshl_b32 s12, s16, 1
	s_lshl_b32 s17, s13, 2
	s_add_i32 s12, s12, s3
	s_cmp_lt_i32 s12, s6
	s_cselect_b64 s[12:13], -1, 0
	s_add_i32 s17, s17, s4
	s_cmp_lt_i32 s17, s9
	s_cselect_b64 s[14:15], -1, 0
	s_and_b64 s[12:13], s[12:13], s[14:15]
	s_andn2_b64 vcc, exec, s[12:13]
	s_cbranch_vccnz .LBB28_6
; %bb.1:
	s_load_dwordx4 s[12:15], s[0:1], 0x0
	s_mul_i32 s0, s5, s6
	s_mul_i32 s11, s11, s9
	s_add_i32 s0, s0, s3
	s_mul_i32 s0, s0, s7
	s_add_i32 s5, s17, s11
	s_mul_i32 s1, s7, s16
	s_add_i32 s0, s5, s0
	s_mulk_i32 s1, 0xe0
	s_mulk_i32 s0, 0x70
	s_add_i32 s0, s0, s1
	v_add_u32_e32 v4, s0, v0
	s_waitcnt lgkmcnt(0)
	v_mov_b32_e32 v2, s12
	v_mov_b32_e32 v3, s13
	v_ashrrev_i32_e32 v5, 31, v4
	v_lshl_add_u64 v[2:3], v[4:5], 2, v[2:3]
	global_load_dword v7, v[2:3], off
	s_mul_i32 s5, s2, s10
	s_lshl_b32 s11, s3, 2
	s_add_i32 s9, s5, s10
	s_add_i32 s0, s11, s4
	s_lshl_b32 s1, s9, 3
	s_add_i32 s0, s0, s1
	s_add_i32 s0, s0, -8
	s_ashr_i32 s1, s0, 31
	s_lshl_b64 s[0:1], s[0:1], 3
	s_add_u32 s0, s14, s0
	s_addc_u32 s1, s15, s1
	s_load_dword s12, s[0:1], 0x4
	s_add_i32 s6, s9, -2
	s_cmp_lt_i32 s6, s5
	s_cbranch_scc1 .LBB28_4
; %bb.2:
	s_lshl_b32 s6, s8, 5
	s_ashr_i32 s7, s6, 31
	s_lshl_b64 s[6:7], s[6:7], 2
	s_add_u32 s6, s14, s6
	s_addc_u32 s7, s15, s7
	s_add_i32 s2, s2, 1
	s_load_dword s0, s[0:1], 0x0
	s_mul_i32 s1, s10, s2
	s_lshl_b32 s2, s1, 3
	s_add_i32 s2, s4, s2
	s_mulk_i32 s3, 0x1c0
	s_mulk_i32 s4, 0x70
	s_lshl_b32 s8, s8, 3
	s_mulk_i32 s1, 0x380
	s_add_i32 s3, s4, s3
	s_add_i32 s2, s2, s8
	;; [unrolled: 1-line block ×4, first 2 shown]
	v_add_u32_e32 v0, s3, v0
	s_add_i32 s9, s9, -1
	s_add_i32 s2, s2, -16
	v_add_u32_e32 v0, 0xfffff900, v0
	s_waitcnt lgkmcnt(0)
	v_mov_b32_e32 v6, s12
	v_mov_b32_e32 v5, s0
	s_mov_b32 s4, 0x3fb8aa3b
	s_mov_b32 s8, 0xc2ce8ed0
	;; [unrolled: 1-line block ×3, first 2 shown]
	v_mov_b32_e32 v4, 0x7f800000
	s_mov_b32 s11, 0xc1a00000
.LBB28_3:                               ; =>This Inner Loop Header: Depth=1
	v_ashrrev_i32_e32 v1, 31, v0
	v_lshl_add_u64 v[8:9], v[0:1], 2, s[6:7]
	global_load_dword v1, v[8:9], off
	s_ashr_i32 s3, s2, 31
	s_lshl_b64 s[0:1], s[2:3], 3
	s_add_u32 s0, s14, s0
	s_addc_u32 s1, s15, s1
	s_load_dwordx2 s[12:13], s[0:1], 0x0
	s_waitcnt vmcnt(1)
	v_mov_b32_e32 v8, v7
	v_max_f32_e32 v7, v5, v5
	v_mov_b32_e32 v9, v6
	s_add_i32 s9, s9, -1
	s_waitcnt lgkmcnt(0)
	v_max_f32_e64 v6, s12, s12
	v_max_f32_e32 v6, v7, v6
	v_sub_f32_e32 v10, s12, v6
	v_sub_f32_e32 v7, v5, v6
	v_mul_f32_e32 v11, 0x3fb8aa3b, v10
	v_mov_b32_e32 v5, v6
	v_mul_f32_e32 v6, 0x3fb8aa3b, v7
	v_fma_f32 v14, v10, s4, -v11
	v_rndne_f32_e32 v15, v11
	v_fma_f32 v12, v7, s4, -v6
	v_rndne_f32_e32 v13, v6
	v_fmac_f32_e32 v14, 0x32a5705f, v10
	v_sub_f32_e32 v11, v11, v15
	v_fmac_f32_e32 v12, 0x32a5705f, v7
	v_sub_f32_e32 v6, v6, v13
	v_add_f32_e32 v11, v11, v14
	v_cvt_i32_f32_e32 v15, v15
	v_add_f32_e32 v6, v6, v12
	v_exp_f32_e32 v11, v11
	v_cvt_i32_f32_e32 v13, v13
	v_exp_f32_e32 v6, v6
	v_cmp_ngt_f32_e32 vcc, s8, v10
	v_ldexp_f32 v11, v11, v15
	v_cmp_ngt_f32_e64 s[0:1], s8, v7
	v_ldexp_f32 v6, v6, v13
	v_cndmask_b32_e32 v11, 0, v11, vcc
	v_cmp_nlt_f32_e32 vcc, s10, v10
	v_cndmask_b32_e64 v6, 0, v6, s[0:1]
	v_cmp_nlt_f32_e64 s[0:1], s10, v7
	v_cndmask_b32_e32 v11, v4, v11, vcc
	v_cmp_le_f32_e32 vcc, s11, v10
	v_cndmask_b32_e64 v6, v4, v6, s[0:1]
	v_cmp_le_f32_e64 s[0:1], s11, v7
	v_cndmask_b32_e32 v7, 0, v11, vcc
	s_add_i32 s2, s2, -8
	v_cndmask_b32_e64 v10, 0, v6, s[0:1]
	v_mul_f32_e32 v6, s13, v7
	v_add_u32_e32 v0, 0xfffffc80, v0
	s_cmp_le_i32 s9, s5
	v_fmac_f32_e32 v6, v9, v10
	s_waitcnt vmcnt(0)
	v_mul_f32_e32 v7, v1, v7
	v_fmac_f32_e32 v7, v8, v10
	s_cbranch_scc0 .LBB28_3
	s_branch .LBB28_5
.LBB28_4:
	s_waitcnt lgkmcnt(0)
	v_mov_b32_e32 v6, s12
.LBB28_5:
	s_waitcnt vmcnt(0)
	v_div_scale_f32 v0, s[0:1], v6, v6, v7
	v_rcp_f32_e32 v1, v0
	v_div_scale_f32 v4, vcc, v7, v6, v7
	v_fma_f32 v5, -v0, v1, 1.0
	v_fmac_f32_e32 v1, v5, v1
	v_mul_f32_e32 v5, v4, v1
	v_fma_f32 v8, -v0, v5, v4
	v_fmac_f32_e32 v5, v8, v1
	v_fma_f32 v0, -v0, v5, v4
	v_div_fmas_f32 v0, v0, v1, v5
	v_div_fixup_f32 v0, v0, v6, v7
	global_store_dword v[2:3], v0, off
.LBB28_6:
	s_endpgm
	.section	.rodata,"a",@progbits
	.p2align	6, 0x0
	.amdhsa_kernel _ZL33flash_attn_stream_k_fixup_uniformILi112ELi2ELi4EEvPfPK15HIP_vector_typeIfLj2EEiiiiiiS1_IjLj3EES5_S5_
		.amdhsa_group_segment_fixed_size 0
		.amdhsa_private_segment_fixed_size 0
		.amdhsa_kernarg_size 76
		.amdhsa_user_sgpr_count 2
		.amdhsa_user_sgpr_dispatch_ptr 0
		.amdhsa_user_sgpr_queue_ptr 0
		.amdhsa_user_sgpr_kernarg_segment_ptr 1
		.amdhsa_user_sgpr_dispatch_id 0
		.amdhsa_user_sgpr_kernarg_preload_length 0
		.amdhsa_user_sgpr_kernarg_preload_offset 0
		.amdhsa_user_sgpr_private_segment_size 0
		.amdhsa_uses_dynamic_stack 0
		.amdhsa_enable_private_segment 0
		.amdhsa_system_sgpr_workgroup_id_x 1
		.amdhsa_system_sgpr_workgroup_id_y 1
		.amdhsa_system_sgpr_workgroup_id_z 1
		.amdhsa_system_sgpr_workgroup_info 0
		.amdhsa_system_vgpr_workitem_id 0
		.amdhsa_next_free_vgpr 16
		.amdhsa_next_free_sgpr 20
		.amdhsa_accum_offset 16
		.amdhsa_reserve_vcc 1
		.amdhsa_float_round_mode_32 0
		.amdhsa_float_round_mode_16_64 0
		.amdhsa_float_denorm_mode_32 3
		.amdhsa_float_denorm_mode_16_64 3
		.amdhsa_dx10_clamp 1
		.amdhsa_ieee_mode 1
		.amdhsa_fp16_overflow 0
		.amdhsa_tg_split 0
		.amdhsa_exception_fp_ieee_invalid_op 0
		.amdhsa_exception_fp_denorm_src 0
		.amdhsa_exception_fp_ieee_div_zero 0
		.amdhsa_exception_fp_ieee_overflow 0
		.amdhsa_exception_fp_ieee_underflow 0
		.amdhsa_exception_fp_ieee_inexact 0
		.amdhsa_exception_int_div_zero 0
	.end_amdhsa_kernel
	.section	.text._ZL33flash_attn_stream_k_fixup_uniformILi112ELi2ELi4EEvPfPK15HIP_vector_typeIfLj2EEiiiiiiS1_IjLj3EES5_S5_,"axG",@progbits,_ZL33flash_attn_stream_k_fixup_uniformILi112ELi2ELi4EEvPfPK15HIP_vector_typeIfLj2EEiiiiiiS1_IjLj3EES5_S5_,comdat
.Lfunc_end28:
	.size	_ZL33flash_attn_stream_k_fixup_uniformILi112ELi2ELi4EEvPfPK15HIP_vector_typeIfLj2EEiiiiiiS1_IjLj3EES5_S5_, .Lfunc_end28-_ZL33flash_attn_stream_k_fixup_uniformILi112ELi2ELi4EEvPfPK15HIP_vector_typeIfLj2EEiiiiiiS1_IjLj3EES5_S5_
                                        ; -- End function
	.section	.AMDGPU.csdata,"",@progbits
; Kernel info:
; codeLenInByte = 836
; NumSgprs: 26
; NumVgprs: 16
; NumAgprs: 0
; TotalNumVgprs: 16
; ScratchSize: 0
; MemoryBound: 0
; FloatMode: 240
; IeeeMode: 1
; LDSByteSize: 0 bytes/workgroup (compile time only)
; SGPRBlocks: 3
; VGPRBlocks: 1
; NumSGPRsForWavesPerEU: 26
; NumVGPRsForWavesPerEU: 16
; AccumOffset: 16
; Occupancy: 8
; WaveLimiterHint : 0
; COMPUTE_PGM_RSRC2:SCRATCH_EN: 0
; COMPUTE_PGM_RSRC2:USER_SGPR: 2
; COMPUTE_PGM_RSRC2:TRAP_HANDLER: 0
; COMPUTE_PGM_RSRC2:TGID_X_EN: 1
; COMPUTE_PGM_RSRC2:TGID_Y_EN: 1
; COMPUTE_PGM_RSRC2:TGID_Z_EN: 1
; COMPUTE_PGM_RSRC2:TIDIG_COMP_CNT: 0
; COMPUTE_PGM_RSRC3_GFX90A:ACCUM_OFFSET: 3
; COMPUTE_PGM_RSRC3_GFX90A:TG_SPLIT: 0
	.section	.text._ZL33flash_attn_stream_k_fixup_generalILi112ELi2ELi4EEvPfPK15HIP_vector_typeIfLj2EEiiiiS1_IjLj3EES5_S5_S5_,"axG",@progbits,_ZL33flash_attn_stream_k_fixup_generalILi112ELi2ELi4EEvPfPK15HIP_vector_typeIfLj2EEiiiiS1_IjLj3EES5_S5_S5_,comdat
	.globl	_ZL33flash_attn_stream_k_fixup_generalILi112ELi2ELi4EEvPfPK15HIP_vector_typeIfLj2EEiiiiS1_IjLj3EES5_S5_S5_ ; -- Begin function _ZL33flash_attn_stream_k_fixup_generalILi112ELi2ELi4EEvPfPK15HIP_vector_typeIfLj2EEiiiiS1_IjLj3EES5_S5_S5_
	.p2align	8
	.type	_ZL33flash_attn_stream_k_fixup_generalILi112ELi2ELi4EEvPfPK15HIP_vector_typeIfLj2EEiiiiS1_IjLj3EES5_S5_S5_,@function
_ZL33flash_attn_stream_k_fixup_generalILi112ELi2ELi4EEvPfPK15HIP_vector_typeIfLj2EEiiiiS1_IjLj3EES5_S5_S5_: ; @_ZL33flash_attn_stream_k_fixup_generalILi112ELi2ELi4EEvPfPK15HIP_vector_typeIfLj2EEiiiiS1_IjLj3EES5_S5_S5_
; %bb.0:
	s_load_dwordx4 s[12:15], s[0:1], 0x10
	s_load_dword s22, s[0:1], 0x50
	s_mov_b32 s8, 0
	s_waitcnt lgkmcnt(0)
	s_mul_hi_i32 s9, s15, s2
	s_cmp_lg_u64 s[8:9], 0
	s_mul_i32 s5, s15, s2
	s_cbranch_scc0 .LBB29_21
; %bb.1:
	v_cvt_f32_u32_e32 v1, s22
	v_cvt_f32_ubyte0_e32 v2, 0
	s_sub_u32 s8, 0, s22
	s_subb_u32 s10, 0, 0
	v_fmamk_f32 v1, v2, 0x4f800000, v1
	v_rcp_f32_e32 v1, v1
	s_nop 0
	v_mul_f32_e32 v1, 0x5f7ffffc, v1
	v_mul_f32_e32 v2, 0x2f800000, v1
	v_trunc_f32_e32 v2, v2
	v_fmamk_f32 v1, v2, 0xcf800000, v1
	v_cvt_u32_f32_e32 v2, v2
	v_cvt_u32_f32_e32 v1, v1
	v_readfirstlane_b32 s11, v2
	v_readfirstlane_b32 s16, v1
	s_mul_i32 s17, s8, s11
	s_mul_hi_u32 s19, s8, s16
	s_mul_i32 s18, s10, s16
	s_add_i32 s17, s19, s17
	s_add_i32 s17, s17, s18
	s_mul_i32 s20, s8, s16
	s_mul_hi_u32 s18, s16, s17
	s_mul_i32 s19, s16, s17
	s_mul_hi_u32 s16, s16, s20
	s_add_u32 s16, s16, s19
	s_addc_u32 s18, 0, s18
	s_mul_hi_u32 s21, s11, s20
	s_mul_i32 s20, s11, s20
	s_add_u32 s16, s16, s20
	s_mul_hi_u32 s19, s11, s17
	s_addc_u32 s16, s18, s21
	s_addc_u32 s18, s19, 0
	s_mul_i32 s17, s11, s17
	s_add_u32 s16, s16, s17
	s_addc_u32 s17, 0, s18
	v_add_co_u32_e32 v1, vcc, s16, v1
	s_cmp_lg_u64 vcc, 0
	s_addc_u32 s11, s11, s17
	v_readfirstlane_b32 s17, v1
	s_mul_i32 s16, s8, s11
	s_mul_hi_u32 s18, s8, s17
	s_add_i32 s16, s18, s16
	s_mul_i32 s10, s10, s17
	s_add_i32 s16, s16, s10
	s_mul_i32 s8, s8, s17
	s_mul_hi_u32 s18, s11, s8
	s_mul_i32 s19, s11, s8
	s_mul_i32 s21, s17, s16
	s_mul_hi_u32 s8, s17, s8
	s_mul_hi_u32 s20, s17, s16
	s_add_u32 s8, s8, s21
	s_addc_u32 s17, 0, s20
	s_add_u32 s8, s8, s19
	s_mul_hi_u32 s10, s11, s16
	s_addc_u32 s8, s17, s18
	s_addc_u32 s10, s10, 0
	s_mul_i32 s16, s11, s16
	s_add_u32 s8, s8, s16
	s_addc_u32 s10, 0, s10
	v_add_co_u32_e32 v1, vcc, s8, v1
	s_cmp_lg_u64 vcc, 0
	s_addc_u32 s16, s11, s10
	s_ashr_i32 s10, s9, 31
	s_add_u32 s8, s5, s10
	s_mov_b32 s11, s10
	s_addc_u32 s9, s9, s10
	s_xor_b64 s[8:9], s[8:9], s[10:11]
	v_readfirstlane_b32 s19, v1
	s_mul_i32 s18, s8, s16
	s_mul_hi_u32 s20, s8, s19
	s_mul_hi_u32 s17, s8, s16
	s_add_u32 s18, s20, s18
	s_addc_u32 s17, 0, s17
	s_mul_hi_u32 s21, s9, s19
	s_mul_i32 s19, s9, s19
	s_add_u32 s18, s18, s19
	s_mul_hi_u32 s20, s9, s16
	s_addc_u32 s17, s17, s21
	s_addc_u32 s18, s20, 0
	s_mul_i32 s16, s9, s16
	s_add_u32 s16, s17, s16
	s_addc_u32 s17, 0, s18
	s_add_u32 s18, s16, 1
	s_addc_u32 s19, s17, 0
	s_add_u32 s20, s16, 2
	s_mul_i32 s23, s22, s17
	s_mul_hi_u32 s24, s22, s16
	s_addc_u32 s21, s17, 0
	s_add_i32 s24, s24, s23
	s_mul_i32 s23, s22, s16
	v_mov_b32_e32 v1, s23
	v_sub_co_u32_e32 v1, vcc, s8, v1
	s_cmp_lg_u64 vcc, 0
	s_subb_u32 s8, s9, s24
	v_subrev_co_u32_e32 v2, vcc, s22, v1
	s_cmp_lg_u64 vcc, 0
	s_subb_u32 s9, s8, 0
	v_readfirstlane_b32 s23, v2
	s_cmp_ge_u32 s23, s22
	s_cselect_b32 s23, -1, 0
	s_cmp_eq_u32 s9, 0
	s_cselect_b32 s9, s23, -1
	s_cmp_lg_u32 s9, 0
	s_cselect_b32 s9, s21, s19
	v_readfirstlane_b32 s19, v1
	s_cselect_b32 s18, s20, s18
	s_cmp_ge_u32 s19, s22
	s_cselect_b32 s19, -1, 0
	s_cmp_eq_u32 s8, 0
	s_cselect_b32 s8, s19, -1
	s_cmp_lg_u32 s8, 0
	s_cselect_b32 s9, s9, s17
	s_cselect_b32 s8, s18, s16
	s_xor_b64 s[8:9], s[8:9], s[10:11]
	s_sub_u32 s20, s8, s10
	s_load_dwordx4 s[16:19], s[0:1], 0x44
	s_cbranch_execnz .LBB29_3
.LBB29_2:
	v_cvt_f32_u32_e32 v1, s22
	s_sub_i32 s6, 0, s22
	v_rcp_iflag_f32_e32 v1, v1
	s_nop 0
	v_mul_f32_e32 v1, 0x4f7ffffe, v1
	v_cvt_u32_f32_e32 v1, v1
	s_nop 0
	v_readfirstlane_b32 s7, v1
	s_mul_i32 s6, s6, s7
	s_mul_hi_u32 s6, s7, s6
	s_add_i32 s7, s7, s6
	s_mul_hi_u32 s6, s5, s7
	s_mul_i32 s8, s6, s22
	s_sub_i32 s5, s5, s8
	s_add_i32 s7, s6, 1
	s_sub_i32 s8, s5, s22
	s_cmp_ge_u32 s5, s22
	s_cselect_b32 s6, s7, s6
	s_cselect_b32 s5, s8, s5
	s_add_i32 s7, s6, 1
	s_cmp_ge_u32 s5, s22
	s_cselect_b32 s20, s7, s6
.LBB29_3:
	s_add_i32 s5, s2, 1
	s_mul_hi_i32 s9, s15, s5
	s_mov_b32 s8, 0
	s_cmp_lg_u64 s[8:9], 0
	s_mul_i32 s5, s15, s5
	s_cbranch_scc0 .LBB29_22
; %bb.4:
	v_cvt_f32_u32_e32 v1, s22
	v_cvt_f32_ubyte0_e32 v2, 0
	s_sub_u32 s8, 0, s22
	s_subb_u32 s10, 0, 0
	v_fmamk_f32 v1, v2, 0x4f800000, v1
	v_rcp_f32_e32 v1, v1
	s_nop 0
	v_mul_f32_e32 v1, 0x5f7ffffc, v1
	v_mul_f32_e32 v2, 0x2f800000, v1
	v_trunc_f32_e32 v2, v2
	v_fmamk_f32 v1, v2, 0xcf800000, v1
	v_cvt_u32_f32_e32 v2, v2
	v_cvt_u32_f32_e32 v1, v1
	v_readfirstlane_b32 s11, v2
	s_waitcnt lgkmcnt(0)
	v_readfirstlane_b32 s19, v1
	s_mul_i32 s21, s8, s11
	s_mul_hi_u32 s24, s8, s19
	s_mul_i32 s23, s10, s19
	s_add_i32 s21, s24, s21
	s_add_i32 s21, s21, s23
	s_mul_i32 s25, s8, s19
	s_mul_hi_u32 s23, s19, s21
	s_mul_i32 s24, s19, s21
	s_mul_hi_u32 s19, s19, s25
	s_add_u32 s19, s19, s24
	s_addc_u32 s23, 0, s23
	s_mul_hi_u32 s26, s11, s25
	s_mul_i32 s25, s11, s25
	s_add_u32 s19, s19, s25
	s_mul_hi_u32 s24, s11, s21
	s_addc_u32 s19, s23, s26
	s_addc_u32 s23, s24, 0
	s_mul_i32 s21, s11, s21
	s_add_u32 s19, s19, s21
	s_addc_u32 s21, 0, s23
	v_add_co_u32_e32 v1, vcc, s19, v1
	s_cmp_lg_u64 vcc, 0
	s_addc_u32 s11, s11, s21
	v_readfirstlane_b32 s21, v1
	s_mul_i32 s19, s8, s11
	s_mul_hi_u32 s23, s8, s21
	s_add_i32 s19, s23, s19
	s_mul_i32 s10, s10, s21
	s_add_i32 s19, s19, s10
	s_mul_i32 s8, s8, s21
	s_mul_hi_u32 s23, s11, s8
	s_mul_i32 s24, s11, s8
	s_mul_i32 s26, s21, s19
	s_mul_hi_u32 s8, s21, s8
	s_mul_hi_u32 s25, s21, s19
	s_add_u32 s8, s8, s26
	s_addc_u32 s21, 0, s25
	s_add_u32 s8, s8, s24
	s_mul_hi_u32 s10, s11, s19
	s_addc_u32 s8, s21, s23
	s_addc_u32 s10, s10, 0
	s_mul_i32 s19, s11, s19
	s_add_u32 s8, s8, s19
	s_addc_u32 s10, 0, s10
	v_add_co_u32_e32 v1, vcc, s8, v1
	s_cmp_lg_u64 vcc, 0
	s_addc_u32 s19, s11, s10
	s_ashr_i32 s10, s9, 31
	s_add_u32 s8, s5, s10
	s_mov_b32 s11, s10
	s_addc_u32 s9, s9, s10
	s_xor_b64 s[8:9], s[8:9], s[10:11]
	v_readfirstlane_b32 s23, v1
	s_mul_i32 s21, s8, s19
	s_mul_hi_u32 s24, s8, s23
	s_mul_hi_u32 s11, s8, s19
	s_add_u32 s21, s24, s21
	s_addc_u32 s11, 0, s11
	s_mul_hi_u32 s25, s9, s23
	s_mul_i32 s23, s9, s23
	s_add_u32 s21, s21, s23
	s_mul_hi_u32 s24, s9, s19
	s_addc_u32 s11, s11, s25
	s_addc_u32 s21, s24, 0
	s_mul_i32 s19, s9, s19
	s_add_u32 s11, s11, s19
	s_addc_u32 s19, 0, s21
	s_mul_i32 s19, s22, s19
	s_mul_hi_u32 s24, s22, s11
	s_add_i32 s24, s24, s19
	s_mul_i32 s19, s22, s11
	v_mov_b32_e32 v1, s19
	s_add_u32 s21, s11, 1
	s_add_u32 s23, s11, 2
	v_sub_co_u32_e32 v1, vcc, s8, v1
	s_cmp_lg_u64 vcc, 0
	s_subb_u32 s8, s9, s24
	v_subrev_co_u32_e32 v2, vcc, s22, v1
	s_cmp_lg_u64 vcc, 0
	s_subb_u32 s9, s8, 0
	v_cmp_le_u32_e32 vcc, s22, v2
	s_cmp_eq_u32 s9, 0
	v_mov_b32_e32 v3, s21
	v_cndmask_b32_e64 v2, 0, -1, vcc
	s_cselect_b64 vcc, -1, 0
	v_cndmask_b32_e32 v2, -1, v2, vcc
	v_mov_b32_e32 v4, s23
	v_cmp_ne_u32_e32 vcc, 0, v2
	s_cmp_eq_u32 s8, 0
	s_nop 0
	v_cndmask_b32_e32 v2, v3, v4, vcc
	v_cmp_le_u32_e32 vcc, s22, v1
	v_mov_b32_e32 v3, s11
	s_nop 0
	v_cndmask_b32_e64 v1, 0, -1, vcc
	s_cselect_b64 vcc, -1, 0
	v_cndmask_b32_e32 v1, -1, v1, vcc
	v_cmp_ne_u32_e32 vcc, 0, v1
	s_nop 1
	v_cndmask_b32_e32 v1, v3, v2, vcc
	v_xor_b32_e32 v1, s10, v1
	v_subrev_co_u32_e32 v2, vcc, s10, v1
	s_cbranch_execnz .LBB29_6
.LBB29_5:
	v_cvt_f32_u32_e32 v1, s22
	s_sub_i32 s6, 0, s22
	s_mov_b32 s7, 0
	v_rcp_iflag_f32_e32 v1, v1
	s_nop 0
	v_mul_f32_e32 v1, 0x4f7ffffe, v1
	v_cvt_u32_f32_e32 v1, v1
	s_nop 0
	v_readfirstlane_b32 s8, v1
	s_mul_i32 s6, s6, s8
	s_mul_hi_u32 s6, s8, s6
	s_add_i32 s8, s8, s6
	s_mul_hi_u32 s6, s5, s8
	s_mul_i32 s9, s6, s22
	s_sub_i32 s5, s5, s9
	s_add_i32 s8, s6, 1
	s_sub_i32 s9, s5, s22
	s_cmp_ge_u32 s5, s22
	s_cselect_b32 s6, s8, s6
	s_cselect_b32 s5, s9, s5
	s_add_i32 s8, s6, 1
	s_cmp_ge_u32 s5, s22
	s_cselect_b32 s6, s8, s6
	v_mov_b64_e32 v[2:3], s[6:7]
.LBB29_6:
	s_waitcnt lgkmcnt(0)
	s_mul_hi_u32 s5, s20, s16
	s_add_i32 s5, s5, s20
	v_mul_hi_u32 v1, v2, s16
	s_lshr_b32 s19, s5, s17
	v_add_u32_e32 v1, v1, v2
	s_mul_i32 s5, s19, s18
	v_lshrrev_b32_e32 v1, s17, v1
	s_cmp_eq_u32 s5, s20
	v_cmp_eq_u32_e64 s[6:7], s19, v1
	v_mul_lo_u32 v1, v1, s18
	v_cmp_eq_u32_e32 vcc, s20, v2
	s_cselect_b64 s[10:11], -1, 0
	v_cmp_ne_u32_e64 s[8:9], v1, v2
	s_and_b64 s[6:7], s[6:7], s[8:9]
	s_or_b64 s[8:9], vcc, s[10:11]
	s_or_b64 s[6:7], s[8:9], s[6:7]
	s_and_b64 vcc, exec, s[6:7]
	s_cbranch_vccnz .LBB29_24
; %bb.7:
	s_load_dwordx8 s[24:31], s[0:1], 0x20
	s_load_dword s5, s[0:1], 0x40
	s_waitcnt lgkmcnt(0)
	s_mul_hi_u32 s6, s20, s24
	s_add_i32 s6, s6, s20
	s_lshr_b32 s7, s6, s25
	s_mul_i32 s6, s7, s26
	s_sub_i32 s6, s20, s6
	s_mul_hi_u32 s8, s6, s27
	s_add_i32 s8, s6, s8
	s_lshr_b32 s23, s8, s28
	s_mul_i32 s8, s23, s29
	s_sub_i32 s6, s6, s8
	s_mul_hi_u32 s8, s6, s30
	s_add_i32 s8, s6, s8
	s_lshr_b32 s8, s8, s31
	s_mul_i32 s5, s8, s5
	s_sub_i32 s5, s6, s5
	s_mul_hi_u32 s6, s5, s16
	s_add_i32 s5, s5, s6
	s_lshr_b32 s24, s5, s17
	s_lshl_b32 s5, s24, 1
	s_lshl_b32 s25, s8, 2
	s_add_i32 s5, s5, s3
	s_cmp_lt_i32 s5, s12
	s_cselect_b64 s[8:9], -1, 0
	s_add_i32 s25, s25, s4
	s_cmp_lt_i32 s25, s14
	s_cselect_b64 s[10:11], -1, 0
	s_and_b64 s[8:9], s[8:9], s[10:11]
	s_andn2_b64 vcc, exec, s[8:9]
	s_mov_b32 s6, 0
	s_cbranch_vccnz .LBB29_24
; %bb.8:
	s_load_dwordx4 s[8:11], s[0:1], 0x0
	s_lshl_b32 s21, s3, 2
	s_lshl_b32 s0, s22, 5
	s_mov_b32 s1, s6
	s_add_i32 s21, s21, s4
	s_lshl_b64 s[0:1], s[0:1], 2
	s_waitcnt lgkmcnt(0)
	s_add_u32 s4, s10, s0
	s_mul_i32 s0, s7, s12
	s_addc_u32 s5, s11, s1
	s_mul_i32 s23, s23, s14
	s_add_i32 s0, s0, s3
	s_mul_i32 s0, s0, s13
	s_add_i32 s3, s25, s23
	;; [unrolled: 2-line block ×3, first 2 shown]
	s_mulk_i32 s1, 0xe0
	s_mulk_i32 s0, 0x70
	s_add_i32 s1, s1, s0
	v_add_u32_e32 v4, s1, v0
	v_mov_b32_e32 v2, s8
	v_mov_b32_e32 v3, s9
	v_ashrrev_i32_e32 v5, 31, v4
	v_lshl_add_u64 v[2:3], v[4:5], 2, v[2:3]
	global_load_dword v5, v[2:3], off
	s_lshl_b32 s0, s2, 3
	s_add_i32 s0, s21, s0
	s_ashr_i32 s1, s0, 31
	s_lshl_b64 s[0:1], s[0:1], 3
	s_add_u32 s0, s10, s0
	s_addc_u32 s1, s11, s1
	s_add_i32 s12, s2, -1
	s_mul_i32 s2, s21, 0x70
	v_add_u32_e32 v4, s2, v0
	v_cvt_f32_u32_e32 v0, s22
	v_cvt_f32_ubyte0_e32 v1, 0
	s_load_dwordx2 s[0:1], s[0:1], 0x0
	v_mov_b32_e32 v8, s20
	v_fmac_f32_e32 v0, 0x4f800000, v1
	v_rcp_f32_e32 v0, v0
	v_cvt_f32_u32_e32 v1, s22
	s_waitcnt lgkmcnt(0)
	v_mov_b32_e32 v6, s1
	v_mov_b32_e32 v7, s0
	v_mul_f32_e32 v0, 0x5f7ffffc, v0
	v_rcp_iflag_f32_e32 v1, v1
	v_mul_f32_e32 v9, 0x2f800000, v0
	v_trunc_f32_e32 v10, v9
	v_fmac_f32_e32 v0, 0xcf800000, v10
	v_cvt_u32_f32_e32 v9, v0
	v_mul_f32_e32 v0, 0x4f7ffffe, v1
	v_cvt_u32_f32_e32 v10, v10
	v_cvt_u32_f32_e32 v11, v0
	s_mov_b32 s8, 0x3fb8aa3b
	s_mov_b32 s9, 0xc2ce8ed0
	;; [unrolled: 1-line block ×4, first 2 shown]
	v_mov_b32_e32 v12, 0x7f800000
	s_mul_hi_i32 s7, s12, s15
	s_cmp_lg_u64 s[6:7], 0
	s_mul_i32 s2, s12, s15
	s_cbranch_scc0 .LBB29_15
.LBB29_9:
	s_sub_u32 s0, 0, s22
	v_readfirstlane_b32 s3, v9
	v_readfirstlane_b32 s24, v10
	s_subb_u32 s1, 0, 0
	s_mul_hi_u32 s23, s0, s3
	s_mul_i32 s25, s0, s24
	s_mul_i32 s20, s1, s3
	s_add_i32 s23, s23, s25
	s_add_i32 s23, s23, s20
	s_mul_i32 s26, s0, s3
	s_mul_hi_u32 s20, s3, s23
	s_mul_i32 s25, s3, s23
	s_mul_hi_u32 s3, s3, s26
	s_add_u32 s3, s3, s25
	s_addc_u32 s20, 0, s20
	s_mul_hi_u32 s27, s24, s26
	s_mul_i32 s26, s24, s26
	s_add_u32 s3, s3, s26
	s_mul_hi_u32 s25, s24, s23
	s_addc_u32 s3, s20, s27
	s_addc_u32 s20, s25, 0
	s_mul_i32 s23, s24, s23
	s_add_u32 s3, s3, s23
	s_addc_u32 s20, 0, s20
	v_add_co_u32_e32 v0, vcc, s3, v9
	s_cmp_lg_u64 vcc, 0
	s_addc_u32 s3, s24, s20
	v_readfirstlane_b32 s23, v0
	s_mul_i32 s20, s0, s3
	s_mul_hi_u32 s24, s0, s23
	s_add_i32 s20, s24, s20
	s_mul_i32 s1, s1, s23
	s_add_i32 s20, s20, s1
	s_mul_i32 s0, s0, s23
	s_mul_hi_u32 s24, s3, s0
	s_mul_i32 s25, s3, s0
	s_mul_i32 s27, s23, s20
	s_mul_hi_u32 s0, s23, s0
	s_mul_hi_u32 s26, s23, s20
	s_add_u32 s0, s0, s27
	s_addc_u32 s23, 0, s26
	s_add_u32 s0, s0, s25
	s_mul_hi_u32 s1, s3, s20
	s_addc_u32 s0, s23, s24
	s_addc_u32 s1, s1, 0
	s_mul_i32 s20, s3, s20
	s_add_u32 s0, s0, s20
	s_addc_u32 s1, 0, s1
	v_add_co_u32_e32 v0, vcc, s0, v0
	s_cmp_lg_u64 vcc, 0
	s_addc_u32 s3, s3, s1
	s_ashr_i32 s0, s7, 31
	s_add_u32 s24, s2, s0
	s_mov_b32 s1, s0
	s_addc_u32 s25, s7, s0
	s_xor_b64 s[24:25], s[24:25], s[0:1]
	v_readfirstlane_b32 s20, v0
	s_mul_i32 s7, s24, s3
	s_mul_hi_u32 s23, s24, s20
	s_mul_hi_u32 s1, s24, s3
	s_add_u32 s7, s23, s7
	s_addc_u32 s1, 0, s1
	s_mul_hi_u32 s26, s25, s20
	s_mul_i32 s20, s25, s20
	s_add_u32 s7, s7, s20
	s_mul_hi_u32 s23, s25, s3
	s_addc_u32 s1, s1, s26
	s_addc_u32 s7, s23, 0
	s_mul_i32 s3, s25, s3
	s_add_u32 s1, s1, s3
	s_addc_u32 s3, 0, s7
	s_mul_i32 s3, s22, s3
	s_mul_hi_u32 s23, s22, s1
	s_add_i32 s23, s23, s3
	s_mul_i32 s3, s22, s1
	v_mov_b32_e32 v0, s3
	s_add_u32 s7, s1, 1
	s_add_u32 s20, s1, 2
	v_sub_co_u32_e32 v0, vcc, s24, v0
	s_cmp_lg_u64 vcc, 0
	s_subb_u32 s3, s25, s23
	v_subrev_co_u32_e32 v1, vcc, s22, v0
	s_cmp_lg_u64 vcc, 0
	s_subb_u32 s23, s3, 0
	v_cmp_le_u32_e32 vcc, s22, v1
	s_cmp_eq_u32 s23, 0
	v_mov_b32_e32 v13, s7
	v_cndmask_b32_e64 v1, 0, -1, vcc
	s_cselect_b64 vcc, -1, 0
	v_cndmask_b32_e32 v1, -1, v1, vcc
	v_mov_b32_e32 v14, s20
	v_cmp_ne_u32_e32 vcc, 0, v1
	s_cmp_eq_u32 s3, 0
	s_nop 0
	v_cndmask_b32_e32 v1, v13, v14, vcc
	v_cmp_le_u32_e32 vcc, s22, v0
	v_mov_b32_e32 v13, s1
	s_nop 0
	v_cndmask_b32_e64 v0, 0, -1, vcc
	s_cselect_b64 vcc, -1, 0
	v_cndmask_b32_e32 v0, -1, v0, vcc
	v_cmp_ne_u32_e32 vcc, 0, v0
	s_nop 1
	v_cndmask_b32_e32 v0, v13, v1, vcc
	v_xor_b32_e32 v0, s0, v0
	v_subrev_co_u32_e32 v0, vcc, s0, v0
	s_cbranch_execnz .LBB29_11
.LBB29_10:
	s_sub_i32 s0, 0, s22
	v_mul_lo_u32 v0, s0, v11
	v_mul_hi_u32 v0, v11, v0
	v_add_u32_e32 v0, v11, v0
	v_mul_hi_u32 v0, s2, v0
	v_mul_lo_u32 v13, v0, s22
	v_sub_u32_e32 v13, s2, v13
	v_add_u32_e32 v1, 1, v0
	v_subrev_u32_e32 v14, s22, v13
	v_cmp_le_u32_e32 vcc, s22, v13
	s_nop 1
	v_cndmask_b32_e32 v13, v13, v14, vcc
	v_cndmask_b32_e32 v0, v0, v1, vcc
	v_add_u32_e32 v1, 1, v0
	v_cmp_le_u32_e32 vcc, s22, v13
	s_nop 1
	v_cndmask_b32_e32 v0, v0, v1, vcc
.LBB29_11:
	v_cmp_ne_u32_e32 vcc, v8, v0
	s_cbranch_vccz .LBB29_14
; %bb.12:
	s_add_i32 s0, s12, s22
	s_lshl_b32 s0, s0, 3
	v_mul_hi_u32 v1, v0, s16
	s_add_i32 s0, s0, s21
	s_mov_b32 s1, s6
	v_add_u32_e32 v1, v1, v0
	s_lshl_b64 s[0:1], s[0:1], 3
	v_lshrrev_b32_e32 v1, s17, v1
	s_add_u32 s2, s10, s0
	v_mul_lo_u32 v13, v1, s18
	s_addc_u32 s3, s11, s1
	v_cmp_eq_u32_e32 vcc, v13, v0
	v_cmp_gt_u32_e64 s[0:1], s19, v1
	s_or_b64 s[0:1], s[0:1], vcc
	s_and_b64 vcc, exec, s[0:1]
	s_cbranch_vccnz .LBB29_16
; %bb.13:
	s_add_i32 s7, s12, -1
	s_mov_b64 s[0:1], 0
	s_branch .LBB29_17
.LBB29_14:
                                        ; implicit-def: $sgpr0_sgpr1
                                        ; implicit-def: $vgpr14
                                        ; implicit-def: $vgpr1
                                        ; implicit-def: $vgpr13
                                        ; implicit-def: $sgpr7
                                        ; implicit-def: $vgpr0
	s_branch .LBB29_18
.LBB29_15:
                                        ; implicit-def: $vgpr0_vgpr1
	s_branch .LBB29_10
.LBB29_16:
	s_mov_b64 s[0:1], -1
	s_mov_b32 s7, s12
	v_mov_b32_e32 v0, v8
.LBB29_17:
	s_mul_i32 s20, s12, 0x380
	v_add_u32_e32 v14, s20, v4
	v_ashrrev_i32_e32 v15, 31, v14
	v_lshl_add_u64 v[14:15], v[14:15], 2, s[4:5]
	global_load_dword v14, v[14:15], off
	s_load_dwordx2 s[2:3], s[2:3], 0x0
	v_max_f32_e32 v1, v7, v7
	s_waitcnt lgkmcnt(0)
	v_max_f32_e64 v13, s2, s2
	v_max_f32_e32 v1, v1, v13
	v_sub_f32_e32 v13, v7, v1
	v_sub_f32_e32 v15, s2, v1
	v_mul_f32_e32 v16, 0x3fb8aa3b, v13
	v_mul_f32_e32 v17, 0x3fb8aa3b, v15
	v_fma_f32 v18, v13, s8, -v16
	v_rndne_f32_e32 v19, v16
	v_fma_f32 v20, v15, s8, -v17
	v_rndne_f32_e32 v21, v17
	v_fmac_f32_e32 v18, 0x32a5705f, v13
	v_sub_f32_e32 v16, v16, v19
	v_fmac_f32_e32 v20, 0x32a5705f, v15
	v_sub_f32_e32 v17, v17, v21
	v_add_f32_e32 v16, v16, v18
	v_cvt_i32_f32_e32 v19, v19
	v_add_f32_e32 v17, v17, v20
	v_exp_f32_e32 v16, v16
	v_cvt_i32_f32_e32 v21, v21
	v_exp_f32_e32 v17, v17
	v_cmp_ngt_f32_e32 vcc, s9, v13
	v_ldexp_f32 v16, v16, v19
	v_ldexp_f32 v17, v17, v21
	v_cndmask_b32_e32 v16, 0, v16, vcc
	v_cmp_ngt_f32_e32 vcc, s9, v15
	s_nop 1
	v_cndmask_b32_e32 v17, 0, v17, vcc
	v_cmp_nlt_f32_e32 vcc, s13, v13
	s_nop 1
	v_cndmask_b32_e32 v16, v12, v16, vcc
	v_cmp_nlt_f32_e32 vcc, s13, v15
	s_nop 1
	v_cndmask_b32_e32 v17, v12, v17, vcc
	v_cmp_le_f32_e32 vcc, s14, v13
	s_nop 1
	v_cndmask_b32_e32 v16, 0, v16, vcc
	v_cmp_le_f32_e32 vcc, s14, v15
	s_nop 1
	v_cndmask_b32_e32 v15, 0, v17, vcc
	v_mul_f32_e32 v13, s3, v15
	v_fmac_f32_e32 v13, v6, v16
	s_waitcnt vmcnt(0)
	v_mul_f32_e32 v14, v14, v15
	v_fmac_f32_e32 v14, v5, v16
	s_cbranch_execnz .LBB29_19
.LBB29_18:
	s_add_i32 s7, s12, -1
	s_mov_b64 s[0:1], 0
	v_mov_b32_e32 v0, v8
	v_mov_b32_e32 v13, v6
	;; [unrolled: 1-line block ×3, first 2 shown]
	s_waitcnt vmcnt(0)
	v_mov_b32_e32 v14, v5
.LBB29_19:
	s_andn2_b64 vcc, exec, s[0:1]
	s_cbranch_vccz .LBB29_23
; %bb.20:
	v_mov_b32_e32 v8, v0
	s_mov_b32 s12, s7
	v_mov_b32_e32 v6, v13
	v_mov_b32_e32 v7, v1
	s_waitcnt vmcnt(0)
	v_mov_b32_e32 v5, v14
	s_mul_hi_i32 s7, s12, s15
	s_cmp_lg_u64 s[6:7], 0
	s_mul_i32 s2, s12, s15
	s_cbranch_scc1 .LBB29_9
	s_branch .LBB29_15
.LBB29_21:
                                        ; implicit-def: $sgpr20_sgpr21
	s_load_dwordx4 s[16:19], s[0:1], 0x44
	s_branch .LBB29_2
.LBB29_22:
                                        ; implicit-def: $vgpr2_vgpr3
	s_branch .LBB29_5
.LBB29_23:
	v_div_scale_f32 v0, s[0:1], v13, v13, v14
	v_rcp_f32_e32 v1, v0
	v_div_scale_f32 v4, vcc, v14, v13, v14
	s_waitcnt vmcnt(0)
	v_fma_f32 v5, -v0, v1, 1.0
	v_fmac_f32_e32 v1, v5, v1
	v_mul_f32_e32 v5, v4, v1
	v_fma_f32 v6, -v0, v5, v4
	v_fmac_f32_e32 v5, v6, v1
	v_fma_f32 v0, -v0, v5, v4
	v_div_fmas_f32 v0, v0, v1, v5
	v_div_fixup_f32 v0, v0, v13, v14
	global_store_dword v[2:3], v0, off
.LBB29_24:
	s_endpgm
	.section	.rodata,"a",@progbits
	.p2align	6, 0x0
	.amdhsa_kernel _ZL33flash_attn_stream_k_fixup_generalILi112ELi2ELi4EEvPfPK15HIP_vector_typeIfLj2EEiiiiS1_IjLj3EES5_S5_S5_
		.amdhsa_group_segment_fixed_size 0
		.amdhsa_private_segment_fixed_size 0
		.amdhsa_kernarg_size 336
		.amdhsa_user_sgpr_count 2
		.amdhsa_user_sgpr_dispatch_ptr 0
		.amdhsa_user_sgpr_queue_ptr 0
		.amdhsa_user_sgpr_kernarg_segment_ptr 1
		.amdhsa_user_sgpr_dispatch_id 0
		.amdhsa_user_sgpr_kernarg_preload_length 0
		.amdhsa_user_sgpr_kernarg_preload_offset 0
		.amdhsa_user_sgpr_private_segment_size 0
		.amdhsa_uses_dynamic_stack 0
		.amdhsa_enable_private_segment 0
		.amdhsa_system_sgpr_workgroup_id_x 1
		.amdhsa_system_sgpr_workgroup_id_y 1
		.amdhsa_system_sgpr_workgroup_id_z 1
		.amdhsa_system_sgpr_workgroup_info 0
		.amdhsa_system_vgpr_workitem_id 0
		.amdhsa_next_free_vgpr 22
		.amdhsa_next_free_sgpr 32
		.amdhsa_accum_offset 24
		.amdhsa_reserve_vcc 1
		.amdhsa_float_round_mode_32 0
		.amdhsa_float_round_mode_16_64 0
		.amdhsa_float_denorm_mode_32 3
		.amdhsa_float_denorm_mode_16_64 3
		.amdhsa_dx10_clamp 1
		.amdhsa_ieee_mode 1
		.amdhsa_fp16_overflow 0
		.amdhsa_tg_split 0
		.amdhsa_exception_fp_ieee_invalid_op 0
		.amdhsa_exception_fp_denorm_src 0
		.amdhsa_exception_fp_ieee_div_zero 0
		.amdhsa_exception_fp_ieee_overflow 0
		.amdhsa_exception_fp_ieee_underflow 0
		.amdhsa_exception_fp_ieee_inexact 0
		.amdhsa_exception_int_div_zero 0
	.end_amdhsa_kernel
	.section	.text._ZL33flash_attn_stream_k_fixup_generalILi112ELi2ELi4EEvPfPK15HIP_vector_typeIfLj2EEiiiiS1_IjLj3EES5_S5_S5_,"axG",@progbits,_ZL33flash_attn_stream_k_fixup_generalILi112ELi2ELi4EEvPfPK15HIP_vector_typeIfLj2EEiiiiS1_IjLj3EES5_S5_S5_,comdat
.Lfunc_end29:
	.size	_ZL33flash_attn_stream_k_fixup_generalILi112ELi2ELi4EEvPfPK15HIP_vector_typeIfLj2EEiiiiS1_IjLj3EES5_S5_S5_, .Lfunc_end29-_ZL33flash_attn_stream_k_fixup_generalILi112ELi2ELi4EEvPfPK15HIP_vector_typeIfLj2EEiiiiS1_IjLj3EES5_S5_S5_
                                        ; -- End function
	.section	.AMDGPU.csdata,"",@progbits
; Kernel info:
; codeLenInByte = 2868
; NumSgprs: 38
; NumVgprs: 22
; NumAgprs: 0
; TotalNumVgprs: 22
; ScratchSize: 0
; MemoryBound: 0
; FloatMode: 240
; IeeeMode: 1
; LDSByteSize: 0 bytes/workgroup (compile time only)
; SGPRBlocks: 4
; VGPRBlocks: 2
; NumSGPRsForWavesPerEU: 38
; NumVGPRsForWavesPerEU: 22
; AccumOffset: 24
; Occupancy: 8
; WaveLimiterHint : 0
; COMPUTE_PGM_RSRC2:SCRATCH_EN: 0
; COMPUTE_PGM_RSRC2:USER_SGPR: 2
; COMPUTE_PGM_RSRC2:TRAP_HANDLER: 0
; COMPUTE_PGM_RSRC2:TGID_X_EN: 1
; COMPUTE_PGM_RSRC2:TGID_Y_EN: 1
; COMPUTE_PGM_RSRC2:TGID_Z_EN: 1
; COMPUTE_PGM_RSRC2:TIDIG_COMP_CNT: 0
; COMPUTE_PGM_RSRC3_GFX90A:ACCUM_OFFSET: 5
; COMPUTE_PGM_RSRC3_GFX90A:TG_SPLIT: 0
	.section	.text._ZL15flash_attn_tileILi112ELi112ELi1ELi4ELb0EEvPKcS1_S1_S1_S1_PKiPfP15HIP_vector_typeIfLj2EEffffjfiS5_IjLj3EEiiiiiiiiiiiliiliiiiil,"axG",@progbits,_ZL15flash_attn_tileILi112ELi112ELi1ELi4ELb0EEvPKcS1_S1_S1_S1_PKiPfP15HIP_vector_typeIfLj2EEffffjfiS5_IjLj3EEiiiiiiiiiiiliiliiiiil,comdat
	.globl	_ZL15flash_attn_tileILi112ELi112ELi1ELi4ELb0EEvPKcS1_S1_S1_S1_PKiPfP15HIP_vector_typeIfLj2EEffffjfiS5_IjLj3EEiiiiiiiiiiiliiliiiiil ; -- Begin function _ZL15flash_attn_tileILi112ELi112ELi1ELi4ELb0EEvPKcS1_S1_S1_S1_PKiPfP15HIP_vector_typeIfLj2EEffffjfiS5_IjLj3EEiiiiiiiiiiiliiliiiiil
	.p2align	8
	.type	_ZL15flash_attn_tileILi112ELi112ELi1ELi4ELb0EEvPKcS1_S1_S1_S1_PKiPfP15HIP_vector_typeIfLj2EEffffjfiS5_IjLj3EEiiiiiiiiiiiliiliiiiil,@function
_ZL15flash_attn_tileILi112ELi112ELi1ELi4ELb0EEvPKcS1_S1_S1_S1_PKiPfP15HIP_vector_typeIfLj2EEffffjfiS5_IjLj3EEiiiiiiiiiiiliiliiiiil: ; @_ZL15flash_attn_tileILi112ELi112ELi1ELi4ELb0EEvPKcS1_S1_S1_S1_PKiPfP15HIP_vector_typeIfLj2EEffffjfiS5_IjLj3EEiiiiiiiiiiiliiliiiiil
; %bb.0:
	s_load_dwordx4 s[24:27], s[0:1], 0x5c
	s_load_dwordx2 s[28:29], s[0:1], 0x80
	s_mov_b64 s[30:31], 0
	s_waitcnt lgkmcnt(0)
	s_ashr_i32 s5, s27, 31
	s_lshr_b32 s5, s5, 30
	s_add_i32 s5, s27, s5
	s_ashr_i32 s5, s5, 2
	v_cvt_f32_u32_e32 v1, s5
	s_sub_i32 s6, 0, s5
	v_rcp_iflag_f32_e32 v1, v1
	s_nop 0
	v_mul_f32_e32 v1, 0x4f7ffffe, v1
	v_cvt_u32_f32_e32 v1, v1
	s_nop 0
	v_readfirstlane_b32 s7, v1
	s_mul_i32 s6, s6, s7
	s_mul_hi_u32 s6, s7, s6
	s_add_i32 s7, s7, s6
	s_mul_hi_u32 s6, s4, s7
	s_mul_i32 s7, s6, s5
	s_sub_i32 s7, s4, s7
	s_add_i32 s8, s6, 1
	s_sub_i32 s9, s7, s5
	s_cmp_ge_u32 s7, s5
	s_cselect_b32 s6, s8, s6
	s_cselect_b32 s7, s9, s7
	s_add_i32 s8, s6, 1
	s_cmp_ge_u32 s7, s5
	s_cselect_b32 s33, s8, s6
	s_abs_i32 s5, s29
	v_cvt_f32_u32_e32 v1, s5
	s_sub_i32 s8, 0, s5
	s_abs_i32 s7, s27
	s_lshl_b32 s6, s4, 2
	v_rcp_iflag_f32_e32 v1, v1
	s_xor_b32 s4, s27, s29
	s_ashr_i32 s4, s4, 31
	v_mul_f32_e32 v1, 0x4f7ffffe, v1
	v_cvt_u32_f32_e32 v1, v1
	s_nop 0
	v_readfirstlane_b32 s9, v1
	s_mul_i32 s8, s8, s9
	s_mul_hi_u32 s8, s9, s8
	s_add_i32 s9, s9, s8
	s_mul_hi_u32 s8, s7, s9
	s_mul_i32 s9, s8, s5
	s_sub_i32 s7, s7, s9
	s_add_i32 s10, s8, 1
	s_sub_i32 s9, s7, s5
	s_cmp_ge_u32 s7, s5
	s_cselect_b32 s8, s10, s8
	s_cselect_b32 s7, s9, s7
	s_add_i32 s9, s8, 1
	s_cmp_ge_u32 s7, s5
	s_cselect_b32 s5, s9, s8
	s_xor_b32 s5, s5, s4
	s_sub_i32 s35, s5, s4
	s_abs_i32 s34, s35
	v_cvt_f32_u32_e32 v1, s34
	s_load_dwordx16 s[8:23], s[0:1], 0x0
	s_load_dwordx2 s[4:5], s[0:1], 0xb8
	s_mul_i32 s7, s33, s27
	v_rcp_iflag_f32_e32 v1, v1
	s_waitcnt lgkmcnt(0)
	s_cmp_eq_u64 s[14:15], 0
	v_mul_f32_e32 v1, 0x4f7ffffe, v1
	v_cvt_u32_f32_e32 v1, v1
	s_nop 0
	v_readfirstlane_b32 s37, v1
	s_cbranch_scc1 .LBB30_2
; %bb.1:
	s_abs_i32 s4, s4
	v_cvt_f32_u32_e32 v1, s4
	s_sub_i32 s38, 0, s4
	s_abs_i32 s36, s33
	s_ashr_i32 s29, s33, 31
	v_rcp_iflag_f32_e32 v1, v1
	s_load_dwordx2 s[30:31], s[0:1], 0xc8
	v_mul_f32_e32 v1, 0x4f7ffffe, v1
	v_cvt_u32_f32_e32 v1, v1
	s_nop 0
	v_readfirstlane_b32 s39, v1
	s_mul_i32 s38, s38, s39
	s_mul_hi_u32 s38, s39, s38
	s_add_i32 s39, s39, s38
	s_mul_hi_u32 s38, s36, s39
	s_mul_i32 s38, s38, s4
	s_sub_i32 s36, s36, s38
	s_sub_i32 s38, s36, s4
	s_cmp_ge_u32 s36, s4
	s_cselect_b32 s36, s38, s36
	s_sub_i32 s38, s36, s4
	s_cmp_ge_u32 s36, s4
	s_cselect_b32 s4, s38, s36
	s_xor_b32 s4, s4, s29
	s_sub_i32 s4, s4, s29
	s_ashr_i32 s29, s4, 31
	s_waitcnt lgkmcnt(0)
	s_mul_i32 s31, s4, s31
	s_mul_hi_u32 s36, s4, s30
	s_add_i32 s31, s36, s31
	s_mul_i32 s29, s29, s30
	s_add_i32 s31, s31, s29
	s_mul_i32 s4, s4, s30
	s_add_u32 s30, s14, s4
	s_addc_u32 s31, s15, s31
.LBB30_2:
	v_bfe_u32 v1, v0, 10, 10
	v_lshrrev_b32_e32 v41, 2, v1
	v_and_b32_e32 v40, 0x3ff, v0
	v_add_u32_e32 v0, s2, v41
	s_sub_i32 s29, s6, s7
	v_and_b32_e32 v65, 3, v1
	v_cmp_gt_u32_e64 s[14:15], 28, v40
	v_mul_hi_u32 v2, s24, v0
	s_and_saveexec_b64 s[6:7], s[14:15]
	s_cbranch_execz .LBB30_4
; %bb.3:
	s_load_dwordx4 s[40:43], s[0:1], 0x70
	s_waitcnt lgkmcnt(0)
	s_mul_i32 s4, s33, s42
	s_ashr_i32 s36, s4, 31
	s_mul_i32 s24, s29, s41
	s_add_u32 s4, s8, s4
	s_addc_u32 s9, s9, s36
	s_ashr_i32 s36, s24, 31
	s_add_u32 s8, s4, s24
	v_mov_b32_e32 v3, s41
	s_addc_u32 s9, s9, s36
	s_ashr_i32 s4, s41, 31
	v_alignbit_b32 v3, s4, v3, 2
	v_mad_u64_u32 v[4:5], s[38:39], v3, v65, 0
	v_mov_b32_e32 v6, v5
	s_lshr_b32 s4, s4, 2
	v_add_u32_e32 v3, v0, v2
	v_mad_u64_u32 v[6:7], s[38:39], s4, v65, v[6:7]
	v_lshrrev_b32_e32 v3, s25, v3
	v_mov_b32_e32 v5, v6
	v_mul_lo_u32 v3, v3, s26
	s_ashr_i32 s4, s40, 31
	v_mov_b32_e32 v6, s40
	v_sub_u32_e32 v3, v0, v3
	v_alignbit_b32 v6, s4, v6, 2
	v_mad_u64_u32 v[6:7], s[38:39], v6, v3, 0
	v_mov_b32_e32 v8, v7
	s_lshr_b32 s4, s4, 2
	v_mad_u64_u32 v[8:9], s[38:39], s4, v3, v[8:9]
	v_mov_b32_e32 v7, v8
	v_lshl_add_u64 v[4:5], v[4:5], 2, s[8:9]
	v_lshl_add_u64 v[4:5], v[6:7], 2, v[4:5]
	v_lshlrev_b32_e32 v6, 4, v40
	v_mov_b32_e32 v7, 0
	v_lshl_add_u64 v[4:5], v[4:5], 0, v[6:7]
	global_load_dwordx4 v[4:7], v[4:5], off
	s_load_dword s4, s[0:1], 0x40
	v_mul_u32_u24_e32 v3, 56, v1
	s_waitcnt vmcnt(0) lgkmcnt(0)
	v_pk_mul_f32 v[4:5], v[4:5], s[4:5] op_sel_hi:[1,0]
	v_pk_mul_f32 v[6:7], v[6:7], s[4:5] op_sel_hi:[1,0]
	v_cvt_f16_f32_e32 v8, v5
	v_cvt_f16_f32_e32 v5, v7
	;; [unrolled: 1-line block ×4, first 2 shown]
	v_lshlrev_b32_e32 v7, 1, v40
	v_add_lshl_u32 v3, v3, v7, 2
	v_pack_b32_f16 v5, v6, v5
	v_pack_b32_f16 v4, v4, v8
	ds_write_b64 v3, v[4:5] offset:4160
.LBB30_4:
	s_or_b64 exec, exec, s[6:7]
	s_cmp_eq_u64 s[18:19], 0
	s_waitcnt lgkmcnt(0)
	s_barrier
	s_cbranch_scc1 .LBB30_6
; %bb.5:
	s_load_dword s4, s[0:1], 0xd0
	s_mov_b32 s7, 0
	s_waitcnt lgkmcnt(0)
	s_mul_i32 s4, s4, s33
	s_add_i32 s6, s4, s2
	s_lshl_b64 s[6:7], s[6:7], 2
	s_add_u32 s6, s18, s6
	s_addc_u32 s7, s19, s7
	s_load_dword s28, s[6:7], 0x0
.LBB30_6:
	s_lshl_b32 s36, s3, 5
	s_waitcnt lgkmcnt(0)
	s_cmp_lt_i32 s36, s28
	v_mbcnt_lo_u32_b32 v3, -1, 0
	s_cbranch_scc1 .LBB30_8
; %bb.7:
	v_mbcnt_hi_u32_b32 v51, -1, v3
	v_and_b32_e32 v4, 0x60, v51
	s_mov_b32 s4, 0
	v_add_u32_e32 v81, 32, v4
	v_xor_b32_e32 v82, 16, v51
	v_xor_b32_e32 v83, 8, v51
	;; [unrolled: 1-line block ×5, first 2 shown]
	s_mov_b64 s[6:7], 0
	s_mov_b32 s8, 0xfeffffff
	s_branch .LBB30_9
.LBB30_8:
	s_mov_b64 s[6:7], -1
                                        ; implicit-def: $sgpr8
                                        ; implicit-def: $sgpr4
                                        ; implicit-def: $vgpr51
                                        ; implicit-def: $vgpr81
                                        ; implicit-def: $vgpr82
                                        ; implicit-def: $vgpr83
                                        ; implicit-def: $vgpr84
                                        ; implicit-def: $vgpr85
                                        ; implicit-def: $vgpr86
.LBB30_9:
	s_andn2_b64 vcc, exec, s[6:7]
	v_mov_b32_e32 v64, s8
	v_mov_b32_e32 v87, s4
	;; [unrolled: 1-line block ×4, first 2 shown]
	s_cbranch_vccnz .LBB30_29
; %bb.10:
	s_load_dwordx2 s[6:7], s[0:1], 0x8c
	s_load_dwordx4 s[40:43], s[0:1], 0x98
	s_sub_i32 s4, 0, s34
	s_mul_i32 s4, s4, s37
	s_mul_hi_u32 s4, s37, s4
	s_ashr_i32 s24, s35, 31
	s_waitcnt lgkmcnt(0)
	s_ashr_i32 s38, s6, 2
	s_ashr_i32 s6, s5, 1
	;; [unrolled: 1-line block ×3, first 2 shown]
	s_mul_i32 s35, s33, s41
	s_mul_hi_u32 s39, s33, s40
	s_abs_i32 s18, s29
	s_add_i32 s37, s37, s4
	s_add_i32 s35, s39, s35
	s_mul_i32 s39, s5, s40
	s_mul_hi_u32 s4, s18, s37
	s_ashr_i32 s19, s29, 31
	s_ashr_i32 s37, s42, 2
	s_add_i32 s35, s35, s39
	s_mul_i32 s39, s33, s40
	s_add_u32 s10, s10, s39
	s_addc_u32 s11, s11, s35
	s_xor_b32 s19, s19, s24
	s_mul_i32 s24, s4, s34
	s_sub_i32 s18, s18, s24
	s_add_i32 s24, s4, 1
	s_sub_i32 s35, s18, s34
	s_cmp_ge_u32 s18, s34
	s_cselect_b32 s4, s24, s4
	s_cselect_b32 s18, s35, s18
	s_add_i32 s24, s4, 1
	s_cmp_ge_u32 s18, s34
	s_load_dwordx2 s[8:9], s[0:1], 0xa8
	s_cselect_b32 s4, s24, s4
	s_xor_b32 s4, s4, s19
	s_sub_i32 s4, s4, s19
	s_mul_i32 s7, s4, s7
	s_ashr_i32 s18, s7, 31
	s_add_u32 s39, s10, s7
	s_waitcnt lgkmcnt(0)
	s_mul_i32 s7, s33, s9
	s_mul_hi_u32 s9, s33, s8
	s_addc_u32 s40, s11, s18
	s_add_i32 s7, s9, s7
	s_mul_i32 s5, s5, s8
	s_add_i32 s7, s7, s5
	s_mul_i32 s5, s33, s8
	v_add_u32_e32 v2, v0, v2
	s_add_u32 s5, s12, s5
	s_mul_i32 s4, s4, s43
	v_lshrrev_b32_e32 v2, s25, v2
	s_addc_u32 s7, s13, s7
	s_ashr_i32 s8, s4, 31
	v_mul_lo_u32 v2, v2, s26
	s_add_u32 s41, s5, s4
	v_sub_u32_e32 v0, v0, v2
	s_addc_u32 s42, s7, s8
	v_lshrrev_b32_e32 v4, 1, v40
	v_lshlrev_b32_e32 v7, 2, v40
	s_movk_i32 s10, 0xe0
	v_mov_b32_e32 v8, 0x1040
	v_mad_u64_u32 v[50:51], s[6:7], v0, s6, v[40:41]
	v_mov_b32_e32 v0, 0x13c0
	v_lshl_add_u32 v6, v1, 4, v4
	v_lshrrev_b32_e32 v4, 2, v40
	v_mad_u32_u24 v69, v1, s10, v8
	v_and_b32_e32 v8, 4, v7
	v_lshl_add_u32 v73, v1, 6, v0
	v_lshrrev_b32_e32 v0, 3, v40
	v_lshl_add_u32 v5, v1, 5, v40
	v_lshl_add_u32 v9, v1, 3, v4
	v_lshlrev_b32_e32 v11, 2, v8
	v_lshl_add_u32 v1, v1, 2, v0
	v_mul_u32_u24_e32 v0, 0xe0, v6
	v_and_b32_e32 v4, 12, v7
	v_or_b32_e32 v0, v0, v11
	v_lshlrev_b32_e32 v10, 2, v4
	v_add_u32_e32 v76, 0xc0, v0
	v_mul_u32_u24_e32 v0, 0xe0, v9
	s_movk_i32 s11, 0x80
	v_add3_u32 v77, v0, v10, s11
	v_and_b32_e32 v0, 28, v7
	v_cmp_gt_u32_e32 vcc, 32, v5
	v_mov_b32_e32 v43, 0
	v_mul_lo_u32 v44, s38, v9
	v_lshlrev_b32_e32 v70, 7, v40
	v_mul_lo_u32 v46, s38, v5
	v_lshlrev_b32_e32 v5, 7, v6
	v_mul_lo_u32 v48, s38, v6
	v_mul_lo_u32 v52, s37, v1
	;; [unrolled: 1-line block ×4, first 2 shown]
	v_lshlrev_b32_e32 v2, 2, v0
	s_add_u32 s18, s0, 0xd0
	v_lshlrev_b32_e32 v58, 2, v4
	v_cmp_gt_u32_e64 s[4:5], 32, v6
	v_lshl_or_b32 v68, v9, 7, v10
	v_ashrrev_i32_e32 v45, 31, v44
	v_or_b32_e32 v71, 0x60, v70
	v_ashrrev_i32_e32 v47, 31, v46
	v_or3_b32 v72, v5, v11, 64
	v_ashrrev_i32_e32 v49, 31, v48
	v_lshl_add_u32 v74, v40, 1, v73
	v_cmp_gt_u32_e64 s[6:7], 16, v6
	v_cmp_gt_u32_e64 s[8:9], 16, v9
	v_ashrrev_i32_e32 v53, 31, v52
	v_lshlrev_b32_e32 v75, 3, v40
	v_ashrrev_i32_e32 v55, 31, v54
	v_ashrrev_i32_e32 v57, 31, v56
	v_mad_u32_u24 v78, v1, s10, v2
	s_addc_u32 s19, s1, 0
	v_mov_b32_e32 v6, 0xfeffffff
	v_mbcnt_hi_u32_b32 v51, -1, v3
	s_mov_b32 s43, 0x3fb8aa3b
	s_mov_b32 s44, 0xc2ce8ed0
	;; [unrolled: 1-line block ×3, first 2 shown]
	v_lshlrev_b32_e32 v42, 2, v0
	v_lshlrev_b32_e32 v60, 2, v8
	v_mov_b32_e32 v62, v58
	v_mov_b32_e32 v63, v43
	;; [unrolled: 1-line block ×6, first 2 shown]
.LBB30_11:                              ; =>This Inner Loop Header: Depth=1
	s_mul_hi_i32 s11, s36, s38
	s_mul_i32 s10, s36, s38
	s_lshl_b64 s[10:11], s[10:11], 2
	s_add_u32 s10, s39, s10
	s_addc_u32 s11, s40, s11
	v_lshl_add_u64 v[2:3], v[46:47], 2, s[10:11]
	s_and_saveexec_b64 s[12:13], vcc
	s_cbranch_execz .LBB30_13
; %bb.12:                               ;   in Loop: Header=BB30_11 Depth=1
	global_load_dwordx4 v[8:11], v[2:3], off offset:96
	s_waitcnt vmcnt(0)
	ds_write_b128 v71, v[8:11]
.LBB30_13:                              ;   in Loop: Header=BB30_11 Depth=1
	s_or_b64 exec, exec, s[12:13]
	v_lshl_add_u64 v[0:1], v[48:49], 2, s[10:11]
	s_and_saveexec_b64 s[12:13], s[4:5]
	s_cbranch_execz .LBB30_15
; %bb.14:                               ;   in Loop: Header=BB30_11 Depth=1
	v_mov_b32_e32 v61, v43
	v_lshl_add_u64 v[4:5], v[0:1], 0, v[60:61]
	global_load_dwordx4 v[8:11], v[4:5], off offset:64
	s_waitcnt vmcnt(0)
	ds_write_b128 v72, v[8:11]
.LBB30_15:                              ;   in Loop: Header=BB30_11 Depth=1
	s_or_b64 exec, exec, s[12:13]
	v_lshl_add_u64 v[4:5], v[44:45], 2, s[10:11]
	v_lshl_add_u64 v[4:5], v[4:5], 0, v[62:63]
	global_load_dwordx4 v[8:11], v[4:5], off
	v_mov_b32_e32 v7, 0
	s_waitcnt vmcnt(0)
	ds_write_b128 v68, v[8:11]
	s_waitcnt lgkmcnt(0)
	s_barrier
	ds_read_b128 v[8:11], v70
	ds_read_b128 v[12:15], v69
	s_waitcnt lgkmcnt(0)
	;;#ASMSTART
	v_dot2_f32_f16 v7, v8, v12, v7
	;;#ASMEND
	s_nop 0
	;;#ASMSTART
	v_dot2_f32_f16 v7, v9, v13, v7
	;;#ASMEND
	s_nop 0
	;;#ASMSTART
	v_dot2_f32_f16 v7, v10, v14, v7
	;;#ASMEND
	s_nop 0
	;;#ASMSTART
	v_dot2_f32_f16 v7, v11, v15, v7
	;;#ASMEND
	ds_read_b128 v[8:11], v70 offset:16
	ds_read_b128 v[12:15], v69 offset:16
	s_waitcnt lgkmcnt(0)
	;;#ASMSTART
	v_dot2_f32_f16 v7, v8, v12, v7
	;;#ASMEND
	s_nop 0
	;;#ASMSTART
	v_dot2_f32_f16 v7, v9, v13, v7
	;;#ASMEND
	s_nop 0
	;;#ASMSTART
	v_dot2_f32_f16 v7, v10, v14, v7
	;;#ASMEND
	s_nop 0
	;;#ASMSTART
	v_dot2_f32_f16 v7, v11, v15, v7
	;;#ASMEND
	ds_read_b128 v[8:11], v70 offset:32
	ds_read_b128 v[12:15], v69 offset:32
	;; [unrolled: 18-line block ×6, first 2 shown]
	s_waitcnt lgkmcnt(0)
	;;#ASMSTART
	v_dot2_f32_f16 v7, v8, v12, v7
	;;#ASMEND
	s_nop 0
	;;#ASMSTART
	v_dot2_f32_f16 v7, v9, v13, v7
	;;#ASMEND
	s_nop 0
	;; [unrolled: 4-line block ×3, first 2 shown]
	;;#ASMSTART
	v_dot2_f32_f16 v7, v11, v15, v7
	;;#ASMEND
	s_barrier
	s_and_saveexec_b64 s[10:11], vcc
	s_cbranch_execz .LBB30_17
; %bb.16:                               ;   in Loop: Header=BB30_11 Depth=1
	global_load_dwordx4 v[8:11], v[2:3], off offset:208
	s_waitcnt vmcnt(0)
	ds_write_b128 v71, v[8:11]
.LBB30_17:                              ;   in Loop: Header=BB30_11 Depth=1
	s_or_b64 exec, exec, s[10:11]
	s_and_saveexec_b64 s[10:11], s[4:5]
	s_cbranch_execz .LBB30_19
; %bb.18:                               ;   in Loop: Header=BB30_11 Depth=1
	v_mov_b32_e32 v61, v43
	v_lshl_add_u64 v[0:1], v[0:1], 0, v[60:61]
	global_load_dwordx4 v[0:3], v[0:1], off offset:176
	s_waitcnt vmcnt(0)
	ds_write_b128 v72, v[0:3]
.LBB30_19:                              ;   in Loop: Header=BB30_11 Depth=1
	s_or_b64 exec, exec, s[10:11]
	global_load_dwordx4 v[0:3], v[4:5], off offset:112
	v_add_u32_e32 v4, s36, v50
	v_ashrrev_i32_e32 v5, 31, v4
	v_lshl_add_u64 v[4:5], v[4:5], 1, s[30:31]
	v_xor_b32_e32 v82, 16, v51
	v_xor_b32_e32 v83, 8, v51
	;; [unrolled: 1-line block ×5, first 2 shown]
	s_waitcnt vmcnt(0)
	ds_write_b128 v68, v[0:3]
	s_waitcnt lgkmcnt(0)
	s_barrier
	ds_read_b128 v[0:3], v70
	ds_read_b128 v[8:11], v69 offset:112
	s_waitcnt lgkmcnt(0)
	;;#ASMSTART
	v_dot2_f32_f16 v7, v0, v8, v7
	;;#ASMEND
	s_nop 0
	;;#ASMSTART
	v_dot2_f32_f16 v7, v1, v9, v7
	;;#ASMEND
	s_nop 0
	;;#ASMSTART
	v_dot2_f32_f16 v7, v2, v10, v7
	;;#ASMEND
	s_nop 0
	;;#ASMSTART
	v_dot2_f32_f16 v7, v3, v11, v7
	;;#ASMEND
	ds_read_b128 v[0:3], v70 offset:16
	ds_read_b128 v[8:11], v69 offset:128
	s_waitcnt lgkmcnt(0)
	;;#ASMSTART
	v_dot2_f32_f16 v7, v0, v8, v7
	;;#ASMEND
	s_nop 0
	;;#ASMSTART
	v_dot2_f32_f16 v7, v1, v9, v7
	;;#ASMEND
	s_nop 0
	;;#ASMSTART
	v_dot2_f32_f16 v7, v2, v10, v7
	;;#ASMEND
	s_nop 0
	;;#ASMSTART
	v_dot2_f32_f16 v7, v3, v11, v7
	;;#ASMEND
	ds_read_b128 v[0:3], v70 offset:32
	;; [unrolled: 18-line block ×6, first 2 shown]
	ds_read_b128 v[8:11], v69 offset:208
	s_waitcnt lgkmcnt(0)
	;;#ASMSTART
	v_dot2_f32_f16 v7, v0, v8, v7
	;;#ASMEND
	s_nop 0
	;;#ASMSTART
	v_dot2_f32_f16 v7, v1, v9, v7
	;;#ASMEND
	v_max_f32_e32 v1, v6, v6
	;;#ASMSTART
	v_dot2_f32_f16 v7, v2, v10, v7
	;;#ASMEND
	v_and_b32_e32 v2, 0x60, v51
	;;#ASMSTART
	v_dot2_f32_f16 v7, v3, v11, v7
	;;#ASMEND
	flat_load_ushort v0, v[4:5]
	v_add_u32_e32 v81, 32, v2
	v_cmp_lt_i32_e64 s[10:11], v82, v81
	s_waitcnt lgkmcnt(0)
	s_barrier
	v_cndmask_b32_e64 v2, v51, v82, s[10:11]
	v_lshlrev_b32_e32 v2, 2, v2
	v_cmp_lt_i32_e64 s[10:11], v83, v81
	s_waitcnt vmcnt(0)
	v_cvt_f32_f16_e32 v0, v0
	v_add_f32_e32 v0, v7, v0
	v_add_f32_e32 v3, 0x40051340, v0
	v_max_f32_e32 v1, v1, v3
	ds_bpermute_b32 v2, v2, v1
	v_cndmask_b32_e64 v3, v51, v83, s[10:11]
	v_lshlrev_b32_e32 v3, 2, v3
	v_cmp_lt_i32_e64 s[10:11], v84, v81
	s_waitcnt lgkmcnt(0)
	v_max_f32_e32 v2, v2, v2
	v_max_f32_e32 v1, v1, v2
	ds_bpermute_b32 v2, v3, v1
	v_cndmask_b32_e64 v3, v51, v84, s[10:11]
	v_lshlrev_b32_e32 v3, 2, v3
	v_cmp_lt_i32_e64 s[10:11], v85, v81
	s_waitcnt lgkmcnt(0)
	v_max_f32_e32 v2, v2, v2
	;; [unrolled: 7-line block ×3, first 2 shown]
	v_max_f32_e32 v1, v1, v2
	ds_bpermute_b32 v2, v3, v1
	v_cndmask_b32_e64 v3, v51, v86, s[10:11]
	v_lshlrev_b32_e32 v3, 2, v3
	s_mul_hi_i32 s11, s36, s37
	s_mul_i32 s10, s36, s37
	s_waitcnt lgkmcnt(0)
	v_max_f32_e32 v2, v2, v2
	v_max_f32_e32 v1, v1, v2
	ds_bpermute_b32 v2, v3, v1
	s_lshl_b64 s[12:13], s[10:11], 2
	s_add_u32 s12, s41, s12
	s_addc_u32 s13, s42, s13
	s_waitcnt lgkmcnt(0)
	v_max_f32_e32 v2, v2, v2
	v_max_f32_e32 v64, v1, v2
	v_sub_f32_e32 v0, v0, v64
	v_mul_f32_e32 v1, 0x3fb8aa3b, v0
	v_fma_f32 v2, v0, s43, -v1
	v_rndne_f32_e32 v3, v1
	v_fmac_f32_e32 v2, 0x32a5705f, v0
	v_sub_f32_e32 v1, v1, v3
	v_add_f32_e32 v1, v1, v2
	v_cvt_i32_f32_e32 v3, v3
	v_exp_f32_e32 v1, v1
	v_cmp_ngt_f32_e64 s[10:11], s44, v0
	v_ldexp_f32 v1, v1, v3
	s_nop 0
	v_cndmask_b32_e64 v1, 0, v1, s[10:11]
	v_cmp_nlt_f32_e64 s[10:11], s45, v0
	s_nop 1
	v_cndmask_b32_e64 v87, v79, v1, s[10:11]
	v_cvt_f16_f32_e32 v0, v87
	ds_write_b16 v74, v0
	s_and_saveexec_b64 s[10:11], s[6:7]
	s_cbranch_execz .LBB30_21
; %bb.20:                               ;   in Loop: Header=BB30_11 Depth=1
	v_lshl_add_u64 v[0:1], v[54:55], 2, s[12:13]
	v_mov_b32_e32 v61, v43
	v_lshl_add_u64 v[0:1], v[0:1], 0, v[60:61]
	global_load_dwordx4 v[0:3], v[0:1], off offset:192
	s_waitcnt vmcnt(0)
	ds_write_b128 v76, v[0:3]
.LBB30_21:                              ;   in Loop: Header=BB30_11 Depth=1
	s_or_b64 exec, exec, s[10:11]
	s_and_saveexec_b64 s[10:11], s[8:9]
	s_cbranch_execz .LBB30_23
; %bb.22:                               ;   in Loop: Header=BB30_11 Depth=1
	v_lshl_add_u64 v[0:1], v[56:57], 2, s[12:13]
	v_mov_b32_e32 v59, v43
	v_lshl_add_u64 v[0:1], v[0:1], 0, v[58:59]
	global_load_dwordx4 v[0:3], v[0:1], off offset:128
	s_waitcnt vmcnt(0)
	ds_write_b128 v77, v[0:3]
.LBB30_23:                              ;   in Loop: Header=BB30_11 Depth=1
	s_or_b64 exec, exec, s[10:11]
	v_lshl_add_u64 v[0:1], v[52:53], 2, s[12:13]
	v_lshl_add_u64 v[0:1], v[0:1], 0, v[42:43]
	global_load_dwordx4 v[0:3], v[0:1], off
	v_sub_f32_e32 v89, v6, v64
	v_add_u32_e32 v88, 0x800, v75
	s_or_b32 s24, s36, 16
	s_mul_hi_i32 s25, s24, s37
	s_mul_i32 s24, s24, s37
	s_lshl_b64 s[24:25], s[24:25], 2
	s_add_u32 s24, s41, s24
	v_cmp_ngt_f32_e64 s[10:11], s44, v89
	v_cmp_nlt_f32_e64 s[12:13], s45, v89
	s_addc_u32 s25, s42, s25
	s_waitcnt vmcnt(0)
	ds_write_b128 v78, v[0:3]
	s_waitcnt lgkmcnt(0)
	s_barrier
	ds_read2_b64 v[36:39], v75 offset1:28
	ds_read_b128 v[16:19], v73
	ds_read_b128 v[0:3], v73 offset:16
	ds_read2_b64 v[32:35], v75 offset0:56 offset1:84
	ds_read2_b64 v[28:31], v75 offset0:112 offset1:140
	;; [unrolled: 1-line block ×7, first 2 shown]
	s_waitcnt lgkmcnt(0)
	s_barrier
	s_and_saveexec_b64 s[34:35], s[6:7]
	s_cbranch_execz .LBB30_25
; %bb.24:                               ;   in Loop: Header=BB30_11 Depth=1
	v_lshl_add_u64 v[90:91], v[54:55], 2, s[24:25]
	v_mov_b32_e32 v61, v43
	v_lshl_add_u64 v[90:91], v[90:91], 0, v[60:61]
	global_load_dwordx4 v[90:93], v[90:91], off offset:192
	s_waitcnt vmcnt(0)
	ds_write_b128 v76, v[90:93]
.LBB30_25:                              ;   in Loop: Header=BB30_11 Depth=1
	s_or_b64 exec, exec, s[34:35]
	s_and_saveexec_b64 s[34:35], s[8:9]
	s_cbranch_execz .LBB30_27
; %bb.26:                               ;   in Loop: Header=BB30_11 Depth=1
	v_lshl_add_u64 v[90:91], v[56:57], 2, s[24:25]
	v_mov_b32_e32 v59, v43
	v_lshl_add_u64 v[90:91], v[90:91], 0, v[58:59]
	global_load_dwordx4 v[90:93], v[90:91], off offset:128
	s_waitcnt vmcnt(0)
	ds_write_b128 v77, v[90:93]
.LBB30_27:                              ;   in Loop: Header=BB30_11 Depth=1
	s_or_b64 exec, exec, s[34:35]
	v_lshl_add_u64 v[90:91], v[52:53], 2, s[24:25]
	v_lshl_add_u64 v[90:91], v[90:91], 0, v[42:43]
	global_load_dwordx4 v[90:93], v[90:91], off
	v_mul_f32_e32 v59, 0x3fb8aa3b, v89
	v_fma_f32 v61, v89, s43, -v59
	v_rndne_f32_e32 v94, v59
	v_fmac_f32_e32 v61, 0x32a5705f, v89
	v_sub_f32_e32 v59, v59, v94
	v_add_f32_e32 v59, v59, v61
	v_cvt_i32_f32_e32 v89, v94
	v_exp_f32_e32 v59, v59
	v_pk_mul_f16 v36, v36, v16 op_sel_hi:[1,0]
	v_pk_mul_f16 v37, v37, v16 op_sel_hi:[1,0]
	v_ldexp_f32 v59, v59, v89
	v_cndmask_b32_e64 v59, 0, v59, s[10:11]
	v_cndmask_b32_e64 v59, v79, v59, s[12:13]
	v_cvt_f16_f32_e32 v61, v59
	v_fmac_f32_e32 v87, v80, v59
	v_pk_fma_f16 v36, v67, v61, v36 op_sel_hi:[1,0,1]
	v_pk_fma_f16 v37, v66, v61, v37 op_sel_hi:[1,0,1]
	v_pk_fma_f16 v36, v38, v16, v36 op_sel:[0,1,0]
	v_pk_fma_f16 v16, v39, v16, v37 op_sel:[0,1,0]
	v_pk_fma_f16 v32, v32, v17, v36 op_sel_hi:[1,0,1]
	v_pk_fma_f16 v16, v33, v17, v16 op_sel_hi:[1,0,1]
	v_pk_fma_f16 v32, v34, v17, v32 op_sel:[0,1,0]
	v_pk_fma_f16 v16, v35, v17, v16 op_sel:[0,1,0]
	;; [unrolled: 4-line block ×8, first 2 shown]
	s_waitcnt vmcnt(0)
	ds_write_b128 v78, v[90:93]
	s_waitcnt lgkmcnt(0)
	s_barrier
	ds_read2_b64 v[8:11], v75 offset1:28
	ds_read_b128 v[12:15], v73 offset:32
	ds_read_b128 v[16:19], v73 offset:48
	ds_read2_b64 v[20:23], v75 offset0:56 offset1:84
	ds_read2_b64 v[24:27], v75 offset0:112 offset1:140
	;; [unrolled: 1-line block ×7, first 2 shown]
	s_waitcnt lgkmcnt(8)
	v_pk_fma_f16 v1, v8, v12, v1 op_sel_hi:[1,0,1]
	v_pk_fma_f16 v0, v9, v12, v0 op_sel_hi:[1,0,1]
	v_pk_fma_f16 v1, v10, v12, v1 op_sel:[0,1,0]
	v_pk_fma_f16 v0, v11, v12, v0 op_sel:[0,1,0]
	s_waitcnt lgkmcnt(6)
	v_pk_fma_f16 v1, v20, v13, v1 op_sel_hi:[1,0,1]
	v_pk_fma_f16 v0, v21, v13, v0 op_sel_hi:[1,0,1]
	v_pk_fma_f16 v1, v22, v13, v1 op_sel:[0,1,0]
	v_pk_fma_f16 v0, v23, v13, v0 op_sel:[0,1,0]
	;; [unrolled: 5-line block ×4, first 2 shown]
	s_waitcnt lgkmcnt(0)
	s_barrier
	s_load_dword s10, s[18:19], 0x4
	v_pk_fma_f16 v1, v32, v16, v1 op_sel_hi:[1,0,1]
	v_pk_fma_f16 v0, v33, v16, v0 op_sel_hi:[1,0,1]
	v_pk_fma_f16 v1, v34, v16, v1 op_sel:[0,1,0]
	v_pk_fma_f16 v0, v35, v16, v0 op_sel:[0,1,0]
	v_pk_fma_f16 v1, v36, v17, v1 op_sel_hi:[1,0,1]
	v_pk_fma_f16 v0, v37, v17, v0 op_sel_hi:[1,0,1]
	v_pk_fma_f16 v1, v38, v17, v1 op_sel:[0,1,0]
	v_pk_fma_f16 v0, v39, v17, v0 op_sel:[0,1,0]
	v_pk_fma_f16 v1, v90, v18, v1 op_sel_hi:[1,0,1]
	v_pk_fma_f16 v0, v91, v18, v0 op_sel_hi:[1,0,1]
	s_waitcnt lgkmcnt(0)
	s_lshl_b32 s10, s10, 5
	v_pk_fma_f16 v1, v92, v18, v1 op_sel:[0,1,0]
	v_pk_fma_f16 v0, v93, v18, v0 op_sel:[0,1,0]
	s_add_i32 s36, s10, s36
	v_pk_fma_f16 v1, v94, v19, v1 op_sel_hi:[1,0,1]
	v_pk_fma_f16 v0, v95, v19, v0 op_sel_hi:[1,0,1]
	s_cmp_lt_i32 s36, s28
	v_pk_fma_f16 v67, v96, v19, v1 op_sel:[0,1,0]
	v_pk_fma_f16 v66, v97, v19, v0 op_sel:[0,1,0]
	s_cbranch_scc0 .LBB30_29
; %bb.28:                               ;   in Loop: Header=BB30_11 Depth=1
	v_mov_b32_e32 v6, v64
	v_mov_b32_e32 v80, v87
	s_branch .LBB30_11
.LBB30_29:
	v_cmp_lt_i32_e32 vcc, v82, v81
	s_cmp_eq_u64 s[16:17], 0
	s_cselect_b64 s[4:5], -1, 0
	v_cndmask_b32_e32 v0, v51, v82, vcc
	v_lshlrev_b32_e32 v0, 2, v0
	ds_bpermute_b32 v0, v0, v87
	v_cmp_lt_i32_e32 vcc, v83, v81
	s_cmp_lg_u32 s3, 0
	s_cselect_b64 s[6:7], -1, 0
	v_cndmask_b32_e32 v1, v51, v83, vcc
	v_lshlrev_b32_e32 v1, 2, v1
	s_waitcnt lgkmcnt(0)
	v_add_f32_e32 v0, v87, v0
	ds_bpermute_b32 v1, v1, v0
	v_cmp_lt_i32_e32 vcc, v84, v81
	s_or_b64 s[4:5], s[6:7], s[4:5]
	s_waitcnt lgkmcnt(0)
	v_add_f32_e32 v0, v0, v1
	v_cndmask_b32_e32 v2, v51, v84, vcc
	v_lshlrev_b32_e32 v2, 2, v2
	ds_bpermute_b32 v1, v2, v0
	v_cmp_lt_i32_e32 vcc, v85, v81
	s_waitcnt lgkmcnt(0)
	v_add_f32_e32 v1, v0, v1
	v_cndmask_b32_e32 v2, v51, v85, vcc
	v_lshlrev_b32_e32 v2, 2, v2
	ds_bpermute_b32 v2, v2, v1
	v_cmp_lt_i32_e32 vcc, v86, v81
	v_add_u32_e32 v0, s29, v65
	s_waitcnt lgkmcnt(0)
	v_add_f32_e32 v1, v1, v2
	v_cndmask_b32_e32 v3, v51, v86, vcc
	v_lshlrev_b32_e32 v3, 2, v3
	ds_bpermute_b32 v2, v3, v1
	s_and_b64 vcc, exec, s[4:5]
	s_waitcnt lgkmcnt(0)
	v_add_f32_e32 v65, v1, v2
	s_cbranch_vccnz .LBB30_31
; %bb.30:
	v_ashrrev_i32_e32 v1, 31, v0
	v_lshl_add_u64 v[2:3], v[0:1], 2, s[16:17]
	global_load_dword v1, v[2:3], off
	v_max_f32_e32 v2, v64, v64
	s_mov_b32 s4, 0x3fb8aa3b
	s_mov_b32 s5, 0xc2ce8ed0
	s_waitcnt vmcnt(0)
	v_max_f32_e32 v3, v1, v1
	v_max_f32_e32 v2, v2, v3
	v_sub_f32_e32 v3, v64, v2
	v_sub_f32_e32 v1, v1, v2
	v_mul_f32_e32 v4, 0x3fb8aa3b, v3
	v_mul_f32_e32 v5, 0x3fb8aa3b, v1
	v_fma_f32 v6, v3, s4, -v4
	v_rndne_f32_e32 v7, v4
	v_fma_f32 v8, v1, s4, -v5
	v_rndne_f32_e32 v9, v5
	v_fmac_f32_e32 v6, 0x32a5705f, v3
	v_sub_f32_e32 v4, v4, v7
	v_fmac_f32_e32 v8, 0x32a5705f, v1
	v_sub_f32_e32 v5, v5, v9
	v_add_f32_e32 v4, v4, v6
	v_cvt_i32_f32_e32 v7, v7
	v_add_f32_e32 v5, v5, v8
	v_exp_f32_e32 v4, v4
	v_cvt_i32_f32_e32 v9, v9
	v_exp_f32_e32 v5, v5
	v_cmp_ngt_f32_e32 vcc, s5, v3
	v_ldexp_f32 v4, v4, v7
	s_mov_b32 s4, 0x42b17218
	v_ldexp_f32 v5, v5, v9
	v_cndmask_b32_e32 v4, 0, v4, vcc
	v_cmp_ngt_f32_e32 vcc, s5, v1
	v_mov_b32_e32 v6, 0x7f800000
	s_nop 0
	v_cndmask_b32_e32 v5, 0, v5, vcc
	v_cmp_nlt_f32_e32 vcc, s4, v3
	s_nop 1
	v_cndmask_b32_e32 v4, v6, v4, vcc
	v_cvt_f16_f32_e32 v7, v4
	v_cmp_nlt_f32_e32 vcc, s4, v1
	v_pk_mul_f16 v67, v7, v67 op_sel_hi:[0,1]
	s_nop 0
	v_cndmask_b32_e32 v3, v6, v5, vcc
	v_fmac_f32_e32 v3, v65, v4
	v_pk_mul_f16 v66, v7, v66 op_sel_hi:[0,1]
	v_mov_b64_e32 v[64:65], v[2:3]
	s_branch .LBB30_32
.LBB30_31:
	v_mov_b32_e32 v3, v65
.LBB30_32:
	s_load_dword s6, s[0:1], 0xd4
	s_mul_i32 s4, s33, s26
	s_waitcnt lgkmcnt(0)
	s_cmp_lg_u32 s6, 1
	s_cselect_b64 s[0:1], -1, 0
	s_add_i32 s4, s4, s2
	v_add_u32_e32 v1, s4, v41
	v_mad_u64_u32 v[0:1], s[4:5], v1, s27, v[0:1]
	v_mul_lo_u32 v0, s6, v0
	v_add_u32_e32 v0, s3, v0
	s_and_saveexec_b64 s[2:3], s[14:15]
	s_cbranch_execz .LBB30_34
; %bb.33:
	v_div_scale_f32 v1, s[4:5], v3, v3, 1.0
	v_rcp_f32_e32 v2, v1
	v_cvt_f32_f16_sdwa v9, v67 dst_sel:DWORD dst_unused:UNUSED_PAD src0_sel:WORD_1
	v_cvt_f32_f16_sdwa v11, v66 dst_sel:DWORD dst_unused:UNUSED_PAD src0_sel:WORD_1
	v_cvt_f32_f16_e32 v10, v66
	v_fma_f32 v6, -v1, v2, 1.0
	v_fmac_f32_e32 v2, v6, v2
	v_div_scale_f32 v6, vcc, 1.0, v3, 1.0
	v_mul_f32_e32 v7, v6, v2
	v_fma_f32 v8, -v1, v7, v6
	v_fmac_f32_e32 v7, v8, v2
	v_fma_f32 v1, -v1, v7, v6
	v_div_fmas_f32 v1, v1, v2, v7
	v_cvt_f32_f16_e32 v8, v67
	v_div_fixup_f32 v1, v1, v3, 1.0
	s_movk_i32 s4, 0x70
	v_cndmask_b32_e64 v6, v1, 1.0, s[0:1]
	v_mul_lo_u32 v1, v0, s4
	v_mov_b32_e32 v4, s20
	v_mov_b32_e32 v5, s21
	v_lshl_add_u32 v2, v40, 2, v1
	v_mov_b32_e32 v3, 0
	v_lshl_add_u64 v[12:13], v[2:3], 2, v[4:5]
	v_pk_mul_f32 v[2:3], v[6:7], v[8:9] op_sel_hi:[0,1]
	v_pk_mul_f32 v[4:5], v[6:7], v[10:11] op_sel_hi:[0,1]
	global_store_dwordx4 v[12:13], v[2:5], off
.LBB30_34:
	s_or_b64 exec, exec, s[2:3]
	v_cmp_eq_u32_e32 vcc, 0, v40
	s_and_b64 s[0:1], vcc, s[0:1]
	s_and_saveexec_b64 s[2:3], s[0:1]
	s_cbranch_execz .LBB30_36
; %bb.35:
	v_mov_b32_e32 v2, s22
	v_mov_b32_e32 v3, s23
	v_ashrrev_i32_e32 v1, 31, v0
	v_lshl_add_u64 v[0:1], v[0:1], 3, v[2:3]
	global_store_dwordx2 v[0:1], v[64:65], off
.LBB30_36:
	s_endpgm
	.section	.rodata,"a",@progbits
	.p2align	6, 0x0
	.amdhsa_kernel _ZL15flash_attn_tileILi112ELi112ELi1ELi4ELb0EEvPKcS1_S1_S1_S1_PKiPfP15HIP_vector_typeIfLj2EEffffjfiS5_IjLj3EEiiiiiiiiiiiliiliiiiil
		.amdhsa_group_segment_fixed_size 5312
		.amdhsa_private_segment_fixed_size 0
		.amdhsa_kernarg_size 464
		.amdhsa_user_sgpr_count 2
		.amdhsa_user_sgpr_dispatch_ptr 0
		.amdhsa_user_sgpr_queue_ptr 0
		.amdhsa_user_sgpr_kernarg_segment_ptr 1
		.amdhsa_user_sgpr_dispatch_id 0
		.amdhsa_user_sgpr_kernarg_preload_length 0
		.amdhsa_user_sgpr_kernarg_preload_offset 0
		.amdhsa_user_sgpr_private_segment_size 0
		.amdhsa_uses_dynamic_stack 0
		.amdhsa_enable_private_segment 0
		.amdhsa_system_sgpr_workgroup_id_x 1
		.amdhsa_system_sgpr_workgroup_id_y 1
		.amdhsa_system_sgpr_workgroup_id_z 1
		.amdhsa_system_sgpr_workgroup_info 0
		.amdhsa_system_vgpr_workitem_id 1
		.amdhsa_next_free_vgpr 98
		.amdhsa_next_free_sgpr 46
		.amdhsa_accum_offset 100
		.amdhsa_reserve_vcc 1
		.amdhsa_float_round_mode_32 0
		.amdhsa_float_round_mode_16_64 0
		.amdhsa_float_denorm_mode_32 3
		.amdhsa_float_denorm_mode_16_64 3
		.amdhsa_dx10_clamp 1
		.amdhsa_ieee_mode 1
		.amdhsa_fp16_overflow 0
		.amdhsa_tg_split 0
		.amdhsa_exception_fp_ieee_invalid_op 0
		.amdhsa_exception_fp_denorm_src 0
		.amdhsa_exception_fp_ieee_div_zero 0
		.amdhsa_exception_fp_ieee_overflow 0
		.amdhsa_exception_fp_ieee_underflow 0
		.amdhsa_exception_fp_ieee_inexact 0
		.amdhsa_exception_int_div_zero 0
	.end_amdhsa_kernel
	.section	.text._ZL15flash_attn_tileILi112ELi112ELi1ELi4ELb0EEvPKcS1_S1_S1_S1_PKiPfP15HIP_vector_typeIfLj2EEffffjfiS5_IjLj3EEiiiiiiiiiiiliiliiiiil,"axG",@progbits,_ZL15flash_attn_tileILi112ELi112ELi1ELi4ELb0EEvPKcS1_S1_S1_S1_PKiPfP15HIP_vector_typeIfLj2EEffffjfiS5_IjLj3EEiiiiiiiiiiiliiliiiiil,comdat
.Lfunc_end30:
	.size	_ZL15flash_attn_tileILi112ELi112ELi1ELi4ELb0EEvPKcS1_S1_S1_S1_PKiPfP15HIP_vector_typeIfLj2EEffffjfiS5_IjLj3EEiiiiiiiiiiiliiliiiiil, .Lfunc_end30-_ZL15flash_attn_tileILi112ELi112ELi1ELi4ELb0EEvPKcS1_S1_S1_S1_PKiPfP15HIP_vector_typeIfLj2EEffffjfiS5_IjLj3EEiiiiiiiiiiiliiliiiiil
                                        ; -- End function
	.section	.AMDGPU.csdata,"",@progbits
; Kernel info:
; codeLenInByte = 5092
; NumSgprs: 52
; NumVgprs: 98
; NumAgprs: 0
; TotalNumVgprs: 98
; ScratchSize: 0
; MemoryBound: 0
; FloatMode: 240
; IeeeMode: 1
; LDSByteSize: 5312 bytes/workgroup (compile time only)
; SGPRBlocks: 6
; VGPRBlocks: 12
; NumSGPRsForWavesPerEU: 52
; NumVGPRsForWavesPerEU: 98
; AccumOffset: 100
; Occupancy: 4
; WaveLimiterHint : 1
; COMPUTE_PGM_RSRC2:SCRATCH_EN: 0
; COMPUTE_PGM_RSRC2:USER_SGPR: 2
; COMPUTE_PGM_RSRC2:TRAP_HANDLER: 0
; COMPUTE_PGM_RSRC2:TGID_X_EN: 1
; COMPUTE_PGM_RSRC2:TGID_Y_EN: 1
; COMPUTE_PGM_RSRC2:TGID_Z_EN: 1
; COMPUTE_PGM_RSRC2:TIDIG_COMP_CNT: 1
; COMPUTE_PGM_RSRC3_GFX90A:ACCUM_OFFSET: 24
; COMPUTE_PGM_RSRC3_GFX90A:TG_SPLIT: 0
	.section	.text._ZL33flash_attn_stream_k_fixup_uniformILi112ELi1ELi4EEvPfPK15HIP_vector_typeIfLj2EEiiiiiiS1_IjLj3EES5_S5_,"axG",@progbits,_ZL33flash_attn_stream_k_fixup_uniformILi112ELi1ELi4EEvPfPK15HIP_vector_typeIfLj2EEiiiiiiS1_IjLj3EES5_S5_,comdat
	.globl	_ZL33flash_attn_stream_k_fixup_uniformILi112ELi1ELi4EEvPfPK15HIP_vector_typeIfLj2EEiiiiiiS1_IjLj3EES5_S5_ ; -- Begin function _ZL33flash_attn_stream_k_fixup_uniformILi112ELi1ELi4EEvPfPK15HIP_vector_typeIfLj2EEiiiiiiS1_IjLj3EES5_S5_
	.p2align	8
	.type	_ZL33flash_attn_stream_k_fixup_uniformILi112ELi1ELi4EEvPfPK15HIP_vector_typeIfLj2EEiiiiiiS1_IjLj3EES5_S5_,@function
_ZL33flash_attn_stream_k_fixup_uniformILi112ELi1ELi4EEvPfPK15HIP_vector_typeIfLj2EEiiiiiiS1_IjLj3EES5_S5_: ; @_ZL33flash_attn_stream_k_fixup_uniformILi112ELi1ELi4EEvPfPK15HIP_vector_typeIfLj2EEiiiiiiS1_IjLj3EES5_S5_
; %bb.0:
	s_load_dwordx8 s[8:15], s[0:1], 0x1c
	s_load_dwordx2 s[6:7], s[0:1], 0x10
	s_load_dwordx4 s[16:19], s[0:1], 0x3c
	s_waitcnt lgkmcnt(0)
	s_mul_hi_u32 s5, s11, s2
	s_add_i32 s5, s2, s5
	s_lshr_b32 s5, s5, s12
	s_mul_i32 s11, s5, s13
	s_sub_i32 s12, s2, s11
	s_mul_hi_u32 s11, s12, s14
	s_add_i32 s11, s12, s11
	s_lshr_b32 s11, s11, s15
	s_mul_i32 s13, s11, s16
	s_sub_i32 s12, s12, s13
	;; [unrolled: 5-line block ×3, first 2 shown]
	s_lshl_b32 s16, s13, 2
	s_add_i32 s17, s17, s3
	s_cmp_lt_i32 s17, s6
	s_cselect_b64 s[12:13], -1, 0
	s_add_i32 s16, s16, s4
	s_cmp_lt_i32 s16, s9
	s_cselect_b64 s[14:15], -1, 0
	s_and_b64 s[12:13], s[12:13], s[14:15]
	s_andn2_b64 vcc, exec, s[12:13]
	s_cbranch_vccnz .LBB31_6
; %bb.1:
	s_mul_i32 s5, s5, s6
	s_load_dwordx4 s[12:15], s[0:1], 0x0
	s_mul_i32 s11, s11, s9
	s_add_i32 s0, s17, s5
	s_mul_i32 s0, s0, s7
	s_add_i32 s1, s16, s11
	s_add_i32 s0, s1, s0
	s_mulk_i32 s0, 0x70
	v_add_u32_e32 v4, s0, v0
	s_waitcnt lgkmcnt(0)
	v_mov_b32_e32 v2, s12
	v_mov_b32_e32 v3, s13
	v_ashrrev_i32_e32 v5, 31, v4
	v_lshl_add_u64 v[2:3], v[4:5], 2, v[2:3]
	global_load_dword v7, v[2:3], off
	s_mul_i32 s5, s2, s10
	s_add_i32 s11, s5, s10
	s_add_i32 s0, s3, s11
	s_lshl_b32 s0, s0, 2
	s_add_i32 s0, s0, s4
	s_add_i32 s0, s0, -4
	s_ashr_i32 s1, s0, 31
	s_lshl_b64 s[0:1], s[0:1], 3
	s_add_u32 s0, s14, s0
	s_addc_u32 s1, s15, s1
	s_load_dword s12, s[0:1], 0x4
	s_add_i32 s6, s11, -2
	s_cmp_lt_i32 s6, s5
	s_cbranch_scc1 .LBB31_4
; %bb.2:
	s_lshl_b32 s6, s8, 4
	s_ashr_i32 s7, s6, 31
	s_lshl_b64 s[6:7], s[6:7], 2
	s_add_u32 s6, s14, s6
	s_addc_u32 s7, s15, s7
	s_add_i32 s2, s2, 1
	s_load_dword s0, s[0:1], 0x0
	s_mul_i32 s1, s10, s2
	s_mul_i32 s2, s3, 0x1c0
	;; [unrolled: 1-line block ×3, first 2 shown]
	s_mulk_i32 s1, 0x1c0
	s_add_i32 s2, s10, s2
	s_add_i32 s2, s2, s1
	;; [unrolled: 1-line block ×4, first 2 shown]
	s_lshl_b32 s1, s1, 2
	v_add_u32_e32 v0, s2, v0
	s_add_i32 s1, s4, s1
	s_add_i32 s9, s11, -1
	v_add_u32_e32 v0, 0xfffffc80, v0
	s_add_i32 s2, s1, -8
	s_waitcnt lgkmcnt(0)
	v_mov_b32_e32 v6, s12
	v_mov_b32_e32 v5, s0
	s_mov_b32 s4, 0x3fb8aa3b
	s_mov_b32 s8, 0xc2ce8ed0
	s_mov_b32 s10, 0x42b17218
	v_mov_b32_e32 v4, 0x7f800000
	s_mov_b32 s11, 0xc1a00000
.LBB31_3:                               ; =>This Inner Loop Header: Depth=1
	v_ashrrev_i32_e32 v1, 31, v0
	v_lshl_add_u64 v[8:9], v[0:1], 2, s[6:7]
	global_load_dword v1, v[8:9], off
	s_ashr_i32 s3, s2, 31
	s_lshl_b64 s[0:1], s[2:3], 3
	s_add_u32 s0, s14, s0
	s_addc_u32 s1, s15, s1
	s_load_dwordx2 s[12:13], s[0:1], 0x0
	s_waitcnt vmcnt(1)
	v_mov_b32_e32 v8, v7
	v_max_f32_e32 v7, v5, v5
	v_mov_b32_e32 v9, v6
	s_add_i32 s9, s9, -1
	s_waitcnt lgkmcnt(0)
	v_max_f32_e64 v6, s12, s12
	v_max_f32_e32 v6, v7, v6
	v_sub_f32_e32 v10, s12, v6
	v_sub_f32_e32 v7, v5, v6
	v_mul_f32_e32 v11, 0x3fb8aa3b, v10
	v_mov_b32_e32 v5, v6
	v_mul_f32_e32 v6, 0x3fb8aa3b, v7
	v_fma_f32 v14, v10, s4, -v11
	v_rndne_f32_e32 v15, v11
	v_fma_f32 v12, v7, s4, -v6
	v_rndne_f32_e32 v13, v6
	v_fmac_f32_e32 v14, 0x32a5705f, v10
	v_sub_f32_e32 v11, v11, v15
	v_fmac_f32_e32 v12, 0x32a5705f, v7
	v_sub_f32_e32 v6, v6, v13
	v_add_f32_e32 v11, v11, v14
	v_cvt_i32_f32_e32 v15, v15
	v_add_f32_e32 v6, v6, v12
	v_exp_f32_e32 v11, v11
	v_cvt_i32_f32_e32 v13, v13
	v_exp_f32_e32 v6, v6
	v_cmp_ngt_f32_e32 vcc, s8, v10
	v_ldexp_f32 v11, v11, v15
	v_cmp_ngt_f32_e64 s[0:1], s8, v7
	v_ldexp_f32 v6, v6, v13
	v_cndmask_b32_e32 v11, 0, v11, vcc
	v_cmp_nlt_f32_e32 vcc, s10, v10
	v_cndmask_b32_e64 v6, 0, v6, s[0:1]
	v_cmp_nlt_f32_e64 s[0:1], s10, v7
	v_cndmask_b32_e32 v11, v4, v11, vcc
	v_cmp_le_f32_e32 vcc, s11, v10
	v_cndmask_b32_e64 v6, v4, v6, s[0:1]
	v_cmp_le_f32_e64 s[0:1], s11, v7
	v_cndmask_b32_e32 v7, 0, v11, vcc
	s_add_i32 s2, s2, -4
	v_cndmask_b32_e64 v10, 0, v6, s[0:1]
	v_mul_f32_e32 v6, s13, v7
	v_add_u32_e32 v0, 0xfffffe40, v0
	s_cmp_le_i32 s9, s5
	v_fmac_f32_e32 v6, v9, v10
	s_waitcnt vmcnt(0)
	v_mul_f32_e32 v7, v1, v7
	v_fmac_f32_e32 v7, v8, v10
	s_cbranch_scc0 .LBB31_3
	s_branch .LBB31_5
.LBB31_4:
	s_waitcnt lgkmcnt(0)
	v_mov_b32_e32 v6, s12
.LBB31_5:
	s_waitcnt vmcnt(0)
	v_div_scale_f32 v0, s[0:1], v6, v6, v7
	v_rcp_f32_e32 v1, v0
	v_div_scale_f32 v4, vcc, v7, v6, v7
	v_fma_f32 v5, -v0, v1, 1.0
	v_fmac_f32_e32 v1, v5, v1
	v_mul_f32_e32 v5, v4, v1
	v_fma_f32 v8, -v0, v5, v4
	v_fmac_f32_e32 v5, v8, v1
	v_fma_f32 v0, -v0, v5, v4
	v_div_fmas_f32 v0, v0, v1, v5
	v_div_fixup_f32 v0, v0, v6, v7
	global_store_dword v[2:3], v0, off
.LBB31_6:
	s_endpgm
	.section	.rodata,"a",@progbits
	.p2align	6, 0x0
	.amdhsa_kernel _ZL33flash_attn_stream_k_fixup_uniformILi112ELi1ELi4EEvPfPK15HIP_vector_typeIfLj2EEiiiiiiS1_IjLj3EES5_S5_
		.amdhsa_group_segment_fixed_size 0
		.amdhsa_private_segment_fixed_size 0
		.amdhsa_kernarg_size 76
		.amdhsa_user_sgpr_count 2
		.amdhsa_user_sgpr_dispatch_ptr 0
		.amdhsa_user_sgpr_queue_ptr 0
		.amdhsa_user_sgpr_kernarg_segment_ptr 1
		.amdhsa_user_sgpr_dispatch_id 0
		.amdhsa_user_sgpr_kernarg_preload_length 0
		.amdhsa_user_sgpr_kernarg_preload_offset 0
		.amdhsa_user_sgpr_private_segment_size 0
		.amdhsa_uses_dynamic_stack 0
		.amdhsa_enable_private_segment 0
		.amdhsa_system_sgpr_workgroup_id_x 1
		.amdhsa_system_sgpr_workgroup_id_y 1
		.amdhsa_system_sgpr_workgroup_id_z 1
		.amdhsa_system_sgpr_workgroup_info 0
		.amdhsa_system_vgpr_workitem_id 0
		.amdhsa_next_free_vgpr 16
		.amdhsa_next_free_sgpr 20
		.amdhsa_accum_offset 16
		.amdhsa_reserve_vcc 1
		.amdhsa_float_round_mode_32 0
		.amdhsa_float_round_mode_16_64 0
		.amdhsa_float_denorm_mode_32 3
		.amdhsa_float_denorm_mode_16_64 3
		.amdhsa_dx10_clamp 1
		.amdhsa_ieee_mode 1
		.amdhsa_fp16_overflow 0
		.amdhsa_tg_split 0
		.amdhsa_exception_fp_ieee_invalid_op 0
		.amdhsa_exception_fp_denorm_src 0
		.amdhsa_exception_fp_ieee_div_zero 0
		.amdhsa_exception_fp_ieee_overflow 0
		.amdhsa_exception_fp_ieee_underflow 0
		.amdhsa_exception_fp_ieee_inexact 0
		.amdhsa_exception_int_div_zero 0
	.end_amdhsa_kernel
	.section	.text._ZL33flash_attn_stream_k_fixup_uniformILi112ELi1ELi4EEvPfPK15HIP_vector_typeIfLj2EEiiiiiiS1_IjLj3EES5_S5_,"axG",@progbits,_ZL33flash_attn_stream_k_fixup_uniformILi112ELi1ELi4EEvPfPK15HIP_vector_typeIfLj2EEiiiiiiS1_IjLj3EES5_S5_,comdat
.Lfunc_end31:
	.size	_ZL33flash_attn_stream_k_fixup_uniformILi112ELi1ELi4EEvPfPK15HIP_vector_typeIfLj2EEiiiiiiS1_IjLj3EES5_S5_, .Lfunc_end31-_ZL33flash_attn_stream_k_fixup_uniformILi112ELi1ELi4EEvPfPK15HIP_vector_typeIfLj2EEiiiiiiS1_IjLj3EES5_S5_
                                        ; -- End function
	.section	.AMDGPU.csdata,"",@progbits
; Kernel info:
; codeLenInByte = 820
; NumSgprs: 26
; NumVgprs: 16
; NumAgprs: 0
; TotalNumVgprs: 16
; ScratchSize: 0
; MemoryBound: 0
; FloatMode: 240
; IeeeMode: 1
; LDSByteSize: 0 bytes/workgroup (compile time only)
; SGPRBlocks: 3
; VGPRBlocks: 1
; NumSGPRsForWavesPerEU: 26
; NumVGPRsForWavesPerEU: 16
; AccumOffset: 16
; Occupancy: 8
; WaveLimiterHint : 0
; COMPUTE_PGM_RSRC2:SCRATCH_EN: 0
; COMPUTE_PGM_RSRC2:USER_SGPR: 2
; COMPUTE_PGM_RSRC2:TRAP_HANDLER: 0
; COMPUTE_PGM_RSRC2:TGID_X_EN: 1
; COMPUTE_PGM_RSRC2:TGID_Y_EN: 1
; COMPUTE_PGM_RSRC2:TGID_Z_EN: 1
; COMPUTE_PGM_RSRC2:TIDIG_COMP_CNT: 0
; COMPUTE_PGM_RSRC3_GFX90A:ACCUM_OFFSET: 3
; COMPUTE_PGM_RSRC3_GFX90A:TG_SPLIT: 0
	.section	.text._ZL33flash_attn_stream_k_fixup_generalILi112ELi1ELi4EEvPfPK15HIP_vector_typeIfLj2EEiiiiS1_IjLj3EES5_S5_S5_,"axG",@progbits,_ZL33flash_attn_stream_k_fixup_generalILi112ELi1ELi4EEvPfPK15HIP_vector_typeIfLj2EEiiiiS1_IjLj3EES5_S5_S5_,comdat
	.globl	_ZL33flash_attn_stream_k_fixup_generalILi112ELi1ELi4EEvPfPK15HIP_vector_typeIfLj2EEiiiiS1_IjLj3EES5_S5_S5_ ; -- Begin function _ZL33flash_attn_stream_k_fixup_generalILi112ELi1ELi4EEvPfPK15HIP_vector_typeIfLj2EEiiiiS1_IjLj3EES5_S5_S5_
	.p2align	8
	.type	_ZL33flash_attn_stream_k_fixup_generalILi112ELi1ELi4EEvPfPK15HIP_vector_typeIfLj2EEiiiiS1_IjLj3EES5_S5_S5_,@function
_ZL33flash_attn_stream_k_fixup_generalILi112ELi1ELi4EEvPfPK15HIP_vector_typeIfLj2EEiiiiS1_IjLj3EES5_S5_S5_: ; @_ZL33flash_attn_stream_k_fixup_generalILi112ELi1ELi4EEvPfPK15HIP_vector_typeIfLj2EEiiiiS1_IjLj3EES5_S5_S5_
; %bb.0:
	s_load_dwordx4 s[12:15], s[0:1], 0x10
	s_load_dword s5, s[0:1], 0x50
	s_mov_b32 s8, 0
	s_waitcnt lgkmcnt(0)
	s_mul_hi_i32 s9, s15, s2
	s_cmp_lg_u64 s[8:9], 0
	s_mul_i32 s8, s15, s2
	s_cbranch_scc0 .LBB32_21
; %bb.1:
	v_cvt_f32_u32_e32 v1, s5
	v_cvt_f32_ubyte0_e32 v2, 0
	s_sub_u32 s10, 0, s5
	s_subb_u32 s11, 0, 0
	v_fmamk_f32 v1, v2, 0x4f800000, v1
	v_rcp_f32_e32 v1, v1
	s_nop 0
	v_mul_f32_e32 v1, 0x5f7ffffc, v1
	v_mul_f32_e32 v2, 0x2f800000, v1
	v_trunc_f32_e32 v2, v2
	v_fmamk_f32 v1, v2, 0xcf800000, v1
	v_cvt_u32_f32_e32 v2, v2
	v_cvt_u32_f32_e32 v1, v1
	v_readfirstlane_b32 s16, v2
	v_readfirstlane_b32 s17, v1
	s_mul_i32 s18, s10, s16
	s_mul_hi_u32 s20, s10, s17
	s_mul_i32 s19, s11, s17
	s_add_i32 s18, s20, s18
	s_add_i32 s18, s18, s19
	s_mul_i32 s21, s10, s17
	s_mul_hi_u32 s19, s17, s18
	s_mul_i32 s20, s17, s18
	s_mul_hi_u32 s17, s17, s21
	s_add_u32 s17, s17, s20
	s_addc_u32 s19, 0, s19
	s_mul_hi_u32 s22, s16, s21
	s_mul_i32 s21, s16, s21
	s_add_u32 s17, s17, s21
	s_mul_hi_u32 s20, s16, s18
	s_addc_u32 s17, s19, s22
	s_addc_u32 s19, s20, 0
	s_mul_i32 s18, s16, s18
	s_add_u32 s17, s17, s18
	s_addc_u32 s18, 0, s19
	v_add_co_u32_e32 v1, vcc, s17, v1
	s_cmp_lg_u64 vcc, 0
	s_addc_u32 s16, s16, s18
	v_readfirstlane_b32 s18, v1
	s_mul_i32 s17, s10, s16
	s_mul_hi_u32 s19, s10, s18
	s_add_i32 s17, s19, s17
	s_mul_i32 s11, s11, s18
	s_add_i32 s17, s17, s11
	s_mul_i32 s10, s10, s18
	s_mul_hi_u32 s19, s16, s10
	s_mul_i32 s20, s16, s10
	s_mul_i32 s22, s18, s17
	s_mul_hi_u32 s10, s18, s10
	s_mul_hi_u32 s21, s18, s17
	s_add_u32 s10, s10, s22
	s_addc_u32 s18, 0, s21
	s_add_u32 s10, s10, s20
	s_mul_hi_u32 s11, s16, s17
	s_addc_u32 s10, s18, s19
	s_addc_u32 s11, s11, 0
	s_mul_i32 s17, s16, s17
	s_add_u32 s10, s10, s17
	s_addc_u32 s11, 0, s11
	v_add_co_u32_e32 v1, vcc, s10, v1
	s_cmp_lg_u64 vcc, 0
	s_addc_u32 s18, s16, s11
	s_ashr_i32 s10, s9, 31
	s_add_u32 s16, s8, s10
	s_mov_b32 s11, s10
	s_addc_u32 s17, s9, s10
	s_xor_b64 s[16:17], s[16:17], s[10:11]
	v_readfirstlane_b32 s20, v1
	s_mul_i32 s19, s16, s18
	s_mul_hi_u32 s21, s16, s20
	s_mul_hi_u32 s9, s16, s18
	s_add_u32 s19, s21, s19
	s_addc_u32 s9, 0, s9
	s_mul_hi_u32 s22, s17, s20
	s_mul_i32 s20, s17, s20
	s_add_u32 s19, s19, s20
	s_mul_hi_u32 s21, s17, s18
	s_addc_u32 s9, s9, s22
	s_addc_u32 s19, s21, 0
	s_mul_i32 s18, s17, s18
	s_add_u32 s9, s9, s18
	s_addc_u32 s18, 0, s19
	s_add_u32 s19, s9, 1
	s_addc_u32 s20, s18, 0
	s_add_u32 s21, s9, 2
	s_mul_i32 s23, s5, s18
	s_mul_hi_u32 s24, s5, s9
	s_addc_u32 s22, s18, 0
	s_add_i32 s24, s24, s23
	s_mul_i32 s23, s5, s9
	v_mov_b32_e32 v1, s23
	v_sub_co_u32_e32 v1, vcc, s16, v1
	s_cmp_lg_u64 vcc, 0
	s_subb_u32 s16, s17, s24
	v_subrev_co_u32_e32 v2, vcc, s5, v1
	s_cmp_lg_u64 vcc, 0
	s_subb_u32 s17, s16, 0
	v_readfirstlane_b32 s23, v2
	s_cmp_ge_u32 s23, s5
	s_cselect_b32 s23, -1, 0
	s_cmp_eq_u32 s17, 0
	s_cselect_b32 s17, s23, -1
	s_cmp_lg_u32 s17, 0
	s_cselect_b32 s17, s22, s20
	v_readfirstlane_b32 s20, v1
	s_cselect_b32 s19, s21, s19
	s_cmp_ge_u32 s20, s5
	s_cselect_b32 s20, -1, 0
	s_cmp_eq_u32 s16, 0
	s_cselect_b32 s16, s20, -1
	s_cmp_lg_u32 s16, 0
	s_cselect_b32 s17, s17, s18
	s_cselect_b32 s16, s19, s9
	s_xor_b64 s[16:17], s[16:17], s[10:11]
	s_sub_u32 s20, s16, s10
	s_load_dwordx4 s[16:19], s[0:1], 0x44
	s_cbranch_execnz .LBB32_3
.LBB32_2:
	v_cvt_f32_u32_e32 v1, s5
	s_sub_i32 s6, 0, s5
	v_rcp_iflag_f32_e32 v1, v1
	s_nop 0
	v_mul_f32_e32 v1, 0x4f7ffffe, v1
	v_cvt_u32_f32_e32 v1, v1
	s_nop 0
	v_readfirstlane_b32 s7, v1
	s_mul_i32 s6, s6, s7
	s_mul_hi_u32 s6, s7, s6
	s_add_i32 s7, s7, s6
	s_mul_hi_u32 s6, s8, s7
	s_mul_i32 s9, s6, s5
	s_sub_i32 s8, s8, s9
	s_add_i32 s7, s6, 1
	s_sub_i32 s9, s8, s5
	s_cmp_ge_u32 s8, s5
	s_cselect_b32 s6, s7, s6
	s_cselect_b32 s8, s9, s8
	s_add_i32 s7, s6, 1
	s_cmp_ge_u32 s8, s5
	s_cselect_b32 s20, s7, s6
.LBB32_3:
	s_add_i32 s6, s2, 1
	s_mul_hi_i32 s9, s15, s6
	s_mov_b32 s8, 0
	s_cmp_lg_u64 s[8:9], 0
	s_mul_i32 s8, s15, s6
	s_cbranch_scc0 .LBB32_22
; %bb.4:
	v_cvt_f32_u32_e32 v1, s5
	v_cvt_f32_ubyte0_e32 v2, 0
	s_sub_u32 s10, 0, s5
	s_subb_u32 s11, 0, 0
	v_fmamk_f32 v1, v2, 0x4f800000, v1
	v_rcp_f32_e32 v1, v1
	s_nop 0
	v_mul_f32_e32 v1, 0x5f7ffffc, v1
	v_mul_f32_e32 v2, 0x2f800000, v1
	v_trunc_f32_e32 v2, v2
	v_fmamk_f32 v1, v2, 0xcf800000, v1
	v_cvt_u32_f32_e32 v2, v2
	v_cvt_u32_f32_e32 v1, v1
	s_waitcnt lgkmcnt(0)
	v_readfirstlane_b32 s19, v2
	v_readfirstlane_b32 s21, v1
	s_mul_i32 s22, s10, s19
	s_mul_hi_u32 s24, s10, s21
	s_mul_i32 s23, s11, s21
	s_add_i32 s22, s24, s22
	s_add_i32 s22, s22, s23
	s_mul_i32 s25, s10, s21
	s_mul_hi_u32 s23, s21, s22
	s_mul_i32 s24, s21, s22
	s_mul_hi_u32 s21, s21, s25
	s_add_u32 s21, s21, s24
	s_addc_u32 s23, 0, s23
	s_mul_hi_u32 s26, s19, s25
	s_mul_i32 s25, s19, s25
	s_add_u32 s21, s21, s25
	s_mul_hi_u32 s24, s19, s22
	s_addc_u32 s21, s23, s26
	s_addc_u32 s23, s24, 0
	s_mul_i32 s22, s19, s22
	s_add_u32 s21, s21, s22
	s_addc_u32 s22, 0, s23
	v_add_co_u32_e32 v1, vcc, s21, v1
	s_cmp_lg_u64 vcc, 0
	s_addc_u32 s19, s19, s22
	v_readfirstlane_b32 s22, v1
	s_mul_i32 s21, s10, s19
	s_mul_hi_u32 s23, s10, s22
	s_add_i32 s21, s23, s21
	s_mul_i32 s11, s11, s22
	s_add_i32 s21, s21, s11
	s_mul_i32 s10, s10, s22
	s_mul_hi_u32 s23, s19, s10
	s_mul_i32 s24, s19, s10
	s_mul_i32 s26, s22, s21
	s_mul_hi_u32 s10, s22, s10
	s_mul_hi_u32 s25, s22, s21
	s_add_u32 s10, s10, s26
	s_addc_u32 s22, 0, s25
	s_add_u32 s10, s10, s24
	s_mul_hi_u32 s11, s19, s21
	s_addc_u32 s10, s22, s23
	s_addc_u32 s11, s11, 0
	s_mul_i32 s21, s19, s21
	s_add_u32 s10, s10, s21
	s_addc_u32 s11, 0, s11
	v_add_co_u32_e32 v1, vcc, s10, v1
	s_cmp_lg_u64 vcc, 0
	s_addc_u32 s19, s19, s11
	s_ashr_i32 s10, s9, 31
	s_add_u32 s22, s8, s10
	s_mov_b32 s11, s10
	s_addc_u32 s23, s9, s10
	s_xor_b64 s[22:23], s[22:23], s[10:11]
	v_readfirstlane_b32 s21, v1
	s_mul_i32 s11, s22, s19
	s_mul_hi_u32 s24, s22, s21
	s_mul_hi_u32 s9, s22, s19
	s_add_u32 s11, s24, s11
	s_addc_u32 s9, 0, s9
	s_mul_hi_u32 s25, s23, s21
	s_mul_i32 s21, s23, s21
	s_add_u32 s11, s11, s21
	s_mul_hi_u32 s24, s23, s19
	s_addc_u32 s9, s9, s25
	s_addc_u32 s11, s24, 0
	s_mul_i32 s19, s23, s19
	s_add_u32 s9, s9, s19
	s_addc_u32 s11, 0, s11
	s_mul_i32 s11, s5, s11
	s_mul_hi_u32 s24, s5, s9
	s_add_i32 s24, s24, s11
	s_mul_i32 s11, s5, s9
	v_mov_b32_e32 v1, s11
	s_add_u32 s19, s9, 1
	s_add_u32 s21, s9, 2
	v_sub_co_u32_e32 v1, vcc, s22, v1
	s_cmp_lg_u64 vcc, 0
	s_subb_u32 s11, s23, s24
	v_subrev_co_u32_e32 v2, vcc, s5, v1
	s_cmp_lg_u64 vcc, 0
	s_subb_u32 s22, s11, 0
	v_cmp_le_u32_e32 vcc, s5, v2
	s_cmp_eq_u32 s22, 0
	v_mov_b32_e32 v3, s19
	v_cndmask_b32_e64 v2, 0, -1, vcc
	s_cselect_b64 vcc, -1, 0
	v_cndmask_b32_e32 v2, -1, v2, vcc
	v_mov_b32_e32 v4, s21
	v_cmp_ne_u32_e32 vcc, 0, v2
	s_cmp_eq_u32 s11, 0
	s_nop 0
	v_cndmask_b32_e32 v2, v3, v4, vcc
	v_cmp_le_u32_e32 vcc, s5, v1
	v_mov_b32_e32 v3, s9
	s_nop 0
	v_cndmask_b32_e64 v1, 0, -1, vcc
	s_cselect_b64 vcc, -1, 0
	v_cndmask_b32_e32 v1, -1, v1, vcc
	v_cmp_ne_u32_e32 vcc, 0, v1
	s_nop 1
	v_cndmask_b32_e32 v1, v3, v2, vcc
	v_xor_b32_e32 v1, s10, v1
	v_subrev_co_u32_e32 v2, vcc, s10, v1
	s_cbranch_execnz .LBB32_6
.LBB32_5:
	v_cvt_f32_u32_e32 v1, s5
	s_sub_i32 s6, 0, s5
	s_mov_b32 s7, 0
	v_rcp_iflag_f32_e32 v1, v1
	s_nop 0
	v_mul_f32_e32 v1, 0x4f7ffffe, v1
	v_cvt_u32_f32_e32 v1, v1
	s_nop 0
	v_readfirstlane_b32 s9, v1
	s_mul_i32 s6, s6, s9
	s_mul_hi_u32 s6, s9, s6
	s_add_i32 s9, s9, s6
	s_mul_hi_u32 s6, s8, s9
	s_mul_i32 s10, s6, s5
	s_sub_i32 s8, s8, s10
	s_add_i32 s9, s6, 1
	s_sub_i32 s10, s8, s5
	s_cmp_ge_u32 s8, s5
	s_cselect_b32 s6, s9, s6
	s_cselect_b32 s8, s10, s8
	s_add_i32 s9, s6, 1
	s_cmp_ge_u32 s8, s5
	s_cselect_b32 s6, s9, s6
	v_mov_b64_e32 v[2:3], s[6:7]
.LBB32_6:
	s_waitcnt lgkmcnt(0)
	s_mul_hi_u32 s6, s20, s16
	s_add_i32 s6, s6, s20
	v_mul_hi_u32 v1, v2, s16
	s_lshr_b32 s19, s6, s17
	v_add_u32_e32 v1, v1, v2
	s_mul_i32 s6, s19, s18
	v_lshrrev_b32_e32 v1, s17, v1
	s_cmp_eq_u32 s6, s20
	v_cmp_eq_u32_e64 s[6:7], s19, v1
	v_mul_lo_u32 v1, v1, s18
	v_cmp_eq_u32_e32 vcc, s20, v2
	s_cselect_b64 s[10:11], -1, 0
	v_cmp_ne_u32_e64 s[8:9], v1, v2
	s_and_b64 s[6:7], s[6:7], s[8:9]
	s_or_b64 s[8:9], vcc, s[10:11]
	s_or_b64 s[6:7], s[8:9], s[6:7]
	s_and_b64 vcc, exec, s[6:7]
	s_cbranch_vccnz .LBB32_24
; %bb.7:
	s_load_dwordx8 s[24:31], s[0:1], 0x20
	s_load_dword s6, s[0:1], 0x40
	s_waitcnt lgkmcnt(0)
	s_mul_hi_u32 s7, s20, s24
	s_add_i32 s7, s7, s20
	s_lshr_b32 s7, s7, s25
	s_mul_i32 s8, s7, s26
	s_sub_i32 s8, s20, s8
	s_mul_hi_u32 s9, s8, s27
	s_add_i32 s9, s8, s9
	s_lshr_b32 s21, s9, s28
	s_mul_i32 s9, s21, s29
	s_sub_i32 s8, s8, s9
	;; [unrolled: 5-line block ×3, first 2 shown]
	s_mul_hi_u32 s8, s6, s16
	s_add_i32 s6, s6, s8
	s_lshr_b32 s22, s6, s17
	s_lshl_b32 s23, s9, 2
	s_add_i32 s22, s22, s3
	s_cmp_lt_i32 s22, s12
	s_cselect_b64 s[8:9], -1, 0
	s_add_i32 s23, s23, s4
	s_cmp_lt_i32 s23, s14
	s_cselect_b64 s[10:11], -1, 0
	s_and_b64 s[8:9], s[8:9], s[10:11]
	s_andn2_b64 vcc, exec, s[8:9]
	s_mov_b32 s6, 0
	s_cbranch_vccnz .LBB32_24
; %bb.8:
	s_load_dwordx4 s[8:11], s[0:1], 0x0
	s_lshl_b32 s1, s3, 2
	s_lshl_b32 s0, s5, 4
	s_add_i32 s24, s1, s4
	s_mov_b32 s1, s6
	s_lshl_b64 s[0:1], s[0:1], 2
	s_waitcnt lgkmcnt(0)
	v_mov_b32_e32 v2, s8
	s_add_u32 s8, s10, s0
	s_mul_i32 s7, s7, s12
	v_mov_b32_e32 v3, s9
	s_addc_u32 s9, s11, s1
	s_mul_i32 s21, s21, s14
	s_add_i32 s0, s22, s7
	s_mul_i32 s0, s0, s13
	s_add_i32 s1, s23, s21
	s_add_i32 s0, s1, s0
	s_mulk_i32 s0, 0x70
	v_add_u32_e32 v4, s0, v0
	v_ashrrev_i32_e32 v5, 31, v4
	v_lshl_add_u64 v[2:3], v[4:5], 2, v[2:3]
	global_load_dword v5, v[2:3], off
	s_mulk_i32 s24, 0x70
	v_add_u32_e32 v4, s24, v0
	v_cvt_f32_u32_e32 v0, s5
	v_cvt_f32_ubyte0_e32 v1, 0
	s_add_i32 s0, s3, s2
	s_lshl_b32 s0, s0, 2
	v_fmamk_f32 v0, v1, 0x4f800000, v0
	v_rcp_f32_e32 v0, v0
	v_cvt_f32_u32_e32 v1, s5
	s_add_i32 s0, s0, s4
	s_ashr_i32 s1, s0, 31
	s_lshl_b64 s[0:1], s[0:1], 3
	v_mul_f32_e32 v0, 0x5f7ffffc, v0
	v_rcp_iflag_f32_e32 v1, v1
	s_add_u32 s0, s10, s0
	v_mul_f32_e32 v6, 0x2f800000, v0
	s_addc_u32 s1, s11, s1
	v_trunc_f32_e32 v7, v6
	s_load_dwordx2 s[0:1], s[0:1], 0x0
	v_fmamk_f32 v0, v7, 0xcf800000, v0
	v_cvt_u32_f32_e32 v6, v0
	v_mul_f32_e32 v0, 0x4f7ffffe, v1
	v_cvt_u32_f32_e32 v7, v7
	v_cvt_u32_f32_e32 v9, v0
	s_add_i32 s13, s2, -1
	s_add_i32 s12, s5, s3
	s_waitcnt lgkmcnt(0)
	v_mov_b32_e32 v8, s1
	v_mov_b32_e32 v10, s0
	;; [unrolled: 1-line block ×3, first 2 shown]
	s_mov_b32 s14, 0x3fb8aa3b
	s_mov_b32 s20, 0xc2ce8ed0
	s_mov_b32 s21, 0x42b17218
	s_mov_b32 s22, 0xc1a00000
	v_mov_b32_e32 v12, 0x7f800000
	s_mul_hi_i32 s7, s13, s15
	s_cmp_lg_u64 s[6:7], 0
	s_mul_i32 s2, s13, s15
	s_cbranch_scc0 .LBB32_15
.LBB32_9:
	s_sub_u32 s0, 0, s5
	v_readfirstlane_b32 s3, v6
	v_readfirstlane_b32 s25, v7
	s_subb_u32 s1, 0, 0
	s_mul_hi_u32 s24, s0, s3
	s_mul_i32 s26, s0, s25
	s_mul_i32 s23, s1, s3
	s_add_i32 s24, s24, s26
	s_add_i32 s24, s24, s23
	s_mul_i32 s27, s0, s3
	s_mul_hi_u32 s23, s3, s24
	s_mul_i32 s26, s3, s24
	s_mul_hi_u32 s3, s3, s27
	s_add_u32 s3, s3, s26
	s_addc_u32 s23, 0, s23
	s_mul_hi_u32 s28, s25, s27
	s_mul_i32 s27, s25, s27
	s_add_u32 s3, s3, s27
	s_mul_hi_u32 s26, s25, s24
	s_addc_u32 s3, s23, s28
	s_addc_u32 s23, s26, 0
	s_mul_i32 s24, s25, s24
	s_add_u32 s3, s3, s24
	s_addc_u32 s23, 0, s23
	v_add_co_u32_e32 v0, vcc, s3, v6
	s_cmp_lg_u64 vcc, 0
	s_addc_u32 s3, s25, s23
	v_readfirstlane_b32 s24, v0
	s_mul_i32 s23, s0, s3
	s_mul_hi_u32 s25, s0, s24
	s_add_i32 s23, s25, s23
	s_mul_i32 s1, s1, s24
	s_add_i32 s23, s23, s1
	s_mul_i32 s0, s0, s24
	s_mul_hi_u32 s25, s3, s0
	s_mul_i32 s26, s3, s0
	s_mul_i32 s28, s24, s23
	s_mul_hi_u32 s0, s24, s0
	s_mul_hi_u32 s27, s24, s23
	s_add_u32 s0, s0, s28
	s_addc_u32 s24, 0, s27
	s_add_u32 s0, s0, s26
	s_mul_hi_u32 s1, s3, s23
	s_addc_u32 s0, s24, s25
	s_addc_u32 s1, s1, 0
	s_mul_i32 s23, s3, s23
	s_add_u32 s0, s0, s23
	s_addc_u32 s1, 0, s1
	v_add_co_u32_e32 v0, vcc, s0, v0
	s_cmp_lg_u64 vcc, 0
	s_addc_u32 s3, s3, s1
	s_ashr_i32 s0, s7, 31
	s_add_u32 s24, s2, s0
	s_mov_b32 s1, s0
	s_addc_u32 s25, s7, s0
	s_xor_b64 s[24:25], s[24:25], s[0:1]
	v_readfirstlane_b32 s23, v0
	s_mul_i32 s7, s24, s3
	s_mul_hi_u32 s26, s24, s23
	s_mul_hi_u32 s1, s24, s3
	s_add_u32 s7, s26, s7
	s_addc_u32 s1, 0, s1
	s_mul_hi_u32 s27, s25, s23
	s_mul_i32 s23, s25, s23
	s_add_u32 s7, s7, s23
	s_mul_hi_u32 s26, s25, s3
	s_addc_u32 s1, s1, s27
	s_addc_u32 s7, s26, 0
	s_mul_i32 s3, s25, s3
	s_add_u32 s1, s1, s3
	s_addc_u32 s3, 0, s7
	s_mul_i32 s3, s5, s3
	s_mul_hi_u32 s26, s5, s1
	s_add_i32 s26, s26, s3
	s_mul_i32 s3, s5, s1
	v_mov_b32_e32 v0, s3
	s_add_u32 s7, s1, 1
	s_add_u32 s23, s1, 2
	v_sub_co_u32_e32 v0, vcc, s24, v0
	s_cmp_lg_u64 vcc, 0
	s_subb_u32 s3, s25, s26
	v_subrev_co_u32_e32 v1, vcc, s5, v0
	s_cmp_lg_u64 vcc, 0
	s_subb_u32 s24, s3, 0
	v_cmp_le_u32_e32 vcc, s5, v1
	s_cmp_eq_u32 s24, 0
	v_mov_b32_e32 v13, s7
	v_cndmask_b32_e64 v1, 0, -1, vcc
	s_cselect_b64 vcc, -1, 0
	v_cndmask_b32_e32 v1, -1, v1, vcc
	v_mov_b32_e32 v14, s23
	v_cmp_ne_u32_e32 vcc, 0, v1
	s_cmp_eq_u32 s3, 0
	s_nop 0
	v_cndmask_b32_e32 v1, v13, v14, vcc
	v_cmp_le_u32_e32 vcc, s5, v0
	v_mov_b32_e32 v13, s1
	s_nop 0
	v_cndmask_b32_e64 v0, 0, -1, vcc
	s_cselect_b64 vcc, -1, 0
	v_cndmask_b32_e32 v0, -1, v0, vcc
	v_cmp_ne_u32_e32 vcc, 0, v0
	s_nop 1
	v_cndmask_b32_e32 v0, v13, v1, vcc
	v_xor_b32_e32 v0, s0, v0
	v_subrev_co_u32_e32 v0, vcc, s0, v0
	s_cbranch_execnz .LBB32_11
.LBB32_10:
	s_sub_i32 s0, 0, s5
	v_mul_lo_u32 v0, s0, v9
	v_mul_hi_u32 v0, v9, v0
	v_add_u32_e32 v0, v9, v0
	v_mul_hi_u32 v0, s2, v0
	v_mul_lo_u32 v13, v0, s5
	v_sub_u32_e32 v13, s2, v13
	v_add_u32_e32 v1, 1, v0
	v_subrev_u32_e32 v14, s5, v13
	v_cmp_le_u32_e32 vcc, s5, v13
	s_nop 1
	v_cndmask_b32_e32 v13, v13, v14, vcc
	v_cndmask_b32_e32 v0, v0, v1, vcc
	v_add_u32_e32 v1, 1, v0
	v_cmp_le_u32_e32 vcc, s5, v13
	s_nop 1
	v_cndmask_b32_e32 v0, v0, v1, vcc
.LBB32_11:
	v_cmp_ne_u32_e32 vcc, v11, v0
	s_cbranch_vccz .LBB32_14
; %bb.12:
	s_add_i32 s0, s12, s13
	s_lshl_b32 s0, s0, 2
	v_mul_hi_u32 v1, v0, s16
	s_add_i32 s0, s0, s4
	s_mov_b32 s1, s6
	v_add_u32_e32 v1, v1, v0
	s_lshl_b64 s[0:1], s[0:1], 3
	v_lshrrev_b32_e32 v1, s17, v1
	s_add_u32 s2, s10, s0
	v_mul_lo_u32 v13, v1, s18
	s_addc_u32 s3, s11, s1
	v_cmp_eq_u32_e32 vcc, v13, v0
	v_cmp_gt_u32_e64 s[0:1], s19, v1
	s_or_b64 s[0:1], s[0:1], vcc
	s_and_b64 vcc, exec, s[0:1]
	s_cbranch_vccnz .LBB32_16
; %bb.13:
	s_add_i32 s7, s13, -1
	s_mov_b64 s[0:1], 0
	s_branch .LBB32_17
.LBB32_14:
                                        ; implicit-def: $sgpr0_sgpr1
                                        ; implicit-def: $vgpr14
                                        ; implicit-def: $vgpr1
                                        ; implicit-def: $vgpr13
                                        ; implicit-def: $sgpr7
                                        ; implicit-def: $vgpr0
	s_branch .LBB32_18
.LBB32_15:
                                        ; implicit-def: $vgpr0_vgpr1
	s_branch .LBB32_10
.LBB32_16:
	s_mov_b64 s[0:1], -1
	s_mov_b32 s7, s13
	v_mov_b32_e32 v0, v11
.LBB32_17:
	s_mul_i32 s23, s13, 0x1c0
	v_add_u32_e32 v14, s23, v4
	v_ashrrev_i32_e32 v15, 31, v14
	v_lshl_add_u64 v[14:15], v[14:15], 2, s[8:9]
	global_load_dword v14, v[14:15], off
	s_load_dwordx2 s[2:3], s[2:3], 0x0
	v_max_f32_e32 v1, v10, v10
	s_waitcnt lgkmcnt(0)
	v_max_f32_e64 v13, s2, s2
	v_max_f32_e32 v1, v1, v13
	v_sub_f32_e32 v13, v10, v1
	v_sub_f32_e32 v15, s2, v1
	v_mul_f32_e32 v16, 0x3fb8aa3b, v13
	v_mul_f32_e32 v17, 0x3fb8aa3b, v15
	v_fma_f32 v18, v13, s14, -v16
	v_rndne_f32_e32 v19, v16
	v_fma_f32 v20, v15, s14, -v17
	v_rndne_f32_e32 v21, v17
	v_fmac_f32_e32 v18, 0x32a5705f, v13
	v_sub_f32_e32 v16, v16, v19
	v_fmac_f32_e32 v20, 0x32a5705f, v15
	v_sub_f32_e32 v17, v17, v21
	v_add_f32_e32 v16, v16, v18
	v_cvt_i32_f32_e32 v19, v19
	v_add_f32_e32 v17, v17, v20
	v_exp_f32_e32 v16, v16
	v_cvt_i32_f32_e32 v21, v21
	v_exp_f32_e32 v17, v17
	v_cmp_ngt_f32_e32 vcc, s20, v13
	v_ldexp_f32 v16, v16, v19
	v_ldexp_f32 v17, v17, v21
	v_cndmask_b32_e32 v16, 0, v16, vcc
	v_cmp_ngt_f32_e32 vcc, s20, v15
	s_nop 1
	v_cndmask_b32_e32 v17, 0, v17, vcc
	v_cmp_nlt_f32_e32 vcc, s21, v13
	s_nop 1
	v_cndmask_b32_e32 v16, v12, v16, vcc
	v_cmp_nlt_f32_e32 vcc, s21, v15
	s_nop 1
	v_cndmask_b32_e32 v17, v12, v17, vcc
	v_cmp_le_f32_e32 vcc, s22, v13
	s_nop 1
	v_cndmask_b32_e32 v16, 0, v16, vcc
	v_cmp_le_f32_e32 vcc, s22, v15
	s_nop 1
	v_cndmask_b32_e32 v15, 0, v17, vcc
	v_mul_f32_e32 v13, s3, v15
	v_fmac_f32_e32 v13, v8, v16
	s_waitcnt vmcnt(0)
	v_mul_f32_e32 v14, v14, v15
	v_fmac_f32_e32 v14, v5, v16
	s_cbranch_execnz .LBB32_19
.LBB32_18:
	s_add_i32 s7, s13, -1
	s_mov_b64 s[0:1], 0
	v_mov_b32_e32 v0, v11
	v_mov_b32_e32 v13, v8
	;; [unrolled: 1-line block ×3, first 2 shown]
	s_waitcnt vmcnt(0)
	v_mov_b32_e32 v14, v5
.LBB32_19:
	s_andn2_b64 vcc, exec, s[0:1]
	s_cbranch_vccz .LBB32_23
; %bb.20:
	v_mov_b32_e32 v11, v0
	s_mov_b32 s13, s7
	v_mov_b32_e32 v8, v13
	v_mov_b32_e32 v10, v1
	s_waitcnt vmcnt(0)
	v_mov_b32_e32 v5, v14
	s_mul_hi_i32 s7, s13, s15
	s_cmp_lg_u64 s[6:7], 0
	s_mul_i32 s2, s13, s15
	s_cbranch_scc1 .LBB32_9
	s_branch .LBB32_15
.LBB32_21:
                                        ; implicit-def: $sgpr20_sgpr21
	s_load_dwordx4 s[16:19], s[0:1], 0x44
	s_branch .LBB32_2
.LBB32_22:
                                        ; implicit-def: $vgpr2_vgpr3
	s_branch .LBB32_5
.LBB32_23:
	v_div_scale_f32 v0, s[0:1], v13, v13, v14
	v_rcp_f32_e32 v1, v0
	v_div_scale_f32 v4, vcc, v14, v13, v14
	s_waitcnt vmcnt(0)
	v_fma_f32 v5, -v0, v1, 1.0
	v_fmac_f32_e32 v1, v5, v1
	v_mul_f32_e32 v5, v4, v1
	v_fma_f32 v6, -v0, v5, v4
	v_fmac_f32_e32 v5, v6, v1
	v_fma_f32 v0, -v0, v5, v4
	v_div_fmas_f32 v0, v0, v1, v5
	v_div_fixup_f32 v0, v0, v13, v14
	global_store_dword v[2:3], v0, off
.LBB32_24:
	s_endpgm
	.section	.rodata,"a",@progbits
	.p2align	6, 0x0
	.amdhsa_kernel _ZL33flash_attn_stream_k_fixup_generalILi112ELi1ELi4EEvPfPK15HIP_vector_typeIfLj2EEiiiiS1_IjLj3EES5_S5_S5_
		.amdhsa_group_segment_fixed_size 0
		.amdhsa_private_segment_fixed_size 0
		.amdhsa_kernarg_size 336
		.amdhsa_user_sgpr_count 2
		.amdhsa_user_sgpr_dispatch_ptr 0
		.amdhsa_user_sgpr_queue_ptr 0
		.amdhsa_user_sgpr_kernarg_segment_ptr 1
		.amdhsa_user_sgpr_dispatch_id 0
		.amdhsa_user_sgpr_kernarg_preload_length 0
		.amdhsa_user_sgpr_kernarg_preload_offset 0
		.amdhsa_user_sgpr_private_segment_size 0
		.amdhsa_uses_dynamic_stack 0
		.amdhsa_enable_private_segment 0
		.amdhsa_system_sgpr_workgroup_id_x 1
		.amdhsa_system_sgpr_workgroup_id_y 1
		.amdhsa_system_sgpr_workgroup_id_z 1
		.amdhsa_system_sgpr_workgroup_info 0
		.amdhsa_system_vgpr_workitem_id 0
		.amdhsa_next_free_vgpr 22
		.amdhsa_next_free_sgpr 32
		.amdhsa_accum_offset 24
		.amdhsa_reserve_vcc 1
		.amdhsa_float_round_mode_32 0
		.amdhsa_float_round_mode_16_64 0
		.amdhsa_float_denorm_mode_32 3
		.amdhsa_float_denorm_mode_16_64 3
		.amdhsa_dx10_clamp 1
		.amdhsa_ieee_mode 1
		.amdhsa_fp16_overflow 0
		.amdhsa_tg_split 0
		.amdhsa_exception_fp_ieee_invalid_op 0
		.amdhsa_exception_fp_denorm_src 0
		.amdhsa_exception_fp_ieee_div_zero 0
		.amdhsa_exception_fp_ieee_overflow 0
		.amdhsa_exception_fp_ieee_underflow 0
		.amdhsa_exception_fp_ieee_inexact 0
		.amdhsa_exception_int_div_zero 0
	.end_amdhsa_kernel
	.section	.text._ZL33flash_attn_stream_k_fixup_generalILi112ELi1ELi4EEvPfPK15HIP_vector_typeIfLj2EEiiiiS1_IjLj3EES5_S5_S5_,"axG",@progbits,_ZL33flash_attn_stream_k_fixup_generalILi112ELi1ELi4EEvPfPK15HIP_vector_typeIfLj2EEiiiiS1_IjLj3EES5_S5_S5_,comdat
.Lfunc_end32:
	.size	_ZL33flash_attn_stream_k_fixup_generalILi112ELi1ELi4EEvPfPK15HIP_vector_typeIfLj2EEiiiiS1_IjLj3EES5_S5_S5_, .Lfunc_end32-_ZL33flash_attn_stream_k_fixup_generalILi112ELi1ELi4EEvPfPK15HIP_vector_typeIfLj2EEiiiiS1_IjLj3EES5_S5_S5_
                                        ; -- End function
	.section	.AMDGPU.csdata,"",@progbits
; Kernel info:
; codeLenInByte = 2856
; NumSgprs: 38
; NumVgprs: 22
; NumAgprs: 0
; TotalNumVgprs: 22
; ScratchSize: 0
; MemoryBound: 0
; FloatMode: 240
; IeeeMode: 1
; LDSByteSize: 0 bytes/workgroup (compile time only)
; SGPRBlocks: 4
; VGPRBlocks: 2
; NumSGPRsForWavesPerEU: 38
; NumVGPRsForWavesPerEU: 22
; AccumOffset: 24
; Occupancy: 8
; WaveLimiterHint : 0
; COMPUTE_PGM_RSRC2:SCRATCH_EN: 0
; COMPUTE_PGM_RSRC2:USER_SGPR: 2
; COMPUTE_PGM_RSRC2:TRAP_HANDLER: 0
; COMPUTE_PGM_RSRC2:TGID_X_EN: 1
; COMPUTE_PGM_RSRC2:TGID_Y_EN: 1
; COMPUTE_PGM_RSRC2:TGID_Z_EN: 1
; COMPUTE_PGM_RSRC2:TIDIG_COMP_CNT: 0
; COMPUTE_PGM_RSRC3_GFX90A:ACCUM_OFFSET: 5
; COMPUTE_PGM_RSRC3_GFX90A:TG_SPLIT: 0
	.section	.text._ZL15flash_attn_tileILi112ELi112ELi32ELi2ELb0EEvPKcS1_S1_S1_S1_PKiPfP15HIP_vector_typeIfLj2EEffffjfiS5_IjLj3EEiiiiiiiiiiiliiliiiiil,"axG",@progbits,_ZL15flash_attn_tileILi112ELi112ELi32ELi2ELb0EEvPKcS1_S1_S1_S1_PKiPfP15HIP_vector_typeIfLj2EEffffjfiS5_IjLj3EEiiiiiiiiiiiliiliiiiil,comdat
	.globl	_ZL15flash_attn_tileILi112ELi112ELi32ELi2ELb0EEvPKcS1_S1_S1_S1_PKiPfP15HIP_vector_typeIfLj2EEffffjfiS5_IjLj3EEiiiiiiiiiiiliiliiiiil ; -- Begin function _ZL15flash_attn_tileILi112ELi112ELi32ELi2ELb0EEvPKcS1_S1_S1_S1_PKiPfP15HIP_vector_typeIfLj2EEffffjfiS5_IjLj3EEiiiiiiiiiiiliiliiiiil
	.p2align	8
	.type	_ZL15flash_attn_tileILi112ELi112ELi32ELi2ELb0EEvPKcS1_S1_S1_S1_PKiPfP15HIP_vector_typeIfLj2EEffffjfiS5_IjLj3EEiiiiiiiiiiiliiliiiiil,@function
_ZL15flash_attn_tileILi112ELi112ELi32ELi2ELb0EEvPKcS1_S1_S1_S1_PKiPfP15HIP_vector_typeIfLj2EEffffjfiS5_IjLj3EEiiiiiiiiiiiliiliiiiil: ; @_ZL15flash_attn_tileILi112ELi112ELi32ELi2ELb0EEvPKcS1_S1_S1_S1_PKiPfP15HIP_vector_typeIfLj2EEffffjfiS5_IjLj3EEiiiiiiiiiiiliiliiiiil
; %bb.0:
	s_load_dwordx4 s[64:67], s[0:1], 0x5c
	s_load_dwordx2 s[70:71], s[0:1], 0x80
	s_load_dwordx16 s[48:63], s[0:1], 0x0
	s_mov_b64 s[72:73], 0
	s_waitcnt lgkmcnt(0)
	s_lshr_b32 s5, s67, 31
	s_add_i32 s5, s67, s5
	s_ashr_i32 s5, s5, 1
	v_cvt_f32_u32_e32 v1, s5
	s_sub_i32 s6, 0, s5
	v_rcp_iflag_f32_e32 v1, v1
	s_nop 0
	v_mul_f32_e32 v1, 0x4f7ffffe, v1
	v_cvt_u32_f32_e32 v1, v1
	s_nop 0
	v_readfirstlane_b32 s7, v1
	s_mul_i32 s6, s6, s7
	s_mul_hi_u32 s6, s7, s6
	s_add_i32 s7, s7, s6
	s_mul_hi_u32 s6, s4, s7
	s_mul_i32 s7, s6, s5
	s_sub_i32 s7, s4, s7
	s_add_i32 s8, s6, 1
	s_sub_i32 s9, s7, s5
	s_cmp_ge_u32 s7, s5
	s_cselect_b32 s6, s8, s6
	s_cselect_b32 s7, s9, s7
	s_add_i32 s8, s6, 1
	s_cmp_ge_u32 s7, s5
	s_cselect_b32 s74, s8, s6
	s_abs_i32 s5, s71
	v_cvt_f32_u32_e32 v1, s5
	s_lshl_b32 s4, s4, 1
	s_mul_i32 s8, s74, s67
	s_sub_i32 s9, 0, s5
	v_rcp_iflag_f32_e32 v1, v1
	s_sub_i32 s68, s4, s8
	s_abs_i32 s7, s67
	s_xor_b32 s6, s67, s71
	v_mul_f32_e32 v1, 0x4f7ffffe, v1
	v_cvt_u32_f32_e32 v1, v1
	s_ashr_i32 s6, s6, 31
	v_readfirstlane_b32 s4, v1
	s_mul_i32 s9, s9, s4
	s_mul_hi_u32 s8, s4, s9
	s_add_i32 s4, s4, s8
	s_mul_hi_u32 s4, s7, s4
	s_mul_i32 s8, s4, s5
	s_sub_i32 s7, s7, s8
	s_add_i32 s9, s4, 1
	s_sub_i32 s8, s7, s5
	s_cmp_ge_u32 s7, s5
	s_cselect_b32 s4, s9, s4
	s_cselect_b32 s7, s8, s7
	s_add_i32 s8, s4, 1
	s_cmp_ge_u32 s7, s5
	s_cselect_b32 s4, s8, s4
	s_xor_b32 s4, s4, s6
	s_sub_i32 s15, s4, s6
	s_abs_i32 s14, s15
	v_cvt_f32_u32_e32 v1, s14
	s_load_dwordx2 s[4:5], s[0:1], 0xb8
	s_cmp_eq_u64 s[54:55], 0
	v_rcp_iflag_f32_e32 v1, v1
	s_nop 0
	v_mul_f32_e32 v1, 0x4f7ffffe, v1
	v_cvt_u32_f32_e32 v1, v1
	s_nop 0
	v_readfirstlane_b32 s16, v1
	s_cbranch_scc1 .LBB33_2
; %bb.1:
	s_waitcnt lgkmcnt(0)
	s_abs_i32 s4, s4
	v_cvt_f32_u32_e32 v1, s4
	s_sub_i32 s10, 0, s4
	s_abs_i32 s9, s74
	s_ashr_i32 s8, s74, 31
	v_rcp_iflag_f32_e32 v1, v1
	s_load_dwordx2 s[6:7], s[0:1], 0xc8
	v_mul_f32_e32 v1, 0x4f7ffffe, v1
	v_cvt_u32_f32_e32 v1, v1
	s_nop 0
	v_readfirstlane_b32 s11, v1
	s_mul_i32 s10, s10, s11
	s_mul_hi_u32 s10, s11, s10
	s_add_i32 s11, s11, s10
	s_mul_hi_u32 s10, s9, s11
	s_mul_i32 s10, s10, s4
	s_sub_i32 s9, s9, s10
	s_sub_i32 s10, s9, s4
	s_cmp_ge_u32 s9, s4
	s_cselect_b32 s9, s10, s9
	s_sub_i32 s10, s9, s4
	s_cmp_ge_u32 s9, s4
	s_cselect_b32 s4, s10, s9
	s_xor_b32 s4, s4, s8
	s_sub_i32 s4, s4, s8
	s_ashr_i32 s8, s4, 31
	s_waitcnt lgkmcnt(0)
	s_mul_i32 s7, s4, s7
	s_mul_hi_u32 s9, s4, s6
	s_add_i32 s7, s9, s7
	s_mul_i32 s8, s8, s6
	s_add_i32 s7, s7, s8
	s_mul_i32 s4, s4, s6
	s_add_u32 s72, s54, s4
	s_addc_u32 s73, s55, s7
.LBB33_2:
	s_load_dwordx4 s[20:23], s[0:1], 0x70
	s_waitcnt lgkmcnt(0)
	s_load_dword s4, s[0:1], 0x40
	s_lshl_b32 s33, s2, 5
	v_and_b32_e32 v154, 0x3ff, v0
	v_lshlrev_b32_e32 v104, 2, v154
	s_mul_i32 s6, s74, s22
	s_ashr_i32 s8, s6, 31
	s_mul_i32 s7, s68, s21
	s_add_u32 s6, s48, s6
	s_addc_u32 s8, s49, s8
	s_ashr_i32 s9, s7, 31
	s_add_u32 s6, s6, s7
	s_addc_u32 s7, s8, s9
	s_ashr_i32 s9, s21, 31
	s_mov_b32 s8, s21
	s_ashr_i32 s21, s20, 31
	v_bfe_u32 v8, v0, 10, 10
	v_cmp_gt_u32_e64 s[48:49], 28, v154
	s_lshr_b64 s[8:9], s[8:9], 2
	s_lshr_b64 s[10:11], s[20:21], 2
	v_lshlrev_b32_e32 v2, 1, v154
	v_lshlrev_b32_e32 v0, 2, v104
	s_and_saveexec_b64 s[12:13], s[48:49]
	s_cbranch_execz .LBB33_4
; %bb.3:
	v_lshl_add_u32 v1, v8, 2, s33
	v_mul_hi_u32 v3, v1, s64
	v_add_u32_e32 v3, v1, v3
	v_lshrrev_b32_e32 v3, s65, v3
	v_mul_lo_u32 v3, v3, s66
	v_sub_u32_e32 v1, v1, v3
	v_mad_u64_u32 v[4:5], s[18:19], s10, v1, 0
	v_mov_b32_e32 v6, v5
	v_mad_u64_u32 v[6:7], s[18:19], s11, v1, v[6:7]
	s_lshl_b64 s[18:19], s[8:9], 2
	v_mov_b32_e32 v5, v6
	s_add_u32 s18, s6, s18
	v_lshlrev_b64 v[4:5], 2, v[4:5]
	s_addc_u32 s19, s7, s19
	v_lshl_add_u64 v[6:7], s[6:7], 0, v[4:5]
	v_mov_b32_e32 v1, 0
	v_lshl_add_u64 v[10:11], s[18:19], 0, v[4:5]
	v_lshl_add_u64 v[6:7], v[6:7], 0, v[0:1]
	;; [unrolled: 1-line block ×3, first 2 shown]
	global_load_dwordx4 v[4:7], v[6:7], off
	v_mul_u32_u24_e32 v1, 0x1c0, v8
	global_load_dwordx4 v[10:13], v[10:11], off
	v_or_b32_e32 v1, v1, v2
	v_lshlrev_b32_e32 v1, 2, v1
	s_waitcnt vmcnt(1) lgkmcnt(0)
	v_pk_mul_f32 v[4:5], v[4:5], s[4:5] op_sel_hi:[1,0]
	v_pk_mul_f32 v[6:7], v[6:7], s[4:5] op_sel_hi:[1,0]
	s_waitcnt vmcnt(0)
	v_pk_mul_f32 v[10:11], v[10:11], s[4:5] op_sel_hi:[1,0]
	v_pk_mul_f32 v[12:13], v[12:13], s[4:5] op_sel_hi:[1,0]
	v_cvt_f16_f32_e32 v3, v5
	v_cvt_f16_f32_e32 v4, v4
	;; [unrolled: 1-line block ×8, first 2 shown]
	v_pack_b32_f16 v5, v6, v5
	v_pack_b32_f16 v4, v4, v3
	;; [unrolled: 1-line block ×4, first 2 shown]
	ds_write2_b64 v1, v[4:5], v[6:7] offset1:28
.LBB33_4:
	s_or_b64 exec, exec, s[12:13]
	v_lshlrev_b32_e32 v9, 3, v8
	v_or_b32_e32 v3, 2, v9
	v_lshrrev_b32_e32 v153, 1, v3
	s_and_saveexec_b64 s[12:13], s[48:49]
	s_cbranch_execnz .LBB33_15
; %bb.5:
	s_or_b64 exec, exec, s[12:13]
	v_or_b32_e32 v152, 3, v9
	s_and_saveexec_b64 s[12:13], s[48:49]
	s_cbranch_execnz .LBB33_16
.LBB33_6:
	s_or_b64 exec, exec, s[12:13]
	v_or_b32_e32 v151, 4, v9
	s_and_saveexec_b64 s[12:13], s[48:49]
	s_cbranch_execnz .LBB33_17
.LBB33_7:
	s_or_b64 exec, exec, s[12:13]
	v_or_b32_e32 v150, 5, v9
	s_and_saveexec_b64 s[12:13], s[48:49]
	s_cbranch_execnz .LBB33_18
.LBB33_8:
	s_or_b64 exec, exec, s[12:13]
	v_or_b32_e32 v127, 6, v9
	s_and_saveexec_b64 s[12:13], s[48:49]
	s_cbranch_execnz .LBB33_19
.LBB33_9:
	s_or_b64 exec, exec, s[12:13]
	v_or_b32_e32 v105, 7, v9
	s_and_saveexec_b64 s[12:13], s[48:49]
	s_cbranch_execz .LBB33_11
.LBB33_10:
	v_lshrrev_b32_e32 v1, 1, v105
	v_add_u32_e32 v1, s33, v1
	v_mul_hi_u32 v3, v1, s64
	v_add_u32_e32 v3, v1, v3
	v_lshrrev_b32_e32 v3, s65, v3
	v_mul_lo_u32 v3, v3, s66
	v_sub_u32_e32 v1, v1, v3
	v_mad_u64_u32 v[4:5], s[18:19], s10, v1, 0
	v_mov_b32_e32 v6, v5
	s_lshl_b64 s[8:9], s[8:9], 2
	v_mad_u64_u32 v[6:7], s[10:11], s11, v1, v[6:7]
	s_add_u32 s6, s6, s8
	v_mov_b32_e32 v5, v6
	s_addc_u32 s7, s7, s9
	v_lshl_add_u64 v[4:5], v[4:5], 2, s[6:7]
	v_mov_b32_e32 v1, 0
	v_lshl_add_u64 v[0:1], v[4:5], 0, v[0:1]
	global_load_dwordx4 v[4:7], v[0:1], off
	s_waitcnt vmcnt(0) lgkmcnt(0)
	v_pk_mul_f32 v[0:1], v[4:5], s[4:5] op_sel_hi:[1,0]
	v_pk_mul_f32 v[4:5], v[6:7], s[4:5] op_sel_hi:[1,0]
	v_cvt_f16_f32_e32 v3, v1
	v_cvt_f16_f32_e32 v1, v5
	;; [unrolled: 1-line block ×4, first 2 shown]
	v_mul_u32_u24_e32 v5, 56, v105
	v_add_lshl_u32 v2, v5, v2, 2
	v_pack_b32_f16 v1, v4, v1
	v_pack_b32_f16 v0, v0, v3
	ds_write_b64 v2, v[0:1]
.LBB33_11:
	s_or_b64 exec, exec, s[12:13]
	s_cmp_eq_u64 s[58:59], 0
	s_waitcnt lgkmcnt(0)
	s_barrier
	s_cbranch_scc1 .LBB33_13
; %bb.12:
	s_load_dword s4, s[0:1], 0xd0
	s_mov_b32 s7, 0
	s_waitcnt lgkmcnt(0)
	s_mul_i32 s4, s4, s74
	s_add_i32 s6, s4, s2
	s_lshl_b64 s[6:7], s[6:7], 2
	s_add_u32 s6, s58, s6
	s_addc_u32 s7, s59, s7
	s_load_dword s70, s[6:7], 0x0
.LBB33_13:
	s_lshl_b32 s58, s3, 5
	s_waitcnt lgkmcnt(0)
	s_cmp_lt_i32 s58, s70
	v_mbcnt_lo_u32_b32 v10, -1, 0
	s_cbranch_scc1 .LBB33_20
; %bb.14:
	v_mbcnt_hi_u32_b32 v170, -1, v10
	v_and_b32_e32 v0, 0x60, v170
	s_mov_b32 s2, 0
	v_add_u32_e32 v189, 32, v0
	v_xor_b32_e32 v193, 16, v170
	v_xor_b32_e32 v194, 8, v170
	;; [unrolled: 1-line block ×5, first 2 shown]
	s_mov_b64 s[6:7], 0
	s_mov_b32 s4, 0xfeffffff
	s_branch .LBB33_21
.LBB33_15:
	v_add_u32_e32 v1, s33, v153
	v_mul_hi_u32 v4, v1, s64
	v_add_u32_e32 v4, v1, v4
	v_lshrrev_b32_e32 v4, s65, v4
	v_mul_lo_u32 v4, v4, s66
	v_sub_u32_e32 v1, v1, v4
	v_mad_u64_u32 v[4:5], s[18:19], s10, v1, 0
	v_mov_b32_e32 v6, v5
	v_mad_u64_u32 v[6:7], s[18:19], s11, v1, v[6:7]
	v_mov_b32_e32 v5, v6
	v_lshl_add_u64 v[4:5], v[4:5], 2, s[6:7]
	v_mov_b32_e32 v1, 0
	v_lshl_add_u64 v[4:5], v[4:5], 0, v[0:1]
	global_load_dwordx4 v[4:7], v[4:5], off
	v_mul_u32_u24_e32 v3, 56, v3
	v_add_lshl_u32 v3, v3, v2, 2
	s_waitcnt vmcnt(0) lgkmcnt(0)
	v_pk_mul_f32 v[4:5], v[4:5], s[4:5] op_sel_hi:[1,0]
	v_pk_mul_f32 v[6:7], v[6:7], s[4:5] op_sel_hi:[1,0]
	v_cvt_f16_f32_e32 v1, v5
	v_cvt_f16_f32_e32 v5, v7
	;; [unrolled: 1-line block ×4, first 2 shown]
	v_pack_b32_f16 v5, v6, v5
	v_pack_b32_f16 v4, v4, v1
	ds_write_b64 v3, v[4:5]
	s_or_b64 exec, exec, s[12:13]
	v_or_b32_e32 v152, 3, v9
	s_and_saveexec_b64 s[12:13], s[48:49]
	s_cbranch_execz .LBB33_6
.LBB33_16:
	v_lshrrev_b32_e32 v1, 1, v152
	v_add_u32_e32 v1, s33, v1
	v_mul_hi_u32 v3, v1, s64
	v_add_u32_e32 v3, v1, v3
	v_lshrrev_b32_e32 v3, s65, v3
	v_mul_lo_u32 v3, v3, s66
	v_sub_u32_e32 v1, v1, v3
	v_mad_u64_u32 v[4:5], s[18:19], s10, v1, 0
	v_mov_b32_e32 v6, v5
	v_mad_u64_u32 v[6:7], s[18:19], s11, v1, v[6:7]
	s_lshl_b64 s[18:19], s[8:9], 2
	s_add_u32 s18, s6, s18
	v_mov_b32_e32 v5, v6
	s_addc_u32 s19, s7, s19
	v_lshl_add_u64 v[4:5], v[4:5], 2, s[18:19]
	v_mov_b32_e32 v1, 0
	v_lshl_add_u64 v[4:5], v[4:5], 0, v[0:1]
	global_load_dwordx4 v[4:7], v[4:5], off
	s_waitcnt vmcnt(0) lgkmcnt(0)
	v_pk_mul_f32 v[4:5], v[4:5], s[4:5] op_sel_hi:[1,0]
	v_pk_mul_f32 v[6:7], v[6:7], s[4:5] op_sel_hi:[1,0]
	v_cvt_f16_f32_e32 v1, v5
	v_cvt_f16_f32_e32 v3, v7
	;; [unrolled: 1-line block ×4, first 2 shown]
	v_mul_u32_u24_e32 v6, 56, v152
	v_add_lshl_u32 v6, v6, v2, 2
	v_pack_b32_f16 v5, v5, v3
	v_pack_b32_f16 v4, v4, v1
	ds_write_b64 v6, v[4:5]
	s_or_b64 exec, exec, s[12:13]
	v_or_b32_e32 v151, 4, v9
	s_and_saveexec_b64 s[12:13], s[48:49]
	s_cbranch_execz .LBB33_7
.LBB33_17:
	v_lshrrev_b32_e32 v1, 1, v151
	v_add_u32_e32 v1, s33, v1
	v_mul_hi_u32 v3, v1, s64
	v_add_u32_e32 v3, v1, v3
	v_lshrrev_b32_e32 v3, s65, v3
	v_mul_lo_u32 v3, v3, s66
	v_sub_u32_e32 v1, v1, v3
	v_mad_u64_u32 v[4:5], s[18:19], s10, v1, 0
	v_mov_b32_e32 v6, v5
	v_mad_u64_u32 v[6:7], s[18:19], s11, v1, v[6:7]
	v_mov_b32_e32 v5, v6
	v_lshl_add_u64 v[4:5], v[4:5], 2, s[6:7]
	v_mov_b32_e32 v1, 0
	v_lshl_add_u64 v[4:5], v[4:5], 0, v[0:1]
	global_load_dwordx4 v[4:7], v[4:5], off
	s_waitcnt vmcnt(0) lgkmcnt(0)
	v_pk_mul_f32 v[4:5], v[4:5], s[4:5] op_sel_hi:[1,0]
	v_pk_mul_f32 v[6:7], v[6:7], s[4:5] op_sel_hi:[1,0]
	v_cvt_f16_f32_e32 v1, v5
	v_cvt_f16_f32_e32 v3, v7
	v_cvt_f16_f32_e32 v5, v6
	v_cvt_f16_f32_e32 v4, v4
	v_mul_u32_u24_e32 v6, 56, v151
	v_add_lshl_u32 v6, v6, v2, 2
	v_pack_b32_f16 v5, v5, v3
	v_pack_b32_f16 v4, v4, v1
	ds_write_b64 v6, v[4:5]
	s_or_b64 exec, exec, s[12:13]
	v_or_b32_e32 v150, 5, v9
	s_and_saveexec_b64 s[12:13], s[48:49]
	s_cbranch_execz .LBB33_8
.LBB33_18:
	v_lshrrev_b32_e32 v1, 1, v150
	v_add_u32_e32 v1, s33, v1
	v_mul_hi_u32 v3, v1, s64
	v_add_u32_e32 v3, v1, v3
	v_lshrrev_b32_e32 v3, s65, v3
	v_mul_lo_u32 v3, v3, s66
	v_sub_u32_e32 v1, v1, v3
	v_mad_u64_u32 v[4:5], s[18:19], s10, v1, 0
	v_mov_b32_e32 v6, v5
	v_mad_u64_u32 v[6:7], s[18:19], s11, v1, v[6:7]
	s_lshl_b64 s[18:19], s[8:9], 2
	s_add_u32 s18, s6, s18
	v_mov_b32_e32 v5, v6
	s_addc_u32 s19, s7, s19
	v_lshl_add_u64 v[4:5], v[4:5], 2, s[18:19]
	v_mov_b32_e32 v1, 0
	v_lshl_add_u64 v[4:5], v[4:5], 0, v[0:1]
	global_load_dwordx4 v[4:7], v[4:5], off
	s_waitcnt vmcnt(0) lgkmcnt(0)
	v_pk_mul_f32 v[4:5], v[4:5], s[4:5] op_sel_hi:[1,0]
	v_pk_mul_f32 v[6:7], v[6:7], s[4:5] op_sel_hi:[1,0]
	v_cvt_f16_f32_e32 v1, v5
	v_cvt_f16_f32_e32 v3, v7
	;; [unrolled: 1-line block ×4, first 2 shown]
	v_mul_u32_u24_e32 v6, 56, v150
	v_add_lshl_u32 v6, v6, v2, 2
	v_pack_b32_f16 v5, v5, v3
	v_pack_b32_f16 v4, v4, v1
	ds_write_b64 v6, v[4:5]
	s_or_b64 exec, exec, s[12:13]
	v_or_b32_e32 v127, 6, v9
	s_and_saveexec_b64 s[12:13], s[48:49]
	s_cbranch_execz .LBB33_9
.LBB33_19:
	v_lshrrev_b32_e32 v1, 1, v127
	v_add_u32_e32 v1, s33, v1
	v_mul_hi_u32 v3, v1, s64
	v_add_u32_e32 v3, v1, v3
	v_lshrrev_b32_e32 v3, s65, v3
	v_mul_lo_u32 v3, v3, s66
	v_sub_u32_e32 v1, v1, v3
	v_mad_u64_u32 v[4:5], s[18:19], s10, v1, 0
	v_mov_b32_e32 v6, v5
	v_mad_u64_u32 v[6:7], s[18:19], s11, v1, v[6:7]
	v_mov_b32_e32 v5, v6
	v_lshl_add_u64 v[4:5], v[4:5], 2, s[6:7]
	v_mov_b32_e32 v1, 0
	v_lshl_add_u64 v[4:5], v[4:5], 0, v[0:1]
	global_load_dwordx4 v[4:7], v[4:5], off
	s_waitcnt vmcnt(0) lgkmcnt(0)
	v_pk_mul_f32 v[4:5], v[4:5], s[4:5] op_sel_hi:[1,0]
	v_pk_mul_f32 v[6:7], v[6:7], s[4:5] op_sel_hi:[1,0]
	v_cvt_f16_f32_e32 v1, v5
	v_cvt_f16_f32_e32 v3, v7
	;; [unrolled: 1-line block ×4, first 2 shown]
	v_mul_u32_u24_e32 v6, 56, v127
	v_add_lshl_u32 v6, v6, v2, 2
	v_pack_b32_f16 v5, v5, v3
	v_pack_b32_f16 v4, v4, v1
	ds_write_b64 v6, v[4:5]
	s_or_b64 exec, exec, s[12:13]
	v_or_b32_e32 v105, 7, v9
	s_and_saveexec_b64 s[12:13], s[48:49]
	s_cbranch_execnz .LBB33_10
	s_branch .LBB33_11
.LBB33_20:
	s_mov_b64 s[6:7], -1
                                        ; implicit-def: $sgpr4
                                        ; implicit-def: $sgpr2
                                        ; implicit-def: $vgpr170
                                        ; implicit-def: $vgpr189
                                        ; implicit-def: $vgpr193
                                        ; implicit-def: $vgpr194
                                        ; implicit-def: $vgpr192
                                        ; implicit-def: $vgpr191
                                        ; implicit-def: $vgpr190
.LBB33_21:
	s_andn2_b64 vcc, exec, s[6:7]
	v_mov_b32_e32 v7, s4
	v_mov_b32_e32 v107, s2
	;; [unrolled: 1-line block ×3, first 2 shown]
	v_lshlrev_b32_e32 v155, 2, v8
	v_mov_b32_e32 v6, s4
	v_mov_b32_e32 v5, s4
	;; [unrolled: 1-line block ×29, first 2 shown]
	s_cbranch_vccnz .LBB33_49
; %bb.22:
	s_load_dwordx2 s[6:7], s[0:1], 0x8c
	s_load_dwordx4 s[8:11], s[0:1], 0x98
	v_lshl_add_u32 v0, v8, 5, v154
	v_cmp_gt_u32_e32 vcc, 32, v0
	v_lshrrev_b32_e32 v1, 1, v154
	s_waitcnt lgkmcnt(0)
	s_ashr_i32 s69, s6, 2
	v_lshrrev_b32_e32 v2, 2, v154
	v_mul_lo_u32 v114, s69, v0
	v_and_b32_e32 v0, 4, v104
	v_lshl_add_u32 v1, v8, 4, v1
	v_add_u32_e32 v3, v9, v2
	v_lshlrev_b32_e32 v2, 7, v154
	v_lshlrev_b32_e32 v4, 2, v0
	v_add_u32_e32 v173, 0x3800, v2
	v_add_u32_e32 v175, 0x3860, v2
	v_lshl_or_b32 v2, v1, 7, v4
	v_add_u32_e32 v176, 0x3840, v2
	v_and_b32_e32 v2, 12, v104
	v_lshlrev_b32_e32 v5, 2, v2
	s_sub_i32 s2, 0, s14
	v_lshl_or_b32 v6, v3, 7, v5
	s_mul_i32 s2, s2, s16
	v_add_u32_e32 v177, 0x3800, v6
	v_add_u32_e32 v6, s33, v155
	s_mul_hi_u32 s2, s16, s2
	s_ashr_i32 s59, s10, 2
	s_ashr_i32 s10, s5, 1
	;; [unrolled: 1-line block ×3, first 2 shown]
	s_mul_i32 s6, s74, s9
	s_mul_hi_u32 s9, s74, s8
	v_mul_hi_u32 v7, s64, v6
	s_abs_i32 s4, s68
	s_add_i32 s16, s16, s2
	s_add_i32 s6, s9, s6
	s_mul_i32 s9, s5, s8
	v_add_u32_e32 v7, v6, v7
	s_mul_hi_u32 s2, s4, s16
	s_ashr_i32 s16, s68, 31
	s_ashr_i32 s15, s15, 31
	s_add_i32 s6, s6, s9
	s_mul_i32 s8, s74, s8
	v_lshrrev_b32_e32 v7, s65, v7
	s_add_u32 s8, s50, s8
	v_mul_lo_u32 v7, v7, s66
	s_addc_u32 s6, s51, s6
	s_xor_b32 s9, s16, s15
	s_mul_i32 s15, s2, s14
	v_sub_u32_e32 v7, v6, v7
	s_sub_i32 s4, s4, s15
	v_mul_lo_u32 v178, v7, s10
	v_add_u32_e32 v7, 1, v6
	s_add_i32 s15, s2, 1
	s_sub_i32 s16, s4, s14
	v_mul_hi_u32 v9, s64, v7
	s_cmp_ge_u32 s4, s14
	v_add_u32_e32 v9, v7, v9
	s_cselect_b32 s2, s15, s2
	v_lshrrev_b32_e32 v9, s65, v9
	s_cselect_b32 s4, s16, s4
	s_add_i32 s15, s2, 1
	v_mul_lo_u32 v9, v9, s66
	s_cmp_ge_u32 s4, s14
	v_sub_u32_e32 v7, v7, v9
	s_cselect_b32 s2, s15, s2
	v_mul_lo_u32 v179, v7, s10
	v_add_u32_e32 v7, 2, v6
	s_load_dwordx2 s[12:13], s[0:1], 0xa8
	s_xor_b32 s2, s2, s9
	v_mul_hi_u32 v9, s64, v7
	s_sub_i32 s2, s2, s9
	v_add_u32_e32 v9, v7, v9
	s_mul_i32 s4, s2, s7
	v_lshrrev_b32_e32 v9, s65, v9
	s_ashr_i32 s7, s4, 31
	v_mul_lo_u32 v9, v9, s66
	s_add_u32 s71, s8, s4
	v_sub_u32_e32 v7, v7, v9
	v_add_u32_e32 v6, 3, v6
	s_addc_u32 s75, s6, s7
	s_waitcnt lgkmcnt(0)
	s_mul_i32 s4, s74, s13
	s_mul_hi_u32 s6, s74, s12
	v_mul_lo_u32 v180, v7, s10
	v_mul_hi_u32 v7, s64, v6
	s_add_i32 s4, s6, s4
	s_mul_i32 s5, s5, s12
	v_add_u32_e32 v7, v6, v7
	s_add_i32 s4, s4, s5
	s_mul_i32 s5, s74, s12
	v_lshrrev_b32_e32 v7, s65, v7
	s_add_u32 s5, s52, s5
	s_mul_i32 s2, s2, s11
	v_mul_lo_u32 v7, v7, s66
	s_addc_u32 s4, s53, s4
	s_ashr_i32 s6, s2, 31
	v_sub_u32_e32 v6, v6, v7
	s_add_u32 s76, s5, s2
	v_mul_lo_u32 v181, v6, s10
	v_mov_b32_e32 v6, 0x4840
	v_lshrrev_b32_e32 v7, 3, v154
	s_addc_u32 s77, s4, s6
	v_cmp_gt_u32_e64 s[4:5], 32, v1
	v_mul_u32_u24_e32 v174, 0x700, v8
	v_mul_lo_u32 v116, s69, v1
	v_lshl_add_u32 v182, v8, 9, v6
	v_cmp_gt_u32_e64 s[8:9], 16, v1
	v_add_u32_e32 v7, v155, v7
	v_mul_u32_u24_e32 v8, 0xe0, v1
	v_mul_lo_u32 v122, s59, v1
	v_mul_u32_u24_e32 v1, 0xe0, v3
	s_movk_i32 s14, 0x3880
	v_and_b32_e32 v126, 28, v104
	v_cmp_gt_u32_e64 s[6:7], 32, v3
	s_movk_i32 s2, 0x3800
	v_mov_b32_e32 v119, 0
	v_mul_lo_u32 v120, s69, v3
	v_lshlrev_b32_e32 v6, 4, v154
	v_cmp_gt_u32_e64 s[10:11], 16, v3
	v_or_b32_e32 v4, v8, v4
	v_add3_u32 v185, v1, v5, s14
	v_mul_lo_u32 v124, s59, v3
	v_mul_u32_u24_e32 v1, 0xe0, v7
	v_lshlrev_b32_e32 v3, 2, v126
	v_mul_lo_u32 v128, s59, v7
	s_add_u32 s50, s0, 0xd0
	v_mov_b32_e32 v8, 0xfeffffff
	v_ashrrev_i32_e32 v115, 31, v114
	v_ashrrev_i32_e32 v117, 31, v116
	;; [unrolled: 1-line block ×3, first 2 shown]
	v_cmp_gt_u32_e64 s[12:13], 16, v7
	v_lshlrev_b32_e32 v183, 3, v154
	v_add_u32_e32 v184, 0x38c0, v4
	v_ashrrev_i32_e32 v123, 31, v122
	v_ashrrev_i32_e32 v125, 31, v124
	v_add3_u32 v186, v1, v3, s2
	v_ashrrev_i32_e32 v129, 31, v128
	s_addc_u32 s51, s1, 0
	v_mbcnt_hi_u32_b32 v170, -1, v10
	s_mov_b32 s2, 0x40051340
	s_mov_b32 s64, 0x3fb8aa3b
	;; [unrolled: 1-line block ×4, first 2 shown]
	v_add_u32_e32 v187, v182, v6
	v_lshlrev_b32_e32 v118, 2, v0
	v_lshlrev_b32_e32 v130, 2, v2
	v_mov_b32_e32 v188, 0x7f800000
	v_mov_b32_e32 v157, v119
	;; [unrolled: 1-line block ×32, first 2 shown]
.LBB33_23:                              ; =>This Inner Loop Header: Depth=1
	s_mul_hi_i32 s15, s58, s69
	s_mul_i32 s14, s58, s69
	s_lshl_b64 s[14:15], s[14:15], 2
	s_add_u32 s14, s71, s14
	s_addc_u32 s15, s75, s15
	v_lshl_add_u64 v[20:21], v[114:115], 2, s[14:15]
	s_and_saveexec_b64 s[16:17], vcc
	s_cbranch_execnz .LBB33_41
; %bb.24:                               ;   in Loop: Header=BB33_23 Depth=1
	s_or_b64 exec, exec, s[16:17]
	v_lshl_add_u64 v[16:17], v[116:117], 2, s[14:15]
	s_and_saveexec_b64 s[16:17], s[4:5]
	s_cbranch_execnz .LBB33_42
.LBB33_25:                              ;   in Loop: Header=BB33_23 Depth=1
	s_or_b64 exec, exec, s[16:17]
	v_lshl_add_u64 v[18:19], v[120:121], 2, s[14:15]
	s_and_saveexec_b64 s[14:15], s[6:7]
	s_cbranch_execz .LBB33_27
.LBB33_26:                              ;   in Loop: Header=BB33_23 Depth=1
	v_mov_b32_e32 v131, v119
	v_lshl_add_u64 v[0:1], v[18:19], 0, v[130:131]
	global_load_dwordx4 v[0:3], v[0:1], off
	s_waitcnt vmcnt(0)
	ds_write_b128 v177, v[0:3]
.LBB33_27:                              ;   in Loop: Header=BB33_23 Depth=1
	s_or_b64 exec, exec, s[14:15]
	v_mov_b32_e32 v0, 0
	s_waitcnt lgkmcnt(0)
	s_barrier
	ds_read_b128 v[22:25], v173
	ds_read_b128 v[2:5], v174
	ds_read_b128 v[26:29], v174 offset:224
	ds_read_b128 v[30:33], v174 offset:448
	;; [unrolled: 1-line block ×7, first 2 shown]
	s_waitcnt lgkmcnt(7)
	;;#ASMSTART
	v_dot2_f32_f16 v0, v22, v2, v0
	;;#ASMEND
	v_mov_b32_e32 v1, 0
	;;#ASMSTART
	v_dot2_f32_f16 v0, v23, v3, v0
	;;#ASMEND
	v_mov_b32_e32 v2, 0
	;; [unrolled: 4-line block ×3, first 2 shown]
	;;#ASMSTART
	v_dot2_f32_f16 v0, v25, v5, v0
	;;#ASMEND
	s_waitcnt lgkmcnt(6)
	;;#ASMSTART
	v_dot2_f32_f16 v1, v22, v26, v1
	;;#ASMEND
	v_mov_b32_e32 v4, 0
	;;#ASMSTART
	v_dot2_f32_f16 v1, v23, v27, v1
	;;#ASMEND
	v_mov_b32_e32 v5, 0
	;; [unrolled: 4-line block ×3, first 2 shown]
	;;#ASMSTART
	v_dot2_f32_f16 v1, v25, v29, v1
	;;#ASMEND
	s_waitcnt lgkmcnt(5)
	;;#ASMSTART
	v_dot2_f32_f16 v2, v22, v30, v2
	;;#ASMEND
	v_mov_b32_e32 v7, 0
	;;#ASMSTART
	v_dot2_f32_f16 v2, v23, v31, v2
	;;#ASMEND
	s_nop 0
	;;#ASMSTART
	v_dot2_f32_f16 v2, v24, v32, v2
	;;#ASMEND
	s_nop 0
	;;#ASMSTART
	v_dot2_f32_f16 v2, v25, v33, v2
	;;#ASMEND
	s_waitcnt lgkmcnt(4)
	;;#ASMSTART
	v_dot2_f32_f16 v3, v22, v34, v3
	;;#ASMEND
	s_nop 0
	;;#ASMSTART
	v_dot2_f32_f16 v3, v23, v35, v3
	;;#ASMEND
	s_nop 0
	;;#ASMSTART
	v_dot2_f32_f16 v3, v24, v36, v3
	;;#ASMEND
	s_nop 0
	;;#ASMSTART
	v_dot2_f32_f16 v3, v25, v37, v3
	;;#ASMEND
	s_waitcnt lgkmcnt(3)
	;;#ASMSTART
	v_dot2_f32_f16 v4, v22, v38, v4
	;;#ASMEND
	s_nop 0
	;; [unrolled: 16-line block ×5, first 2 shown]
	;;#ASMSTART
	v_dot2_f32_f16 v7, v23, v51, v7
	;;#ASMEND
	s_nop 0
	;;#ASMSTART
	v_dot2_f32_f16 v7, v24, v52, v7
	;;#ASMEND
	s_nop 0
	;;#ASMSTART
	v_dot2_f32_f16 v7, v25, v53, v7
	;;#ASMEND
	ds_read_b128 v[22:25], v173 offset:16
	ds_read_b128 v[26:29], v174 offset:16
	ds_read_b128 v[30:33], v174 offset:240
	ds_read_b128 v[34:37], v174 offset:464
	ds_read_b128 v[38:41], v174 offset:688
	ds_read_b128 v[42:45], v174 offset:912
	ds_read_b128 v[46:49], v174 offset:1136
	ds_read_b128 v[50:53], v174 offset:1360
	ds_read_b128 v[54:57], v174 offset:1584
	s_waitcnt lgkmcnt(7)
	;;#ASMSTART
	v_dot2_f32_f16 v0, v22, v26, v0
	;;#ASMEND
	s_nop 0
	;;#ASMSTART
	v_dot2_f32_f16 v0, v23, v27, v0
	;;#ASMEND
	s_nop 0
	;;#ASMSTART
	v_dot2_f32_f16 v0, v24, v28, v0
	;;#ASMEND
	s_nop 0
	;;#ASMSTART
	v_dot2_f32_f16 v0, v25, v29, v0
	;;#ASMEND
	s_waitcnt lgkmcnt(6)
	;;#ASMSTART
	v_dot2_f32_f16 v1, v22, v30, v1
	;;#ASMEND
	s_nop 0
	;;#ASMSTART
	v_dot2_f32_f16 v1, v23, v31, v1
	;;#ASMEND
	s_nop 0
	;;#ASMSTART
	v_dot2_f32_f16 v1, v24, v32, v1
	;;#ASMEND
	s_nop 0
	;;#ASMSTART
	v_dot2_f32_f16 v1, v25, v33, v1
	;;#ASMEND
	;; [unrolled: 16-line block ×8, first 2 shown]
	ds_read_b128 v[22:25], v173 offset:32
	ds_read_b128 v[26:29], v174 offset:32
	;; [unrolled: 1-line block ×9, first 2 shown]
	s_waitcnt lgkmcnt(7)
	;;#ASMSTART
	v_dot2_f32_f16 v0, v22, v26, v0
	;;#ASMEND
	s_nop 0
	;;#ASMSTART
	v_dot2_f32_f16 v0, v23, v27, v0
	;;#ASMEND
	s_nop 0
	;;#ASMSTART
	v_dot2_f32_f16 v0, v24, v28, v0
	;;#ASMEND
	s_nop 0
	;;#ASMSTART
	v_dot2_f32_f16 v0, v25, v29, v0
	;;#ASMEND
	s_waitcnt lgkmcnt(6)
	;;#ASMSTART
	v_dot2_f32_f16 v1, v22, v30, v1
	;;#ASMEND
	s_nop 0
	;;#ASMSTART
	v_dot2_f32_f16 v1, v23, v31, v1
	;;#ASMEND
	s_nop 0
	;;#ASMSTART
	v_dot2_f32_f16 v1, v24, v32, v1
	;;#ASMEND
	s_nop 0
	;;#ASMSTART
	v_dot2_f32_f16 v1, v25, v33, v1
	;;#ASMEND
	s_waitcnt lgkmcnt(5)
	;;#ASMSTART
	v_dot2_f32_f16 v2, v22, v34, v2
	;;#ASMEND
	s_nop 0
	;;#ASMSTART
	v_dot2_f32_f16 v2, v23, v35, v2
	;;#ASMEND
	s_nop 0
	;;#ASMSTART
	v_dot2_f32_f16 v2, v24, v36, v2
	;;#ASMEND
	s_nop 0
	;;#ASMSTART
	v_dot2_f32_f16 v2, v25, v37, v2
	;;#ASMEND
	s_waitcnt lgkmcnt(4)
	;;#ASMSTART
	v_dot2_f32_f16 v3, v22, v38, v3
	;;#ASMEND
	s_nop 0
	;;#ASMSTART
	v_dot2_f32_f16 v3, v23, v39, v3
	;;#ASMEND
	s_nop 0
	;;#ASMSTART
	v_dot2_f32_f16 v3, v24, v40, v3
	;;#ASMEND
	s_nop 0
	;;#ASMSTART
	v_dot2_f32_f16 v3, v25, v41, v3
	;;#ASMEND
	s_waitcnt lgkmcnt(3)
	;;#ASMSTART
	v_dot2_f32_f16 v4, v22, v42, v4
	;;#ASMEND
	s_nop 0
	;;#ASMSTART
	v_dot2_f32_f16 v4, v23, v43, v4
	;;#ASMEND
	s_nop 0
	;;#ASMSTART
	v_dot2_f32_f16 v4, v24, v44, v4
	;;#ASMEND
	s_nop 0
	;;#ASMSTART
	v_dot2_f32_f16 v4, v25, v45, v4
	;;#ASMEND
	s_waitcnt lgkmcnt(2)
	;;#ASMSTART
	v_dot2_f32_f16 v5, v22, v46, v5
	;;#ASMEND
	s_nop 0
	;;#ASMSTART
	v_dot2_f32_f16 v5, v23, v47, v5
	;;#ASMEND
	s_nop 0
	;;#ASMSTART
	v_dot2_f32_f16 v5, v24, v48, v5
	;;#ASMEND
	s_nop 0
	;;#ASMSTART
	v_dot2_f32_f16 v5, v25, v49, v5
	;;#ASMEND
	s_waitcnt lgkmcnt(1)
	;;#ASMSTART
	v_dot2_f32_f16 v6, v22, v50, v6
	;;#ASMEND
	s_nop 0
	;;#ASMSTART
	v_dot2_f32_f16 v6, v23, v51, v6
	;;#ASMEND
	s_nop 0
	;;#ASMSTART
	v_dot2_f32_f16 v6, v24, v52, v6
	;;#ASMEND
	s_nop 0
	;;#ASMSTART
	v_dot2_f32_f16 v6, v25, v53, v6
	;;#ASMEND
	s_waitcnt lgkmcnt(0)
	;;#ASMSTART
	v_dot2_f32_f16 v7, v22, v54, v7
	;;#ASMEND
	s_nop 0
	;;#ASMSTART
	v_dot2_f32_f16 v7, v23, v55, v7
	;;#ASMEND
	s_nop 0
	;;#ASMSTART
	v_dot2_f32_f16 v7, v24, v56, v7
	;;#ASMEND
	s_nop 0
	;;#ASMSTART
	v_dot2_f32_f16 v7, v25, v57, v7
	;;#ASMEND
	ds_read_b128 v[22:25], v173 offset:48
	ds_read_b128 v[26:29], v174 offset:48
	;; [unrolled: 1-line block ×9, first 2 shown]
	s_waitcnt lgkmcnt(7)
	;;#ASMSTART
	v_dot2_f32_f16 v0, v22, v26, v0
	;;#ASMEND
	s_nop 0
	;;#ASMSTART
	v_dot2_f32_f16 v0, v23, v27, v0
	;;#ASMEND
	s_nop 0
	;;#ASMSTART
	v_dot2_f32_f16 v0, v24, v28, v0
	;;#ASMEND
	s_nop 0
	;;#ASMSTART
	v_dot2_f32_f16 v0, v25, v29, v0
	;;#ASMEND
	s_waitcnt lgkmcnt(6)
	;;#ASMSTART
	v_dot2_f32_f16 v1, v22, v30, v1
	;;#ASMEND
	s_nop 0
	;;#ASMSTART
	v_dot2_f32_f16 v1, v23, v31, v1
	;;#ASMEND
	s_nop 0
	;;#ASMSTART
	v_dot2_f32_f16 v1, v24, v32, v1
	;;#ASMEND
	s_nop 0
	;;#ASMSTART
	v_dot2_f32_f16 v1, v25, v33, v1
	;;#ASMEND
	;; [unrolled: 16-line block ×8, first 2 shown]
	ds_read_b128 v[22:25], v173 offset:64
	ds_read_b128 v[26:29], v174 offset:64
	;; [unrolled: 1-line block ×9, first 2 shown]
	s_waitcnt lgkmcnt(7)
	;;#ASMSTART
	v_dot2_f32_f16 v0, v22, v26, v0
	;;#ASMEND
	s_nop 0
	;;#ASMSTART
	v_dot2_f32_f16 v0, v23, v27, v0
	;;#ASMEND
	s_nop 0
	;;#ASMSTART
	v_dot2_f32_f16 v0, v24, v28, v0
	;;#ASMEND
	s_nop 0
	;;#ASMSTART
	v_dot2_f32_f16 v0, v25, v29, v0
	;;#ASMEND
	s_waitcnt lgkmcnt(6)
	;;#ASMSTART
	v_dot2_f32_f16 v1, v22, v30, v1
	;;#ASMEND
	s_nop 0
	;;#ASMSTART
	v_dot2_f32_f16 v1, v23, v31, v1
	;;#ASMEND
	s_nop 0
	;;#ASMSTART
	v_dot2_f32_f16 v1, v24, v32, v1
	;;#ASMEND
	s_nop 0
	;;#ASMSTART
	v_dot2_f32_f16 v1, v25, v33, v1
	;;#ASMEND
	;; [unrolled: 16-line block ×8, first 2 shown]
	ds_read_b128 v[22:25], v173 offset:80
	ds_read_b128 v[26:29], v174 offset:80
	;; [unrolled: 1-line block ×9, first 2 shown]
	s_waitcnt lgkmcnt(7)
	;;#ASMSTART
	v_dot2_f32_f16 v0, v22, v26, v0
	;;#ASMEND
	s_nop 0
	;;#ASMSTART
	v_dot2_f32_f16 v0, v23, v27, v0
	;;#ASMEND
	s_nop 0
	;;#ASMSTART
	v_dot2_f32_f16 v0, v24, v28, v0
	;;#ASMEND
	s_nop 0
	;;#ASMSTART
	v_dot2_f32_f16 v0, v25, v29, v0
	;;#ASMEND
	s_waitcnt lgkmcnt(6)
	;;#ASMSTART
	v_dot2_f32_f16 v1, v22, v30, v1
	;;#ASMEND
	s_nop 0
	;;#ASMSTART
	v_dot2_f32_f16 v1, v23, v31, v1
	;;#ASMEND
	s_nop 0
	;;#ASMSTART
	v_dot2_f32_f16 v1, v24, v32, v1
	;;#ASMEND
	s_nop 0
	;;#ASMSTART
	v_dot2_f32_f16 v1, v25, v33, v1
	;;#ASMEND
	;; [unrolled: 16-line block ×8, first 2 shown]
	ds_read_b128 v[22:25], v173 offset:96
	ds_read_b128 v[26:29], v174 offset:96
	;; [unrolled: 1-line block ×9, first 2 shown]
	s_waitcnt lgkmcnt(7)
	;;#ASMSTART
	v_dot2_f32_f16 v0, v22, v26, v0
	;;#ASMEND
	s_nop 0
	;;#ASMSTART
	v_dot2_f32_f16 v0, v23, v27, v0
	;;#ASMEND
	s_nop 0
	;;#ASMSTART
	v_dot2_f32_f16 v0, v24, v28, v0
	;;#ASMEND
	s_nop 0
	;;#ASMSTART
	v_dot2_f32_f16 v0, v25, v29, v0
	;;#ASMEND
	s_waitcnt lgkmcnt(6)
	;;#ASMSTART
	v_dot2_f32_f16 v1, v22, v30, v1
	;;#ASMEND
	s_nop 0
	;;#ASMSTART
	v_dot2_f32_f16 v1, v23, v31, v1
	;;#ASMEND
	s_nop 0
	;;#ASMSTART
	v_dot2_f32_f16 v1, v24, v32, v1
	;;#ASMEND
	s_nop 0
	;;#ASMSTART
	v_dot2_f32_f16 v1, v25, v33, v1
	;;#ASMEND
	;; [unrolled: 16-line block ×8, first 2 shown]
	s_barrier
	s_and_saveexec_b64 s[14:15], vcc
	s_cbranch_execnz .LBB33_43
; %bb.28:                               ;   in Loop: Header=BB33_23 Depth=1
	s_or_b64 exec, exec, s[14:15]
	s_and_saveexec_b64 s[14:15], s[4:5]
	s_cbranch_execnz .LBB33_44
.LBB33_29:                              ;   in Loop: Header=BB33_23 Depth=1
	s_or_b64 exec, exec, s[14:15]
	s_and_saveexec_b64 s[14:15], s[6:7]
	s_cbranch_execz .LBB33_31
.LBB33_30:                              ;   in Loop: Header=BB33_23 Depth=1
	v_mov_b32_e32 v131, v119
	v_lshl_add_u64 v[16:17], v[18:19], 0, v[130:131]
	global_load_dwordx4 v[16:19], v[16:17], off offset:112
	s_waitcnt vmcnt(0)
	ds_write_b128 v177, v[16:19]
.LBB33_31:                              ;   in Loop: Header=BB33_23 Depth=1
	s_or_b64 exec, exec, s[14:15]
	s_waitcnt lgkmcnt(0)
	s_barrier
	ds_read_b128 v[16:19], v173
	ds_read_b128 v[20:23], v174 offset:112
	ds_read_b128 v[24:27], v174 offset:336
	;; [unrolled: 1-line block ×8, first 2 shown]
	s_waitcnt lgkmcnt(7)
	;;#ASMSTART
	v_dot2_f32_f16 v0, v16, v20, v0
	;;#ASMEND
	v_xor_b32_e32 v193, 16, v170
	;;#ASMSTART
	v_dot2_f32_f16 v0, v17, v21, v0
	;;#ASMEND
	v_xor_b32_e32 v194, 8, v170
	;; [unrolled: 4-line block ×3, first 2 shown]
	;;#ASMSTART
	v_dot2_f32_f16 v0, v19, v23, v0
	;;#ASMEND
	s_waitcnt lgkmcnt(6)
	;;#ASMSTART
	v_dot2_f32_f16 v1, v16, v24, v1
	;;#ASMEND
	v_xor_b32_e32 v191, 2, v170
	;;#ASMSTART
	v_dot2_f32_f16 v1, v17, v25, v1
	;;#ASMEND
	v_xor_b32_e32 v190, 1, v170
	;;#ASMSTART
	v_dot2_f32_f16 v1, v18, v26, v1
	;;#ASMEND
	s_nop 0
	;;#ASMSTART
	v_dot2_f32_f16 v1, v19, v27, v1
	;;#ASMEND
	s_waitcnt lgkmcnt(5)
	;;#ASMSTART
	v_dot2_f32_f16 v2, v16, v28, v2
	;;#ASMEND
	s_nop 0
	;;#ASMSTART
	v_dot2_f32_f16 v2, v17, v29, v2
	;;#ASMEND
	s_nop 0
	;;#ASMSTART
	v_dot2_f32_f16 v2, v18, v30, v2
	;;#ASMEND
	s_nop 0
	;;#ASMSTART
	v_dot2_f32_f16 v2, v19, v31, v2
	;;#ASMEND
	s_waitcnt lgkmcnt(4)
	;;#ASMSTART
	v_dot2_f32_f16 v3, v16, v32, v3
	;;#ASMEND
	s_nop 0
	;;#ASMSTART
	v_dot2_f32_f16 v3, v17, v33, v3
	;;#ASMEND
	s_nop 0
	;; [unrolled: 16-line block ×6, first 2 shown]
	;;#ASMSTART
	v_dot2_f32_f16 v7, v18, v50, v7
	;;#ASMEND
	s_nop 0
	;;#ASMSTART
	v_dot2_f32_f16 v7, v19, v51, v7
	;;#ASMEND
	ds_read_b128 v[16:19], v173 offset:16
	ds_read_b128 v[20:23], v174 offset:128
	;; [unrolled: 1-line block ×9, first 2 shown]
	s_waitcnt lgkmcnt(7)
	;;#ASMSTART
	v_dot2_f32_f16 v0, v16, v20, v0
	;;#ASMEND
	s_nop 0
	;;#ASMSTART
	v_dot2_f32_f16 v0, v17, v21, v0
	;;#ASMEND
	s_nop 0
	;;#ASMSTART
	v_dot2_f32_f16 v0, v18, v22, v0
	;;#ASMEND
	s_nop 0
	;;#ASMSTART
	v_dot2_f32_f16 v0, v19, v23, v0
	;;#ASMEND
	s_waitcnt lgkmcnt(6)
	;;#ASMSTART
	v_dot2_f32_f16 v1, v16, v24, v1
	;;#ASMEND
	s_nop 0
	;;#ASMSTART
	v_dot2_f32_f16 v1, v17, v25, v1
	;;#ASMEND
	s_nop 0
	;;#ASMSTART
	v_dot2_f32_f16 v1, v18, v26, v1
	;;#ASMEND
	s_nop 0
	;;#ASMSTART
	v_dot2_f32_f16 v1, v19, v27, v1
	;;#ASMEND
	;; [unrolled: 16-line block ×8, first 2 shown]
	ds_read_b128 v[16:19], v173 offset:32
	ds_read_b128 v[20:23], v174 offset:144
	;; [unrolled: 1-line block ×9, first 2 shown]
	s_waitcnt lgkmcnt(7)
	;;#ASMSTART
	v_dot2_f32_f16 v0, v16, v20, v0
	;;#ASMEND
	s_nop 0
	;;#ASMSTART
	v_dot2_f32_f16 v0, v17, v21, v0
	;;#ASMEND
	s_nop 0
	;;#ASMSTART
	v_dot2_f32_f16 v0, v18, v22, v0
	;;#ASMEND
	s_nop 0
	;;#ASMSTART
	v_dot2_f32_f16 v0, v19, v23, v0
	;;#ASMEND
	s_waitcnt lgkmcnt(6)
	;;#ASMSTART
	v_dot2_f32_f16 v1, v16, v24, v1
	;;#ASMEND
	s_nop 0
	;;#ASMSTART
	v_dot2_f32_f16 v1, v17, v25, v1
	;;#ASMEND
	s_nop 0
	;;#ASMSTART
	v_dot2_f32_f16 v1, v18, v26, v1
	;;#ASMEND
	s_nop 0
	;;#ASMSTART
	v_dot2_f32_f16 v1, v19, v27, v1
	;;#ASMEND
	;; [unrolled: 16-line block ×8, first 2 shown]
	ds_read_b128 v[16:19], v173 offset:48
	ds_read_b128 v[20:23], v174 offset:160
	;; [unrolled: 1-line block ×9, first 2 shown]
	s_waitcnt lgkmcnt(7)
	;;#ASMSTART
	v_dot2_f32_f16 v0, v16, v20, v0
	;;#ASMEND
	s_nop 0
	;;#ASMSTART
	v_dot2_f32_f16 v0, v17, v21, v0
	;;#ASMEND
	s_nop 0
	;;#ASMSTART
	v_dot2_f32_f16 v0, v18, v22, v0
	;;#ASMEND
	s_nop 0
	;;#ASMSTART
	v_dot2_f32_f16 v0, v19, v23, v0
	;;#ASMEND
	s_waitcnt lgkmcnt(6)
	;;#ASMSTART
	v_dot2_f32_f16 v1, v16, v24, v1
	;;#ASMEND
	s_nop 0
	;;#ASMSTART
	v_dot2_f32_f16 v1, v17, v25, v1
	;;#ASMEND
	s_nop 0
	;;#ASMSTART
	v_dot2_f32_f16 v1, v18, v26, v1
	;;#ASMEND
	s_nop 0
	;;#ASMSTART
	v_dot2_f32_f16 v1, v19, v27, v1
	;;#ASMEND
	;; [unrolled: 16-line block ×8, first 2 shown]
	ds_read_b128 v[16:19], v173 offset:64
	ds_read_b128 v[20:23], v174 offset:176
	;; [unrolled: 1-line block ×9, first 2 shown]
	s_waitcnt lgkmcnt(7)
	;;#ASMSTART
	v_dot2_f32_f16 v0, v16, v20, v0
	;;#ASMEND
	s_nop 0
	;;#ASMSTART
	v_dot2_f32_f16 v0, v17, v21, v0
	;;#ASMEND
	s_nop 0
	;;#ASMSTART
	v_dot2_f32_f16 v0, v18, v22, v0
	;;#ASMEND
	s_nop 0
	;;#ASMSTART
	v_dot2_f32_f16 v0, v19, v23, v0
	;;#ASMEND
	s_waitcnt lgkmcnt(6)
	;;#ASMSTART
	v_dot2_f32_f16 v1, v16, v24, v1
	;;#ASMEND
	s_nop 0
	;;#ASMSTART
	v_dot2_f32_f16 v1, v17, v25, v1
	;;#ASMEND
	s_nop 0
	;;#ASMSTART
	v_dot2_f32_f16 v1, v18, v26, v1
	;;#ASMEND
	s_nop 0
	;;#ASMSTART
	v_dot2_f32_f16 v1, v19, v27, v1
	;;#ASMEND
	;; [unrolled: 16-line block ×8, first 2 shown]
	ds_read_b128 v[16:19], v173 offset:80
	ds_read_b128 v[20:23], v174 offset:192
	;; [unrolled: 1-line block ×9, first 2 shown]
	s_waitcnt lgkmcnt(7)
	;;#ASMSTART
	v_dot2_f32_f16 v0, v16, v20, v0
	;;#ASMEND
	s_nop 0
	;;#ASMSTART
	v_dot2_f32_f16 v0, v17, v21, v0
	;;#ASMEND
	s_nop 0
	;;#ASMSTART
	v_dot2_f32_f16 v0, v18, v22, v0
	;;#ASMEND
	s_nop 0
	;;#ASMSTART
	v_dot2_f32_f16 v0, v19, v23, v0
	;;#ASMEND
	s_waitcnt lgkmcnt(6)
	;;#ASMSTART
	v_dot2_f32_f16 v1, v16, v24, v1
	;;#ASMEND
	s_nop 0
	;;#ASMSTART
	v_dot2_f32_f16 v1, v17, v25, v1
	;;#ASMEND
	s_nop 0
	;;#ASMSTART
	v_dot2_f32_f16 v1, v18, v26, v1
	;;#ASMEND
	s_nop 0
	;;#ASMSTART
	v_dot2_f32_f16 v1, v19, v27, v1
	;;#ASMEND
	s_waitcnt lgkmcnt(5)
	;;#ASMSTART
	v_dot2_f32_f16 v2, v16, v28, v2
	;;#ASMEND
	s_nop 0
	;;#ASMSTART
	v_dot2_f32_f16 v2, v17, v29, v2
	;;#ASMEND
	s_nop 0
	;;#ASMSTART
	v_dot2_f32_f16 v2, v18, v30, v2
	;;#ASMEND
	s_nop 0
	;;#ASMSTART
	v_dot2_f32_f16 v2, v19, v31, v2
	;;#ASMEND
	s_waitcnt lgkmcnt(4)
	;;#ASMSTART
	v_dot2_f32_f16 v3, v16, v32, v3
	;;#ASMEND
	s_nop 0
	;;#ASMSTART
	v_dot2_f32_f16 v3, v17, v33, v3
	;;#ASMEND
	s_nop 0
	;;#ASMSTART
	v_dot2_f32_f16 v3, v18, v34, v3
	;;#ASMEND
	s_nop 0
	;;#ASMSTART
	v_dot2_f32_f16 v3, v19, v35, v3
	;;#ASMEND
	s_waitcnt lgkmcnt(3)
	;;#ASMSTART
	v_dot2_f32_f16 v4, v16, v36, v4
	;;#ASMEND
	s_nop 0
	;;#ASMSTART
	v_dot2_f32_f16 v4, v17, v37, v4
	;;#ASMEND
	s_nop 0
	;;#ASMSTART
	v_dot2_f32_f16 v4, v18, v38, v4
	;;#ASMEND
	s_nop 0
	;;#ASMSTART
	v_dot2_f32_f16 v4, v19, v39, v4
	;;#ASMEND
	s_waitcnt lgkmcnt(2)
	;;#ASMSTART
	v_dot2_f32_f16 v5, v16, v40, v5
	;;#ASMEND
	s_nop 0
	;;#ASMSTART
	v_dot2_f32_f16 v5, v17, v41, v5
	;;#ASMEND
	s_nop 0
	;;#ASMSTART
	v_dot2_f32_f16 v5, v18, v42, v5
	;;#ASMEND
	s_nop 0
	;;#ASMSTART
	v_dot2_f32_f16 v5, v19, v43, v5
	;;#ASMEND
	s_waitcnt lgkmcnt(1)
	;;#ASMSTART
	v_dot2_f32_f16 v6, v16, v44, v6
	;;#ASMEND
	s_nop 0
	;;#ASMSTART
	v_dot2_f32_f16 v6, v17, v45, v6
	;;#ASMEND
	s_nop 0
	;;#ASMSTART
	v_dot2_f32_f16 v6, v18, v46, v6
	;;#ASMEND
	s_nop 0
	;;#ASMSTART
	v_dot2_f32_f16 v6, v19, v47, v6
	;;#ASMEND
	s_waitcnt lgkmcnt(0)
	;;#ASMSTART
	v_dot2_f32_f16 v7, v16, v48, v7
	;;#ASMEND
	s_nop 0
	;;#ASMSTART
	v_dot2_f32_f16 v7, v17, v49, v7
	;;#ASMEND
	s_nop 0
	;;#ASMSTART
	v_dot2_f32_f16 v7, v18, v50, v7
	;;#ASMEND
	s_nop 0
	;;#ASMSTART
	v_dot2_f32_f16 v7, v19, v51, v7
	;;#ASMEND
	ds_read_b128 v[16:19], v173 offset:96
	ds_read_b128 v[20:23], v174 offset:208
	;; [unrolled: 1-line block ×9, first 2 shown]
	s_waitcnt lgkmcnt(7)
	;;#ASMSTART
	v_dot2_f32_f16 v0, v16, v20, v0
	;;#ASMEND
	v_add_u32_e32 v20, s58, v154
	;;#ASMSTART
	v_dot2_f32_f16 v0, v17, v21, v0
	;;#ASMEND
	s_nop 0
	;;#ASMSTART
	v_dot2_f32_f16 v0, v18, v22, v0
	;;#ASMEND
	s_nop 0
	;;#ASMSTART
	v_dot2_f32_f16 v0, v19, v23, v0
	;;#ASMEND
	s_waitcnt lgkmcnt(6)
	;;#ASMSTART
	v_dot2_f32_f16 v1, v16, v24, v1
	;;#ASMEND
	s_nop 0
	;;#ASMSTART
	v_dot2_f32_f16 v1, v17, v25, v1
	;;#ASMEND
	s_nop 0
	;;#ASMSTART
	v_dot2_f32_f16 v1, v18, v26, v1
	;;#ASMEND
	s_nop 0
	;;#ASMSTART
	v_dot2_f32_f16 v1, v19, v27, v1
	;;#ASMEND
	s_waitcnt lgkmcnt(5)
	;;#ASMSTART
	v_dot2_f32_f16 v2, v16, v28, v2
	;;#ASMEND
	s_nop 0
	;; [unrolled: 16-line block ×6, first 2 shown]
	;;#ASMSTART
	v_dot2_f32_f16 v6, v17, v45, v6
	;;#ASMEND
	s_nop 0
	;;#ASMSTART
	v_dot2_f32_f16 v6, v18, v46, v6
	;;#ASMEND
	s_nop 0
	;;#ASMSTART
	v_dot2_f32_f16 v6, v19, v47, v6
	;;#ASMEND
	s_waitcnt lgkmcnt(0)
	;;#ASMSTART
	v_dot2_f32_f16 v7, v16, v48, v7
	;;#ASMEND
	v_add_u32_e32 v16, v20, v178
	;;#ASMSTART
	v_dot2_f32_f16 v7, v17, v49, v7
	;;#ASMEND
	v_ashrrev_i32_e32 v17, 31, v16
	;;#ASMSTART
	v_dot2_f32_f16 v7, v18, v50, v7
	;;#ASMEND
	v_add_u32_e32 v18, v20, v179
	;;#ASMSTART
	v_dot2_f32_f16 v7, v19, v51, v7
	;;#ASMEND
	v_ashrrev_i32_e32 v19, 31, v18
	v_lshl_add_u64 v[18:19], v[18:19], 1, s[72:73]
	v_lshl_add_u64 v[16:17], v[16:17], 1, s[72:73]
	flat_load_ushort v21, v[18:19]
	flat_load_ushort v22, v[16:17]
	v_and_b32_e32 v16, 0x60, v170
	v_add_u32_e32 v189, 32, v16
	v_cmp_lt_i32_e64 s[14:15], v193, v189
	v_add_u32_e32 v18, v20, v181
	v_ashrrev_i32_e32 v19, 31, v18
	v_cndmask_b32_e64 v16, v170, v193, s[14:15]
	v_cmp_lt_i32_e64 s[14:15], v194, v189
	v_lshlrev_b32_e32 v23, 2, v16
	v_lshl_add_u64 v[18:19], v[18:19], 1, s[72:73]
	v_cndmask_b32_e64 v16, v170, v194, s[14:15]
	v_cmp_lt_i32_e64 s[14:15], v192, v189
	v_lshlrev_b32_e32 v24, 2, v16
	s_nop 0
	v_cndmask_b32_e64 v16, v170, v192, s[14:15]
	v_cmp_lt_i32_e64 s[14:15], v191, v189
	v_lshlrev_b32_e32 v25, 2, v16
	s_nop 0
	;; [unrolled: 4-line block ×3, first 2 shown]
	v_cndmask_b32_e64 v16, v170, v190, s[14:15]
	v_lshlrev_b32_e32 v27, 2, v16
	v_add_u32_e32 v16, v20, v180
	v_ashrrev_i32_e32 v17, 31, v16
	v_lshl_add_u64 v[16:17], v[16:17], 1, s[72:73]
	flat_load_ushort v20, v[16:17]
	flat_load_ushort v28, v[18:19]
	s_waitcnt lgkmcnt(0)
	s_barrier
	s_waitcnt vmcnt(0)
	v_cvt_f32_f16_e32 v16, v21
	v_cvt_f32_f16_e32 v18, v22
	v_max_f32_e32 v21, v15, v15
	v_pk_add_f32 v[16:17], v[2:3], v[16:17] op_sel_hi:[1,0]
	s_nop 0
	v_pk_add_f32 v[2:3], v[16:17], s[2:3] op_sel_hi:[1,0]
	v_pk_add_f32 v[18:19], v[0:1], v[18:19] op_sel_hi:[1,0]
	v_max_f32_e32 v3, v21, v3
	v_max_f32_e32 v21, v14, v14
	v_pk_add_f32 v[0:1], v[18:19], s[2:3] op_sel_hi:[1,0]
	v_max_f32_e32 v2, v21, v2
	v_max_f32_e32 v21, v9, v9
	;; [unrolled: 1-line block ×5, first 2 shown]
	ds_bpermute_b32 v21, v23, v2
	ds_bpermute_b32 v30, v23, v1
	;; [unrolled: 1-line block ×4, first 2 shown]
	s_waitcnt lgkmcnt(3)
	v_max_f32_e32 v21, v21, v21
	v_max_f32_e32 v2, v2, v21
	s_waitcnt lgkmcnt(2)
	v_max_f32_e32 v21, v30, v30
	v_max_f32_e32 v1, v1, v21
	s_waitcnt lgkmcnt(1)
	v_max_f32_e32 v21, v29, v29
	v_max_f32_e32 v0, v0, v21
	ds_bpermute_b32 v21, v24, v2
	s_waitcnt lgkmcnt(1)
	v_max_f32_e32 v22, v22, v22
	ds_bpermute_b32 v30, v24, v1
	v_max_f32_e32 v3, v3, v22
	ds_bpermute_b32 v29, v24, v0
	ds_bpermute_b32 v22, v24, v3
	s_waitcnt lgkmcnt(3)
	v_max_f32_e32 v21, v21, v21
	v_max_f32_e32 v2, v2, v21
	s_waitcnt lgkmcnt(2)
	v_max_f32_e32 v21, v30, v30
	v_max_f32_e32 v1, v1, v21
	s_waitcnt lgkmcnt(1)
	v_max_f32_e32 v21, v29, v29
	s_waitcnt lgkmcnt(0)
	v_max_f32_e32 v22, v22, v22
	v_max_f32_e32 v0, v0, v21
	ds_bpermute_b32 v21, v25, v2
	v_max_f32_e32 v3, v3, v22
	ds_bpermute_b32 v30, v25, v1
	ds_bpermute_b32 v22, v25, v3
	;; [unrolled: 1-line block ×3, first 2 shown]
	s_waitcnt lgkmcnt(3)
	v_max_f32_e32 v21, v21, v21
	v_max_f32_e32 v2, v2, v21
	s_waitcnt lgkmcnt(2)
	v_max_f32_e32 v21, v30, v30
	s_waitcnt lgkmcnt(1)
	v_max_f32_e32 v22, v22, v22
	v_max_f32_e32 v1, v1, v21
	s_waitcnt lgkmcnt(0)
	v_max_f32_e32 v21, v29, v29
	v_max_f32_e32 v3, v3, v22
	;; [unrolled: 1-line block ×3, first 2 shown]
	ds_bpermute_b32 v21, v26, v2
	ds_bpermute_b32 v22, v26, v3
	;; [unrolled: 1-line block ×4, first 2 shown]
	s_waitcnt lgkmcnt(3)
	v_max_f32_e32 v21, v21, v21
	s_waitcnt lgkmcnt(2)
	v_max_f32_e32 v22, v22, v22
	v_max_f32_e32 v2, v2, v21
	s_waitcnt lgkmcnt(1)
	v_max_f32_e32 v21, v30, v30
	v_max_f32_e32 v3, v3, v22
	;; [unrolled: 1-line block ×3, first 2 shown]
	s_waitcnt lgkmcnt(0)
	v_max_f32_e32 v21, v29, v29
	ds_bpermute_b32 v22, v27, v3
	v_max_f32_e32 v0, v0, v21
	ds_bpermute_b32 v21, v27, v2
	ds_bpermute_b32 v30, v27, v1
	ds_bpermute_b32 v29, v27, v0
	s_waitcnt lgkmcnt(3)
	v_max_f32_e32 v22, v22, v22
	v_max_f32_e32 v3, v3, v22
	s_waitcnt lgkmcnt(2)
	v_max_f32_e32 v21, v21, v21
	v_max_f32_e32 v2, v2, v21
	;; [unrolled: 3-line block ×3, first 2 shown]
	s_waitcnt lgkmcnt(0)
	v_max_f32_e32 v21, v29, v29
	v_sub_f32_e32 v17, v17, v3
	v_max_f32_e32 v0, v0, v21
	v_mul_f32_e32 v21, 0x3fb8aa3b, v17
	v_fma_f32 v22, v17, s64, -v21
	v_rndne_f32_e32 v29, v21
	v_fmac_f32_e32 v22, 0x32a5705f, v17
	v_sub_f32_e32 v21, v21, v29
	v_add_f32_e32 v21, v21, v22
	v_exp_f32_e32 v21, v21
	v_cvt_i32_f32_e32 v22, v29
	v_sub_f32_e32 v16, v16, v2
	v_cmp_ngt_f32_e64 s[14:15], s65, v17
	v_sub_f32_e32 v19, v19, v1
	v_ldexp_f32 v21, v21, v22
	v_mul_f32_e32 v22, 0x3fb8aa3b, v16
	v_fma_f32 v29, v16, s64, -v22
	v_rndne_f32_e32 v30, v22
	v_fmac_f32_e32 v29, 0x32a5705f, v16
	v_sub_f32_e32 v22, v22, v30
	v_add_f32_e32 v22, v22, v29
	v_exp_f32_e32 v22, v22
	v_cvt_i32_f32_e32 v29, v30
	v_cndmask_b32_e64 v21, 0, v21, s[14:15]
	v_cmp_nlt_f32_e64 s[14:15], s78, v17
	v_sub_f32_e32 v18, v18, v0
	v_ldexp_f32 v17, v22, v29
	v_cndmask_b32_e64 v133, v188, v21, s[14:15]
	v_mul_f32_e32 v21, 0x3fb8aa3b, v19
	v_fma_f32 v22, v19, s64, -v21
	v_rndne_f32_e32 v29, v21
	v_fmac_f32_e32 v22, 0x32a5705f, v19
	v_sub_f32_e32 v21, v21, v29
	v_add_f32_e32 v21, v21, v22
	v_exp_f32_e32 v21, v21
	v_cvt_i32_f32_e32 v22, v29
	v_cmp_ngt_f32_e64 s[14:15], s65, v16
	s_nop 1
	v_cndmask_b32_e64 v17, 0, v17, s[14:15]
	v_cmp_nlt_f32_e64 s[14:15], s78, v16
	v_ldexp_f32 v16, v21, v22
	s_nop 0
	v_cndmask_b32_e64 v132, v188, v17, s[14:15]
	v_mul_f32_e32 v17, 0x3fb8aa3b, v18
	v_fma_f32 v21, v18, s64, -v17
	v_rndne_f32_e32 v22, v17
	v_fmac_f32_e32 v21, 0x32a5705f, v18
	v_sub_f32_e32 v17, v17, v22
	v_add_f32_e32 v17, v17, v21
	v_exp_f32_e32 v17, v17
	v_cvt_i32_f32_e32 v21, v22
	v_cmp_ngt_f32_e64 s[14:15], s65, v19
	v_max_f32_e32 v22, v11, v11
	s_nop 0
	v_cndmask_b32_e64 v16, 0, v16, s[14:15]
	v_cmp_nlt_f32_e64 s[14:15], s78, v19
	s_nop 1
	v_cndmask_b32_e64 v135, v188, v16, s[14:15]
	v_ldexp_f32 v16, v17, v21
	v_cmp_ngt_f32_e64 s[14:15], s65, v18
	v_cvt_f16_f32_e32 v21, v133
	s_nop 0
	v_cndmask_b32_e64 v16, 0, v16, s[14:15]
	v_cmp_nlt_f32_e64 s[14:15], s78, v18
	v_cvt_f32_f16_e32 v18, v20
	v_cvt_f16_f32_e32 v20, v135
	v_cndmask_b32_e64 v134, v188, v16, s[14:15]
	v_cvt_f32_f16_e32 v16, v28
	v_pk_add_f32 v[18:19], v[4:5], v[18:19] op_sel_hi:[1,0]
	v_pk_add_f32 v[16:17], v[6:7], v[16:17] op_sel_hi:[1,0]
	s_nop 0
	v_pk_add_f32 v[6:7], v[16:17], s[2:3] op_sel_hi:[1,0]
	v_pk_add_f32 v[4:5], v[18:19], s[2:3] op_sel_hi:[1,0]
	v_max_f32_e32 v7, v22, v7
	v_max_f32_e32 v22, v10, v10
	;; [unrolled: 1-line block ×7, first 2 shown]
	ds_bpermute_b32 v22, v23, v6
	ds_bpermute_b32 v28, v23, v7
	ds_bpermute_b32 v29, v23, v4
	ds_bpermute_b32 v23, v23, v5
	s_waitcnt lgkmcnt(3)
	v_max_f32_e32 v22, v22, v22
	v_max_f32_e32 v6, v6, v22
	s_waitcnt lgkmcnt(2)
	v_max_f32_e32 v28, v28, v28
	s_waitcnt lgkmcnt(0)
	v_max_f32_e32 v22, v23, v23
	v_max_f32_e32 v5, v5, v22
	v_max_f32_e32 v22, v29, v29
	v_max_f32_e32 v7, v7, v28
	v_max_f32_e32 v4, v4, v22
	ds_bpermute_b32 v22, v24, v6
	ds_bpermute_b32 v23, v24, v7
	ds_bpermute_b32 v28, v24, v4
	ds_bpermute_b32 v24, v24, v5
	s_waitcnt lgkmcnt(3)
	v_max_f32_e32 v22, v22, v22
	v_max_f32_e32 v6, v6, v22
	s_waitcnt lgkmcnt(2)
	v_max_f32_e32 v23, v23, v23
	s_waitcnt lgkmcnt(0)
	v_max_f32_e32 v22, v24, v24
	v_max_f32_e32 v5, v5, v22
	v_max_f32_e32 v22, v28, v28
	v_max_f32_e32 v7, v7, v23
	v_max_f32_e32 v4, v4, v22
	;; [unrolled: 15-line block ×3, first 2 shown]
	ds_bpermute_b32 v22, v26, v6
	ds_bpermute_b32 v23, v26, v7
	ds_bpermute_b32 v25, v26, v5
	ds_bpermute_b32 v24, v26, v4
	s_waitcnt lgkmcnt(3)
	v_max_f32_e32 v22, v22, v22
	s_waitcnt lgkmcnt(2)
	v_max_f32_e32 v23, v23, v23
	v_max_f32_e32 v6, v6, v22
	s_waitcnt lgkmcnt(1)
	v_max_f32_e32 v22, v25, v25
	v_max_f32_e32 v7, v7, v23
	;; [unrolled: 1-line block ×3, first 2 shown]
	s_waitcnt lgkmcnt(0)
	v_max_f32_e32 v22, v24, v24
	ds_bpermute_b32 v23, v27, v7
	v_max_f32_e32 v4, v4, v22
	ds_bpermute_b32 v22, v27, v6
	ds_bpermute_b32 v25, v27, v5
	;; [unrolled: 1-line block ×3, first 2 shown]
	s_waitcnt lgkmcnt(3)
	v_max_f32_e32 v23, v23, v23
	v_max_f32_e32 v7, v7, v23
	s_waitcnt lgkmcnt(2)
	v_max_f32_e32 v22, v22, v22
	v_max_f32_e32 v6, v6, v22
	;; [unrolled: 3-line block ×3, first 2 shown]
	s_waitcnt lgkmcnt(0)
	v_max_f32_e32 v22, v24, v24
	v_sub_f32_e32 v17, v17, v7
	v_max_f32_e32 v4, v4, v22
	v_mul_f32_e32 v22, 0x3fb8aa3b, v17
	v_fma_f32 v23, v17, s64, -v22
	v_rndne_f32_e32 v24, v22
	v_fmac_f32_e32 v23, 0x32a5705f, v17
	v_sub_f32_e32 v22, v22, v24
	v_add_f32_e32 v22, v22, v23
	v_exp_f32_e32 v22, v22
	v_cvt_i32_f32_e32 v23, v24
	v_sub_f32_e32 v16, v16, v6
	v_cmp_ngt_f32_e64 s[14:15], s65, v17
	v_sub_f32_e32 v19, v19, v5
	v_ldexp_f32 v22, v22, v23
	v_mul_f32_e32 v23, 0x3fb8aa3b, v16
	v_fma_f32 v24, v16, s64, -v23
	v_rndne_f32_e32 v25, v23
	v_fmac_f32_e32 v24, 0x32a5705f, v16
	v_sub_f32_e32 v23, v23, v25
	v_add_f32_e32 v23, v23, v24
	v_exp_f32_e32 v23, v23
	v_cvt_i32_f32_e32 v24, v25
	v_cndmask_b32_e64 v22, 0, v22, s[14:15]
	v_cmp_nlt_f32_e64 s[14:15], s78, v17
	v_sub_f32_e32 v18, v18, v4
	v_ldexp_f32 v17, v23, v24
	v_cndmask_b32_e64 v137, v188, v22, s[14:15]
	v_mul_f32_e32 v22, 0x3fb8aa3b, v19
	v_fma_f32 v23, v19, s64, -v22
	v_rndne_f32_e32 v24, v22
	v_fmac_f32_e32 v23, 0x32a5705f, v19
	v_sub_f32_e32 v22, v22, v24
	v_add_f32_e32 v22, v22, v23
	v_exp_f32_e32 v22, v22
	v_cvt_i32_f32_e32 v23, v24
	v_cmp_ngt_f32_e64 s[14:15], s65, v16
	v_cvt_f16_f32_e32 v24, v134
	s_nop 0
	v_cndmask_b32_e64 v17, 0, v17, s[14:15]
	v_cmp_nlt_f32_e64 s[14:15], s78, v16
	v_ldexp_f32 v16, v22, v23
	s_nop 0
	v_cndmask_b32_e64 v136, v188, v17, s[14:15]
	v_mul_f32_e32 v17, 0x3fb8aa3b, v18
	v_fma_f32 v22, v18, s64, -v17
	v_rndne_f32_e32 v23, v17
	v_fmac_f32_e32 v22, 0x32a5705f, v18
	v_sub_f32_e32 v17, v17, v23
	v_add_f32_e32 v17, v17, v22
	v_exp_f32_e32 v17, v17
	v_cvt_i32_f32_e32 v22, v23
	v_cmp_ngt_f32_e64 s[14:15], s65, v19
	v_cvt_f16_f32_e32 v23, v132
	s_nop 0
	v_cndmask_b32_e64 v16, 0, v16, s[14:15]
	v_cmp_nlt_f32_e64 s[14:15], s78, v19
	s_nop 1
	v_cndmask_b32_e64 v139, v188, v16, s[14:15]
	v_ldexp_f32 v16, v17, v22
	v_cmp_ngt_f32_e64 s[14:15], s65, v18
	v_cvt_f16_f32_e32 v17, v137
	s_nop 0
	v_cndmask_b32_e64 v16, 0, v16, s[14:15]
	v_cmp_nlt_f32_e64 s[14:15], s78, v18
	v_cvt_f16_f32_e32 v18, v136
	v_pack_b32_f16 v19, v18, v17
	v_cndmask_b32_e64 v138, v188, v16, s[14:15]
	v_cvt_f16_f32_e32 v16, v139
	v_cvt_f16_f32_e32 v22, v138
	s_mul_hi_i32 s15, s58, s59
	s_mul_i32 s14, s58, s59
	s_lshl_b64 s[14:15], s[14:15], 2
	s_add_u32 s14, s76, s14
	v_pack_b32_f16 v18, v22, v16
	v_pack_b32_f16 v17, v23, v21
	;; [unrolled: 1-line block ×3, first 2 shown]
	s_addc_u32 s15, s77, s15
	ds_write_b128 v187, v[16:19]
	s_and_saveexec_b64 s[16:17], s[8:9]
	s_cbranch_execnz .LBB33_45
; %bb.32:                               ;   in Loop: Header=BB33_23 Depth=1
	s_or_b64 exec, exec, s[16:17]
	s_and_saveexec_b64 s[16:17], s[10:11]
	s_cbranch_execnz .LBB33_46
.LBB33_33:                              ;   in Loop: Header=BB33_23 Depth=1
	s_or_b64 exec, exec, s[16:17]
	v_lshlrev_b32_e32 v148, 2, v126
	s_and_saveexec_b64 s[16:17], s[12:13]
	s_cbranch_execz .LBB33_35
.LBB33_34:                              ;   in Loop: Header=BB33_23 Depth=1
	v_lshl_add_u64 v[16:17], v[128:129], 2, s[14:15]
	v_mov_b32_e32 v149, v119
	v_lshl_add_u64 v[16:17], v[16:17], 0, v[148:149]
	global_load_dwordx4 v[16:19], v[16:17], off
	s_waitcnt vmcnt(0)
	ds_write_b128 v186, v[16:19]
.LBB33_35:                              ;   in Loop: Header=BB33_23 Depth=1
	s_or_b64 exec, exec, s[16:17]
	v_add_u32_e32 v196, 0x3800, v183
	s_waitcnt lgkmcnt(0)
	s_barrier
	ds_read2_b64 v[92:95], v196 offset1:28
	ds_read_b128 v[100:103], v182
	ds_read_b128 v[96:99], v182 offset:16
	ds_read_b128 v[88:91], v182 offset:32
	;; [unrolled: 1-line block ×3, first 2 shown]
	ds_read2_b64 v[84:87], v196 offset0:56 offset1:84
	ds_read2_b64 v[68:71], v196 offset0:112 offset1:140
	ds_read_b128 v[76:79], v182 offset:64
	ds_read_b128 v[72:75], v182 offset:80
	ds_read2_b64 v[56:59], v196 offset0:168 offset1:196
	ds_read_b128 v[64:67], v182 offset:96
	ds_read_b128 v[60:63], v182 offset:112
	;; [unrolled: 3-line block ×3, first 2 shown]
	v_add_u32_e32 v195, 0x4000, v183
	v_pk_add_f32 v[140:141], v[8:9], v[0:1] neg_lo:[0,1] neg_hi:[0,1]
	v_pk_add_f32 v[142:143], v[14:15], v[2:3] neg_lo:[0,1] neg_hi:[0,1]
	;; [unrolled: 1-line block ×4, first 2 shown]
	ds_read2_b64 v[32:35], v195 offset0:24 offset1:52
	ds_read_b128 v[40:43], v182 offset:160
	ds_read_b128 v[36:39], v182 offset:176
	ds_read2_b64 v[20:23], v195 offset0:80 offset1:108
	ds_read_b128 v[28:31], v182 offset:192
	ds_read_b128 v[24:27], v182 offset:208
	;; [unrolled: 3-line block ×3, first 2 shown]
	s_or_b32 s52, s58, 16
	s_mul_hi_i32 s53, s52, s59
	s_mul_i32 s52, s52, s59
	s_lshl_b64 s[52:53], s[52:53], 2
	s_add_u32 s52, s76, s52
	v_cmp_ngt_f32_e64 s[44:45], s65, v141
	v_cmp_nlt_f32_e64 s[46:47], s78, v141
	v_cmp_ngt_f32_e64 s[40:41], s65, v140
	v_cmp_nlt_f32_e64 s[42:43], s78, v140
	;; [unrolled: 2-line block ×8, first 2 shown]
	s_addc_u32 s53, s77, s53
	s_waitcnt lgkmcnt(0)
	s_barrier
	s_and_saveexec_b64 s[54:55], s[8:9]
	s_cbranch_execnz .LBB33_47
; %bb.36:                               ;   in Loop: Header=BB33_23 Depth=1
	s_or_b64 exec, exec, s[54:55]
	s_and_saveexec_b64 s[54:55], s[10:11]
	s_cbranch_execnz .LBB33_48
.LBB33_37:                              ;   in Loop: Header=BB33_23 Depth=1
	s_or_b64 exec, exec, s[54:55]
	s_and_saveexec_b64 s[54:55], s[12:13]
	s_cbranch_execz .LBB33_39
.LBB33_38:                              ;   in Loop: Header=BB33_23 Depth=1
	v_lshl_add_u64 v[198:199], v[128:129], 2, s[52:53]
	v_mov_b32_e32 v149, v119
	v_lshl_add_u64 v[148:149], v[198:199], 0, v[148:149]
	global_load_dwordx4 v[198:201], v[148:149], off
	s_waitcnt vmcnt(0)
	ds_write_b128 v186, v[198:201]
.LBB33_39:                              ;   in Loop: Header=BB33_23 Depth=1
	s_or_b64 exec, exec, s[54:55]
	v_mul_f32_e32 v131, 0x3fb8aa3b, v141
	v_fma_f32 v148, v141, s64, -v131
	v_fmac_f32_e32 v148, 0x32a5705f, v141
	v_rndne_f32_e32 v141, v131
	v_sub_f32_e32 v131, v131, v141
	v_add_f32_e32 v131, v131, v148
	v_mul_f32_e32 v148, 0x3fb8aa3b, v140
	v_fma_f32 v149, v140, s64, -v148
	v_fmac_f32_e32 v149, 0x32a5705f, v140
	v_rndne_f32_e32 v140, v148
	v_exp_f32_e32 v131, v131
	v_cvt_i32_f32_e32 v141, v141
	v_sub_f32_e32 v148, v148, v140
	v_add_f32_e32 v148, v148, v149
	v_exp_f32_e32 v148, v148
	v_cvt_i32_f32_e32 v140, v140
	v_ldexp_f32 v131, v131, v141
	v_cndmask_b32_e64 v131, 0, v131, s[44:45]
	v_cndmask_b32_e64 v141, v188, v131, s[46:47]
	v_ldexp_f32 v131, v148, v140
	v_cndmask_b32_e64 v131, 0, v131, s[40:41]
	v_cndmask_b32_e64 v140, v188, v131, s[42:43]
	v_mul_f32_e32 v131, 0x3fb8aa3b, v143
	v_fma_f32 v148, v143, s64, -v131
	v_fmac_f32_e32 v148, 0x32a5705f, v143
	v_rndne_f32_e32 v143, v131
	v_sub_f32_e32 v131, v131, v143
	v_add_f32_e32 v131, v131, v148
	v_mul_f32_e32 v148, 0x3fb8aa3b, v142
	v_fma_f32 v149, v142, s64, -v148
	v_fmac_f32_e32 v149, 0x32a5705f, v142
	v_rndne_f32_e32 v142, v148
	v_exp_f32_e32 v131, v131
	v_cvt_i32_f32_e32 v143, v143
	v_sub_f32_e32 v148, v148, v142
	v_add_f32_e32 v148, v148, v149
	v_exp_f32_e32 v148, v148
	v_cvt_i32_f32_e32 v142, v142
	v_ldexp_f32 v131, v131, v143
	v_cndmask_b32_e64 v131, 0, v131, s[36:37]
	v_cndmask_b32_e64 v143, v188, v131, s[38:39]
	v_ldexp_f32 v131, v148, v142
	v_cndmask_b32_e64 v131, 0, v131, s[30:31]
	v_cndmask_b32_e64 v142, v188, v131, s[34:35]
	;; [unrolled: 22-line block ×3, first 2 shown]
	v_mul_f32_e32 v131, 0x3fb8aa3b, v147
	v_fma_f32 v148, v147, s64, -v131
	v_fmac_f32_e32 v148, 0x32a5705f, v147
	v_rndne_f32_e32 v147, v131
	v_sub_f32_e32 v131, v131, v147
	v_add_f32_e32 v131, v131, v148
	v_mul_f32_e32 v148, 0x3fb8aa3b, v146
	v_fma_f32 v149, v146, s64, -v148
	v_fmac_f32_e32 v149, 0x32a5705f, v146
	v_rndne_f32_e32 v146, v148
	v_exp_f32_e32 v131, v131
	v_cvt_i32_f32_e32 v147, v147
	v_sub_f32_e32 v148, v148, v146
	v_add_f32_e32 v148, v148, v149
	v_exp_f32_e32 v148, v148
	v_cvt_i32_f32_e32 v146, v146
	v_ldexp_f32 v131, v131, v147
	v_cndmask_b32_e64 v131, 0, v131, s[18:19]
	v_cndmask_b32_e64 v147, v188, v131, s[20:21]
	v_ldexp_f32 v131, v148, v146
	v_cvt_f16_f32_e32 v148, v140
	v_cndmask_b32_e64 v131, 0, v131, s[14:15]
	v_cndmask_b32_e64 v146, v188, v131, s[16:17]
	v_cvt_f16_f32_e32 v131, v141
	v_pk_mul_f16 v149, v148, v171 op_sel_hi:[0,1]
	v_cvt_f16_f32_e32 v171, v142
	v_pk_mul_f16 v148, v148, v172 op_sel_hi:[0,1]
	v_pk_mul_f16 v169, v131, v169 op_sel_hi:[0,1]
	;; [unrolled: 1-line block ×3, first 2 shown]
	v_cvt_f16_f32_e32 v168, v143
	v_pk_mul_f16 v167, v171, v167 op_sel_hi:[0,1]
	v_pk_mul_f16 v166, v171, v166 op_sel_hi:[0,1]
	v_cvt_f16_f32_e32 v171, v144
	v_pk_mul_f16 v164, v168, v164 op_sel_hi:[0,1]
	v_pk_mul_f16 v165, v168, v165 op_sel_hi:[0,1]
	;; [unrolled: 3-line block ×3, first 2 shown]
	v_cvt_f16_f32_e32 v171, v146
	v_cvt_f16_f32_e32 v172, v147
	v_pk_mul_f16 v160, v168, v160 op_sel_hi:[0,1]
	v_pk_mul_f16 v161, v168, v161 op_sel_hi:[0,1]
	;; [unrolled: 1-line block ×6, first 2 shown]
	v_pk_fma_f16 v149, v92, v100, v149 op_sel_hi:[1,0,1]
	v_pk_fma_f16 v168, v92, v100, v169 op_sel:[0,1,0]
	v_pk_fma_f16 v167, v92, v101, v167 op_sel_hi:[1,0,1]
	v_pk_fma_f16 v164, v92, v101, v164 op_sel:[0,1,0]
	;; [unrolled: 2-line block ×128, first 2 shown]
	s_waitcnt lgkmcnt(0)
	s_barrier
	ds_read2_b64 v[8:11], v196 offset1:28
	ds_read_b128 v[12:15], v182 offset:256
	ds_read_b128 v[16:19], v182 offset:272
	;; [unrolled: 1-line block ×4, first 2 shown]
	v_pk_fma_f32 v[112:113], v[112:113], v[140:141], v[134:135]
	v_pk_fma_f32 v[110:111], v[110:111], v[142:143], v[132:133]
	;; [unrolled: 1-line block ×3, first 2 shown]
	s_waitcnt lgkmcnt(3)
	v_pk_fma_f16 v28, v8, v12, v28 op_sel_hi:[1,0,1]
	v_pk_fma_f16 v29, v8, v12, v29 op_sel:[0,1,0]
	v_pk_fma_f16 v30, v8, v13, v30 op_sel_hi:[1,0,1]
	v_pk_fma_f16 v31, v8, v13, v31 op_sel:[0,1,0]
	;; [unrolled: 2-line block ×8, first 2 shown]
	s_waitcnt lgkmcnt(2)
	v_pk_fma_f16 v28, v10, v16, v28 op_sel_hi:[1,0,1]
	v_pk_fma_f16 v29, v10, v16, v29 op_sel:[0,1,0]
	v_pk_fma_f16 v30, v10, v17, v30 op_sel_hi:[1,0,1]
	v_pk_fma_f16 v31, v10, v17, v31 op_sel:[0,1,0]
	;; [unrolled: 2-line block ×6, first 2 shown]
	ds_read2_b64 v[12:15], v196 offset0:56 offset1:84
	v_pk_fma_f16 v36, v11, v18, v37 op_sel_hi:[1,0,1]
	v_pk_fma_f16 v18, v11, v18, v38 op_sel:[0,1,0]
	v_pk_fma_f16 v37, v11, v19, v39 op_sel_hi:[1,0,1]
	v_pk_fma_f16 v9, v11, v19, v9 op_sel:[0,1,0]
	s_waitcnt lgkmcnt(0)
	v_pk_fma_f16 v11, v12, v20, v28 op_sel_hi:[1,0,1]
	v_pk_fma_f16 v19, v12, v20, v29 op_sel:[0,1,0]
	v_pk_fma_f16 v28, v12, v21, v30 op_sel_hi:[1,0,1]
	v_pk_fma_f16 v29, v12, v21, v31 op_sel:[0,1,0]
	;; [unrolled: 2-line block ×10, first 2 shown]
	v_pk_fma_f16 v34, v14, v27, v8 op_sel:[0,1,0]
	v_pk_fma_f16 v35, v15, v24, v10 op_sel_hi:[1,0,1]
	v_pk_fma_f16 v36, v15, v25, v16 op_sel_hi:[1,0,1]
	v_pk_fma_f16 v25, v15, v25, v17 op_sel:[0,1,0]
	ds_read2_b64 v[8:11], v196 offset0:112 offset1:140
	ds_read_b128 v[16:19], v182 offset:320
	v_pk_fma_f16 v30, v14, v26, v30 op_sel_hi:[1,0,1]
	v_pk_fma_f16 v31, v14, v26, v31 op_sel:[0,1,0]
	v_pk_fma_f16 v32, v14, v27, v32 op_sel_hi:[1,0,1]
	v_pk_fma_f16 v24, v15, v24, v12 op_sel:[0,1,0]
	;; [unrolled: 2-line block ×4, first 2 shown]
	ds_read_b128 v[12:15], v182 offset:336
	s_waitcnt lgkmcnt(1)
	v_pk_fma_f16 v23, v8, v16, v23 op_sel_hi:[1,0,1]
	v_pk_fma_f16 v27, v8, v16, v33 op_sel:[0,1,0]
	v_pk_fma_f16 v28, v8, v17, v28 op_sel_hi:[1,0,1]
	v_pk_fma_f16 v29, v8, v17, v29 op_sel:[0,1,0]
	;; [unrolled: 2-line block ×4, first 2 shown]
	v_pk_fma_f16 v20, v9, v18, v20 op_sel_hi:[1,0,1]
	v_pk_fma_f16 v30, v8, v18, v30 op_sel_hi:[1,0,1]
	v_pk_fma_f16 v31, v8, v18, v31 op_sel:[0,1,0]
	v_pk_fma_f16 v32, v8, v19, v32 op_sel_hi:[1,0,1]
	v_pk_fma_f16 v8, v8, v19, v34 op_sel:[0,1,0]
	v_pk_fma_f16 v25, v9, v18, v21 op_sel:[0,1,0]
	v_pk_fma_f16 v34, v9, v19, v22 op_sel_hi:[1,0,1]
	v_pk_fma_f16 v9, v9, v19, v26 op_sel:[0,1,0]
	s_waitcnt lgkmcnt(0)
	v_pk_fma_f16 v26, v10, v12, v23 op_sel_hi:[1,0,1]
	v_pk_fma_f16 v27, v10, v12, v27 op_sel:[0,1,0]
	v_pk_fma_f16 v28, v10, v13, v28 op_sel_hi:[1,0,1]
	v_pk_fma_f16 v29, v10, v13, v29 op_sel:[0,1,0]
	;; [unrolled: 2-line block ×4, first 2 shown]
	v_pk_fma_f16 v36, v11, v14, v20 op_sel_hi:[1,0,1]
	ds_read2_b64 v[16:19], v196 offset0:168 offset1:196
	ds_read_b128 v[20:23], v182 offset:352
	v_pk_fma_f16 v30, v10, v14, v30 op_sel_hi:[1,0,1]
	v_pk_fma_f16 v31, v10, v14, v31 op_sel:[0,1,0]
	v_pk_fma_f16 v32, v10, v15, v32 op_sel_hi:[1,0,1]
	v_pk_fma_f16 v35, v10, v15, v8 op_sel:[0,1,0]
	v_pk_fma_f16 v14, v11, v14, v25 op_sel:[0,1,0]
	v_pk_fma_f16 v25, v11, v15, v34 op_sel_hi:[1,0,1]
	v_pk_fma_f16 v15, v11, v15, v9 op_sel:[0,1,0]
	ds_read_b128 v[8:11], v182 offset:368
	s_waitcnt lgkmcnt(1)
	v_pk_fma_f16 v26, v16, v20, v26 op_sel_hi:[1,0,1]
	v_pk_fma_f16 v27, v16, v20, v27 op_sel:[0,1,0]
	v_pk_fma_f16 v28, v16, v21, v28 op_sel_hi:[1,0,1]
	v_pk_fma_f16 v29, v16, v21, v29 op_sel:[0,1,0]
	;; [unrolled: 2-line block ×8, first 2 shown]
	s_waitcnt lgkmcnt(0)
	v_pk_fma_f16 v26, v18, v8, v26 op_sel_hi:[1,0,1]
	v_pk_fma_f16 v27, v18, v8, v27 op_sel:[0,1,0]
	v_pk_fma_f16 v28, v18, v9, v28 op_sel_hi:[1,0,1]
	v_pk_fma_f16 v29, v18, v9, v29 op_sel:[0,1,0]
	;; [unrolled: 2-line block ×6, first 2 shown]
	v_pk_fma_f16 v36, v19, v10, v21 op_sel_hi:[1,0,1]
	ds_read2_b64 v[12:15], v196 offset0:224 offset1:252
	ds_read_b128 v[20:23], v182 offset:384
	v_pk_fma_f16 v24, v19, v10, v24 op_sel:[0,1,0]
	v_pk_fma_f16 v25, v19, v11, v25 op_sel_hi:[1,0,1]
	v_pk_fma_f16 v17, v19, v11, v17 op_sel:[0,1,0]
	ds_read_b128 v[8:11], v182 offset:400
	s_waitcnt lgkmcnt(1)
	v_pk_fma_f16 v19, v12, v20, v26 op_sel_hi:[1,0,1]
	v_pk_fma_f16 v26, v12, v20, v27 op_sel:[0,1,0]
	v_pk_fma_f16 v27, v12, v21, v28 op_sel_hi:[1,0,1]
	v_pk_fma_f16 v28, v12, v21, v29 op_sel:[0,1,0]
	;; [unrolled: 2-line block ×8, first 2 shown]
	s_waitcnt lgkmcnt(0)
	v_pk_fma_f16 v33, v14, v8, v19 op_sel_hi:[1,0,1]
	v_pk_fma_f16 v26, v14, v8, v26 op_sel:[0,1,0]
	v_pk_fma_f16 v27, v14, v9, v27 op_sel_hi:[1,0,1]
	v_pk_fma_f16 v28, v14, v9, v28 op_sel:[0,1,0]
	;; [unrolled: 2-line block ×6, first 2 shown]
	ds_read2_b64 v[16:19], v195 offset0:24 offset1:52
	ds_read_b128 v[20:23], v182 offset:416
	v_pk_fma_f16 v32, v15, v10, v32 op_sel_hi:[1,0,1]
	v_pk_fma_f16 v24, v15, v10, v24 op_sel:[0,1,0]
	v_pk_fma_f16 v25, v15, v11, v25 op_sel_hi:[1,0,1]
	v_pk_fma_f16 v13, v15, v11, v13 op_sel:[0,1,0]
	ds_read_b128 v[8:11], v182 offset:432
	s_waitcnt lgkmcnt(1)
	v_pk_fma_f16 v15, v16, v20, v33 op_sel_hi:[1,0,1]
	v_pk_fma_f16 v26, v16, v20, v26 op_sel:[0,1,0]
	v_pk_fma_f16 v27, v16, v21, v27 op_sel_hi:[1,0,1]
	v_pk_fma_f16 v28, v16, v21, v28 op_sel:[0,1,0]
	;; [unrolled: 2-line block ×8, first 2 shown]
	s_waitcnt lgkmcnt(0)
	v_pk_fma_f16 v33, v18, v8, v15 op_sel_hi:[1,0,1]
	v_pk_fma_f16 v26, v18, v8, v26 op_sel:[0,1,0]
	v_pk_fma_f16 v27, v18, v9, v27 op_sel_hi:[1,0,1]
	v_pk_fma_f16 v28, v18, v9, v28 op_sel:[0,1,0]
	;; [unrolled: 2-line block ×4, first 2 shown]
	v_pk_fma_f16 v34, v19, v8, v14 op_sel_hi:[1,0,1]
	v_pk_fma_f16 v35, v19, v9, v20 op_sel_hi:[1,0,1]
	v_pk_fma_f16 v36, v19, v9, v21 op_sel:[0,1,0]
	ds_read2_b64 v[12:15], v195 offset0:80 offset1:108
	ds_read_b128 v[20:23], v182 offset:448
	v_pk_fma_f16 v16, v19, v8, v16 op_sel:[0,1,0]
	v_pk_fma_f16 v32, v19, v10, v32 op_sel_hi:[1,0,1]
	v_pk_fma_f16 v24, v19, v10, v24 op_sel:[0,1,0]
	v_pk_fma_f16 v25, v19, v11, v25 op_sel_hi:[1,0,1]
	v_pk_fma_f16 v17, v19, v11, v17 op_sel:[0,1,0]
	ds_read_b128 v[8:11], v182 offset:464
	s_waitcnt lgkmcnt(1)
	v_pk_fma_f16 v19, v12, v20, v33 op_sel_hi:[1,0,1]
	v_pk_fma_f16 v26, v12, v20, v26 op_sel:[0,1,0]
	v_pk_fma_f16 v27, v12, v21, v27 op_sel_hi:[1,0,1]
	v_pk_fma_f16 v28, v12, v21, v28 op_sel:[0,1,0]
	;; [unrolled: 2-line block ×8, first 2 shown]
	s_waitcnt lgkmcnt(0)
	v_pk_fma_f16 v33, v14, v8, v19 op_sel_hi:[1,0,1]
	v_pk_fma_f16 v26, v14, v8, v26 op_sel:[0,1,0]
	v_pk_fma_f16 v27, v14, v9, v27 op_sel_hi:[1,0,1]
	v_pk_fma_f16 v28, v14, v9, v28 op_sel:[0,1,0]
	;; [unrolled: 2-line block ×6, first 2 shown]
	v_pk_fma_f16 v32, v15, v10, v32 op_sel_hi:[1,0,1]
	ds_read2_b64 v[16:19], v195 offset0:136 offset1:164
	ds_read_b128 v[20:23], v182 offset:480
	v_pk_fma_f16 v24, v15, v10, v24 op_sel:[0,1,0]
	v_pk_fma_f16 v25, v15, v11, v25 op_sel_hi:[1,0,1]
	v_pk_fma_f16 v13, v15, v11, v13 op_sel:[0,1,0]
	ds_read_b128 v[8:11], v182 offset:496
	s_waitcnt lgkmcnt(0)
	s_barrier
	s_load_dword s14, s[50:51], 0x4
	v_pk_fma_f16 v15, v16, v20, v33 op_sel_hi:[1,0,1]
	v_pk_fma_f16 v26, v16, v20, v26 op_sel:[0,1,0]
	v_pk_fma_f16 v27, v16, v21, v27 op_sel_hi:[1,0,1]
	v_pk_fma_f16 v28, v16, v21, v28 op_sel:[0,1,0]
	s_waitcnt lgkmcnt(0)
	s_lshl_b32 s14, s14, 5
	v_pk_fma_f16 v29, v16, v22, v29 op_sel_hi:[1,0,1]
	v_pk_fma_f16 v30, v16, v22, v30 op_sel:[0,1,0]
	v_pk_fma_f16 v31, v16, v23, v31 op_sel_hi:[1,0,1]
	v_pk_fma_f16 v12, v16, v23, v12 op_sel:[0,1,0]
	;; [unrolled: 2-line block ×6, first 2 shown]
	s_add_i32 s58, s14, s58
	v_pk_fma_f32 v[106:107], v[106:107], v[146:147], v[136:137]
	v_pk_fma_f16 v171, v18, v8, v15 op_sel_hi:[1,0,1]
	v_pk_fma_f16 v169, v18, v8, v26 op_sel:[0,1,0]
	v_pk_fma_f16 v167, v18, v9, v27 op_sel_hi:[1,0,1]
	v_pk_fma_f16 v164, v18, v9, v28 op_sel:[0,1,0]
	;; [unrolled: 2-line block ×7, first 2 shown]
	v_pk_fma_f16 v159, v19, v11, v24 op_sel_hi:[1,0,1]
	s_cmp_ge_i32 s58, s70
	v_pk_fma_f16 v157, v19, v11, v13 op_sel:[0,1,0]
	s_cbranch_scc1 .LBB33_49
; %bb.40:                               ;   in Loop: Header=BB33_23 Depth=1
	v_mov_b32_e32 v8, v0
	v_mov_b32_e32 v9, v1
	;; [unrolled: 1-line block ×8, first 2 shown]
	s_branch .LBB33_23
.LBB33_41:                              ;   in Loop: Header=BB33_23 Depth=1
	global_load_dwordx4 v[0:3], v[20:21], off offset:96
	s_waitcnt vmcnt(0)
	ds_write_b128 v175, v[0:3]
	s_or_b64 exec, exec, s[16:17]
	v_lshl_add_u64 v[16:17], v[116:117], 2, s[14:15]
	s_and_saveexec_b64 s[16:17], s[4:5]
	s_cbranch_execz .LBB33_25
.LBB33_42:                              ;   in Loop: Header=BB33_23 Depth=1
	v_lshl_add_u64 v[0:1], v[16:17], 0, v[118:119]
	global_load_dwordx4 v[0:3], v[0:1], off offset:64
	s_waitcnt vmcnt(0)
	ds_write_b128 v176, v[0:3]
	s_or_b64 exec, exec, s[16:17]
	v_lshl_add_u64 v[18:19], v[120:121], 2, s[14:15]
	s_and_saveexec_b64 s[14:15], s[6:7]
	s_cbranch_execnz .LBB33_26
	s_branch .LBB33_27
.LBB33_43:                              ;   in Loop: Header=BB33_23 Depth=1
	global_load_dwordx4 v[20:23], v[20:21], off offset:208
	s_waitcnt vmcnt(0)
	ds_write_b128 v175, v[20:23]
	s_or_b64 exec, exec, s[14:15]
	s_and_saveexec_b64 s[14:15], s[4:5]
	s_cbranch_execz .LBB33_29
.LBB33_44:                              ;   in Loop: Header=BB33_23 Depth=1
	v_lshl_add_u64 v[16:17], v[16:17], 0, v[118:119]
	global_load_dwordx4 v[20:23], v[16:17], off offset:176
	s_waitcnt vmcnt(0)
	ds_write_b128 v176, v[20:23]
	s_or_b64 exec, exec, s[14:15]
	s_and_saveexec_b64 s[14:15], s[6:7]
	s_cbranch_execnz .LBB33_30
	s_branch .LBB33_31
.LBB33_45:                              ;   in Loop: Header=BB33_23 Depth=1
	v_lshl_add_u64 v[16:17], v[122:123], 2, s[14:15]
	v_lshl_add_u64 v[16:17], v[16:17], 0, v[118:119]
	global_load_dwordx4 v[16:19], v[16:17], off offset:192
	s_waitcnt vmcnt(0)
	ds_write_b128 v184, v[16:19]
	s_or_b64 exec, exec, s[16:17]
	s_and_saveexec_b64 s[16:17], s[10:11]
	s_cbranch_execz .LBB33_33
.LBB33_46:                              ;   in Loop: Header=BB33_23 Depth=1
	v_lshl_add_u64 v[16:17], v[124:125], 2, s[14:15]
	v_mov_b32_e32 v131, v119
	v_lshl_add_u64 v[16:17], v[16:17], 0, v[130:131]
	global_load_dwordx4 v[16:19], v[16:17], off offset:128
	s_waitcnt vmcnt(0)
	ds_write_b128 v185, v[16:19]
	s_or_b64 exec, exec, s[16:17]
	v_lshlrev_b32_e32 v148, 2, v126
	s_and_saveexec_b64 s[16:17], s[12:13]
	s_cbranch_execnz .LBB33_34
	s_branch .LBB33_35
.LBB33_47:                              ;   in Loop: Header=BB33_23 Depth=1
	v_lshl_add_u64 v[198:199], v[122:123], 2, s[52:53]
	v_lshl_add_u64 v[198:199], v[198:199], 0, v[118:119]
	global_load_dwordx4 v[198:201], v[198:199], off offset:192
	s_waitcnt vmcnt(0)
	ds_write_b128 v184, v[198:201]
	s_or_b64 exec, exec, s[54:55]
	s_and_saveexec_b64 s[54:55], s[10:11]
	s_cbranch_execz .LBB33_37
.LBB33_48:                              ;   in Loop: Header=BB33_23 Depth=1
	v_lshl_add_u64 v[198:199], v[124:125], 2, s[52:53]
	v_mov_b32_e32 v131, v119
	v_lshl_add_u64 v[198:199], v[198:199], 0, v[130:131]
	global_load_dwordx4 v[198:201], v[198:199], off offset:128
	s_waitcnt vmcnt(0)
	ds_write_b128 v185, v[198:201]
	s_or_b64 exec, exec, s[54:55]
	s_and_saveexec_b64 s[54:55], s[12:13]
	s_cbranch_execnz .LBB33_38
	s_branch .LBB33_39
.LBB33_49:
	v_cmp_lt_i32_e32 vcc, v193, v189
	s_cmp_lg_u64 s[56:57], 0
	s_cselect_b64 s[4:5], -1, 0
	v_cndmask_b32_e32 v8, v170, v193, vcc
	v_lshlrev_b32_e32 v17, 2, v8
	ds_bpermute_b32 v12, v17, v110
	ds_bpermute_b32 v13, v17, v111
	v_cmp_lt_i32_e32 vcc, v194, v189
	ds_bpermute_b32 v8, v17, v112
	ds_bpermute_b32 v9, v17, v113
	v_cndmask_b32_e32 v10, v170, v194, vcc
	v_cmp_lt_i32_e32 vcc, v192, v189
	v_lshlrev_b32_e32 v23, 2, v10
	s_waitcnt lgkmcnt(2)
	v_pk_add_f32 v[12:13], v[110:111], v[12:13]
	v_cndmask_b32_e32 v10, v170, v192, vcc
	v_cmp_lt_i32_e32 vcc, v191, v189
	ds_bpermute_b32 v15, v23, v13
	v_lshlrev_b32_e32 v24, 2, v10
	v_cndmask_b32_e32 v14, v170, v191, vcc
	v_lshlrev_b32_e32 v25, 2, v14
	ds_bpermute_b32 v14, v23, v12
	ds_bpermute_b32 v18, v17, v106
	;; [unrolled: 1-line block ×3, first 2 shown]
	s_waitcnt lgkmcnt(4)
	v_pk_add_f32 v[8:9], v[112:113], v[8:9]
	v_cmp_lt_i32_e32 vcc, v190, v189
	s_waitcnt lgkmcnt(2)
	v_pk_add_f32 v[12:13], v[12:13], v[14:15]
	ds_bpermute_b32 v14, v24, v12
	ds_bpermute_b32 v15, v24, v13
	s_waitcnt lgkmcnt(2)
	v_pk_add_f32 v[18:19], v[106:107], v[18:19]
	ds_bpermute_b32 v10, v23, v8
	ds_bpermute_b32 v11, v23, v9
	v_cndmask_b32_e32 v16, v170, v190, vcc
	s_waitcnt lgkmcnt(2)
	v_pk_add_f32 v[12:13], v[12:13], v[14:15]
	ds_bpermute_b32 v14, v17, v108
	ds_bpermute_b32 v15, v17, v109
	;; [unrolled: 1-line block ×3, first 2 shown]
	v_lshlrev_b32_e32 v29, 2, v16
	ds_bpermute_b32 v16, v25, v12
	ds_bpermute_b32 v17, v25, v13
	s_waitcnt lgkmcnt(3)
	v_pk_add_f32 v[14:15], v[108:109], v[14:15]
	ds_bpermute_b32 v20, v23, v14
	ds_bpermute_b32 v21, v23, v15
	;; [unrolled: 1-line block ×3, first 2 shown]
	v_pk_add_f32 v[8:9], v[8:9], v[10:11]
	ds_bpermute_b32 v10, v24, v8
	ds_bpermute_b32 v11, v24, v9
	s_waitcnt lgkmcnt(3)
	v_pk_add_f32 v[14:15], v[14:15], v[20:21]
	s_waitcnt lgkmcnt(2)
	v_pk_add_f32 v[18:19], v[18:19], v[22:23]
	v_pk_add_f32 v[12:13], v[12:13], v[16:17]
	ds_bpermute_b32 v16, v24, v14
	ds_bpermute_b32 v17, v24, v15
	;; [unrolled: 1-line block ×4, first 2 shown]
	s_waitcnt lgkmcnt(4)
	v_pk_add_f32 v[8:9], v[8:9], v[10:11]
	ds_bpermute_b32 v10, v25, v8
	s_waitcnt lgkmcnt(3)
	v_pk_add_f32 v[14:15], v[14:15], v[16:17]
	ds_bpermute_b32 v11, v25, v9
	;; [unrolled: 3-line block ×3, first 2 shown]
	ds_bpermute_b32 v17, v25, v15
	ds_bpermute_b32 v20, v25, v18
	;; [unrolled: 1-line block ×3, first 2 shown]
	s_waitcnt lgkmcnt(4)
	v_pk_add_f32 v[8:9], v[8:9], v[10:11]
	ds_bpermute_b32 v10, v29, v8
	s_waitcnt lgkmcnt(3)
	v_pk_add_f32 v[14:15], v[14:15], v[16:17]
	ds_bpermute_b32 v11, v29, v9
	;; [unrolled: 3-line block ×3, first 2 shown]
	ds_bpermute_b32 v25, v29, v13
	ds_bpermute_b32 v16, v29, v14
	;; [unrolled: 1-line block ×5, first 2 shown]
	s_cmp_eq_u32 s3, 0
	s_cselect_b64 s[6:7], -1, 0
	s_and_b64 s[4:5], s[6:7], s[4:5]
	s_waitcnt lgkmcnt(6)
	v_pk_add_f32 v[22:23], v[8:9], v[10:11]
	s_waitcnt lgkmcnt(4)
	v_pk_add_f32 v[20:21], v[12:13], v[24:25]
	;; [unrolled: 2-line block ×4, first 2 shown]
	s_and_b64 vcc, exec, s[4:5]
	s_cbranch_vccz .LBB33_51
; %bb.50:
	s_ashr_i32 s69, s68, 31
	s_lshl_b64 s[4:5], s[68:69], 2
	s_add_u32 s4, s56, s4
	s_addc_u32 s5, s57, s5
	v_mov_b32_e32 v8, 0
	global_load_dwordx2 v[24:25], v8, s[4:5]
	v_max_f32_e32 v8, v1, v1
	v_max_f32_e32 v10, v0, v0
	s_mov_b32 s5, 0x3fb8aa3b
	v_max_f32_e32 v12, v2, v2
	v_max_f32_e32 v11, v3, v3
	s_mov_b32 s4, 0xc2ce8ed0
	s_mov_b32 s2, 0x42b17218
	v_mov_b32_e32 v26, 0x7f800000
	s_waitcnt vmcnt(0)
	v_max_f32_e32 v14, v25, v25
	v_max_f32_e32 v27, v24, v24
	;; [unrolled: 1-line block ×4, first 2 shown]
	v_pk_add_f32 v[0:1], v[0:1], v[8:9] neg_lo:[0,1] neg_hi:[0,1]
	v_max_f32_e32 v10, v12, v27
	v_mul_f32_e32 v15, 0x3fb8aa3b, v1
	v_pk_add_f32 v[12:13], v[24:25], v[8:9] neg_lo:[0,1] neg_hi:[0,1]
	v_mul_f32_e32 v28, 0x3fb8aa3b, v0
	v_fma_f32 v33, v1, s5, -v15
	v_rndne_f32_e32 v34, v15
	v_max_f32_e32 v11, v11, v14
	v_mul_f32_e32 v29, 0x3fb8aa3b, v13
	v_fma_f32 v35, v0, s5, -v28
	v_rndne_f32_e32 v36, v28
	v_fmac_f32_e32 v33, 0x32a5705f, v1
	v_sub_f32_e32 v15, v15, v34
	v_pk_add_f32 v[2:3], v[2:3], v[10:11] neg_lo:[0,1] neg_hi:[0,1]
	v_mul_f32_e32 v30, 0x3fb8aa3b, v12
	v_fma_f32 v37, v13, s5, -v29
	v_rndne_f32_e32 v38, v29
	v_fmac_f32_e32 v35, 0x32a5705f, v0
	v_sub_f32_e32 v28, v28, v36
	v_add_f32_e32 v15, v15, v33
	v_mul_f32_e32 v31, 0x3fb8aa3b, v3
	v_fma_f32 v39, v12, s5, -v30
	v_rndne_f32_e32 v40, v30
	v_cvt_i32_f32_e32 v34, v34
	v_fmac_f32_e32 v37, 0x32a5705f, v13
	v_sub_f32_e32 v29, v29, v38
	v_add_f32_e32 v28, v28, v35
	v_exp_f32_e32 v15, v15
	v_fma_f32 v41, v3, s5, -v31
	v_rndne_f32_e32 v42, v31
	v_cvt_i32_f32_e32 v36, v36
	v_fmac_f32_e32 v39, 0x32a5705f, v12
	v_sub_f32_e32 v30, v30, v40
	v_add_f32_e32 v29, v29, v37
	v_exp_f32_e32 v28, v28
	v_cvt_i32_f32_e32 v38, v38
	v_fmac_f32_e32 v41, 0x32a5705f, v3
	v_sub_f32_e32 v31, v31, v42
	v_add_f32_e32 v30, v30, v39
	v_exp_f32_e32 v29, v29
	v_cvt_i32_f32_e32 v40, v40
	v_add_f32_e32 v31, v31, v41
	v_exp_f32_e32 v30, v30
	v_cvt_i32_f32_e32 v42, v42
	v_exp_f32_e32 v31, v31
	v_ldexp_f32 v15, v15, v34
	v_cmp_ngt_f32_e32 vcc, s4, v1
	v_ldexp_f32 v28, v28, v36
	v_ldexp_f32 v29, v29, v38
	v_cndmask_b32_e32 v15, 0, v15, vcc
	v_cmp_ngt_f32_e32 vcc, s4, v0
	v_ldexp_f32 v30, v30, v40
	v_mul_f32_e32 v32, 0x3fb8aa3b, v2
	v_cndmask_b32_e32 v28, 0, v28, vcc
	v_cmp_ngt_f32_e32 vcc, s4, v13
	v_ldexp_f32 v31, v31, v42
	v_fma_f32 v43, v2, s5, -v32
	v_cndmask_b32_e32 v29, 0, v29, vcc
	v_cmp_ngt_f32_e32 vcc, s4, v12
	v_rndne_f32_e32 v44, v32
	v_fmac_f32_e32 v43, 0x32a5705f, v2
	v_cndmask_b32_e32 v30, 0, v30, vcc
	v_cmp_ngt_f32_e32 vcc, s4, v3
	v_sub_f32_e32 v32, v32, v44
	v_add_f32_e32 v32, v32, v43
	v_cndmask_b32_e32 v31, 0, v31, vcc
	v_cmp_nlt_f32_e32 vcc, s2, v1
	v_cvt_i32_f32_e32 v44, v44
	v_exp_f32_e32 v32, v32
	v_cndmask_b32_e32 v1, v26, v15, vcc
	v_cmp_nlt_f32_e32 vcc, s2, v0
	v_ldexp_f32 v32, v32, v44
	s_nop 0
	v_cndmask_b32_e32 v0, v26, v28, vcc
	v_cmp_nlt_f32_e32 vcc, s2, v13
	v_cvt_f16_f32_e32 v15, v0
	v_cvt_f16_f32_e32 v28, v1
	v_cndmask_b32_e32 v13, v26, v29, vcc
	v_cmp_nlt_f32_e32 vcc, s2, v12
	v_pk_mul_f16 v171, v15, v171 op_sel_hi:[0,1]
	v_pk_mul_f16 v172, v15, v172 op_sel_hi:[0,1]
	v_cndmask_b32_e32 v12, v26, v30, vcc
	v_pk_fma_f32 v[22:23], v[22:23], v[0:1], v[12:13]
	v_pk_add_f32 v[12:13], v[24:25], v[10:11] neg_lo:[0,1] neg_hi:[0,1]
	v_pk_mul_f16 v169, v28, v169 op_sel_hi:[0,1]
	v_mul_f32_e32 v1, 0x3fb8aa3b, v13
	v_pk_mul_f16 v168, v28, v168 op_sel_hi:[0,1]
	v_cmp_ngt_f32_e32 vcc, s4, v2
	v_fma_f32 v15, v13, s5, -v1
	v_rndne_f32_e32 v28, v1
	v_cndmask_b32_e32 v0, 0, v32, vcc
	v_cmp_nlt_f32_e32 vcc, s2, v2
	v_fmac_f32_e32 v15, 0x32a5705f, v13
	v_sub_f32_e32 v1, v1, v28
	v_cndmask_b32_e32 v0, v26, v0, vcc
	v_add_f32_e32 v1, v1, v15
	v_cvt_f16_f32_e32 v2, v0
	v_exp_f32_e32 v15, v1
	v_cvt_i32_f32_e32 v28, v28
	v_cmp_nlt_f32_e32 vcc, s2, v3
	v_mul_f32_e32 v3, 0x3fb8aa3b, v12
	v_pk_mul_f16 v167, v2, v167 op_sel_hi:[0,1]
	v_pk_mul_f16 v166, v2, v166 op_sel_hi:[0,1]
	v_ldexp_f32 v2, v15, v28
	v_fma_f32 v15, v12, s5, -v3
	v_rndne_f32_e32 v28, v3
	v_fmac_f32_e32 v15, 0x32a5705f, v12
	v_sub_f32_e32 v3, v3, v28
	v_add_f32_e32 v3, v3, v15
	v_exp_f32_e32 v15, v3
	v_cvt_i32_f32_e32 v28, v28
	v_cndmask_b32_e32 v1, v26, v31, vcc
	v_cmp_ngt_f32_e32 vcc, s4, v13
	s_nop 1
	v_cndmask_b32_e32 v2, 0, v2, vcc
	v_cmp_nlt_f32_e32 vcc, s2, v13
	v_cvt_f16_f32_e32 v13, v1
	v_pk_mul_f16 v164, v13, v164 op_sel_hi:[0,1]
	v_cndmask_b32_e32 v3, v26, v2, vcc
	v_ldexp_f32 v2, v15, v28
	v_cmp_ngt_f32_e32 vcc, s4, v12
	v_pk_mul_f16 v165, v13, v165 op_sel_hi:[0,1]
	s_nop 0
	v_cndmask_b32_e32 v2, 0, v2, vcc
	v_cmp_nlt_f32_e32 vcc, s2, v12
	s_nop 1
	v_cndmask_b32_e32 v2, v26, v2, vcc
	v_pk_fma_f32 v[20:21], v[20:21], v[0:1], v[2:3]
	v_max_f32_e32 v0, v5, v5
	v_max_f32_e32 v13, v0, v14
	;; [unrolled: 1-line block ×4, first 2 shown]
	v_pk_add_f32 v[0:1], v[4:5], v[12:13] neg_lo:[0,1] neg_hi:[0,1]
	s_nop 0
	v_mul_f32_e32 v2, 0x3fb8aa3b, v1
	v_fma_f32 v3, v1, s5, -v2
	v_rndne_f32_e32 v4, v2
	v_fmac_f32_e32 v3, 0x32a5705f, v1
	v_sub_f32_e32 v2, v2, v4
	v_add_f32_e32 v2, v2, v3
	v_cvt_i32_f32_e32 v3, v4
	v_mul_f32_e32 v4, 0x3fb8aa3b, v0
	v_fma_f32 v5, v0, s5, -v4
	v_rndne_f32_e32 v15, v4
	v_fmac_f32_e32 v5, 0x32a5705f, v0
	v_sub_f32_e32 v4, v4, v15
	v_exp_f32_e32 v2, v2
	v_add_f32_e32 v4, v4, v5
	v_exp_f32_e32 v4, v4
	v_cvt_i32_f32_e32 v5, v15
	v_ldexp_f32 v2, v2, v3
	v_cmp_ngt_f32_e32 vcc, s4, v1
	s_nop 1
	v_cndmask_b32_e32 v15, 0, v2, vcc
	v_ldexp_f32 v2, v4, v5
	v_cmp_ngt_f32_e32 vcc, s4, v0
	s_nop 1
	v_cndmask_b32_e32 v2, 0, v2, vcc
	v_cmp_nlt_f32_e32 vcc, s2, v0
	s_nop 1
	v_cndmask_b32_e32 v0, v26, v2, vcc
	v_pk_add_f32 v[2:3], v[24:25], v[12:13] neg_lo:[0,1] neg_hi:[0,1]
	v_cvt_f16_f32_e32 v4, v0
	v_mul_f32_e32 v5, 0x3fb8aa3b, v3
	v_fma_f32 v28, v3, s5, -v5
	v_rndne_f32_e32 v29, v5
	v_fmac_f32_e32 v28, 0x32a5705f, v3
	v_sub_f32_e32 v5, v5, v29
	v_add_f32_e32 v5, v5, v28
	v_exp_f32_e32 v5, v5
	v_cvt_i32_f32_e32 v28, v29
	v_cmp_nlt_f32_e32 vcc, s2, v1
	v_pk_mul_f16 v162, v4, v162 op_sel_hi:[0,1]
	v_pk_mul_f16 v163, v4, v163 op_sel_hi:[0,1]
	v_ldexp_f32 v4, v5, v28
	v_mul_f32_e32 v5, 0x3fb8aa3b, v2
	v_cndmask_b32_e32 v1, v26, v15, vcc
	v_fma_f32 v15, v2, s5, -v5
	v_rndne_f32_e32 v28, v5
	v_fmac_f32_e32 v15, 0x32a5705f, v2
	v_sub_f32_e32 v5, v5, v28
	v_add_f32_e32 v5, v5, v15
	v_exp_f32_e32 v5, v5
	v_cvt_i32_f32_e32 v15, v28
	v_cmp_ngt_f32_e32 vcc, s4, v3
	s_nop 1
	v_cndmask_b32_e32 v4, 0, v4, vcc
	v_cmp_nlt_f32_e32 vcc, s2, v3
	s_nop 1
	v_cndmask_b32_e32 v3, v26, v4, vcc
	v_ldexp_f32 v4, v5, v15
	v_cmp_ngt_f32_e32 vcc, s4, v2
	v_cvt_f16_f32_e32 v5, v1
	v_pk_mul_f16 v160, v5, v160 op_sel_hi:[0,1]
	v_cndmask_b32_e32 v4, 0, v4, vcc
	v_cmp_nlt_f32_e32 vcc, s2, v2
	v_pk_mul_f16 v161, v5, v161 op_sel_hi:[0,1]
	s_nop 0
	v_cndmask_b32_e32 v2, v26, v4, vcc
	v_pk_fma_f32 v[18:19], v[18:19], v[0:1], v[2:3]
	v_max_f32_e32 v0, v7, v7
	v_max_f32_e32 v15, v0, v14
	;; [unrolled: 1-line block ×4, first 2 shown]
	v_pk_add_f32 v[0:1], v[6:7], v[14:15] neg_lo:[0,1] neg_hi:[0,1]
	s_nop 0
	v_mul_f32_e32 v2, 0x3fb8aa3b, v1
	v_fma_f32 v3, v1, s5, -v2
	v_rndne_f32_e32 v4, v2
	v_fmac_f32_e32 v3, 0x32a5705f, v1
	v_sub_f32_e32 v2, v2, v4
	v_add_f32_e32 v2, v2, v3
	v_cvt_i32_f32_e32 v3, v4
	v_mul_f32_e32 v4, 0x3fb8aa3b, v0
	v_fma_f32 v5, v0, s5, -v4
	v_rndne_f32_e32 v6, v4
	v_fmac_f32_e32 v5, 0x32a5705f, v0
	v_sub_f32_e32 v4, v4, v6
	v_exp_f32_e32 v2, v2
	v_add_f32_e32 v4, v4, v5
	v_exp_f32_e32 v4, v4
	v_cvt_i32_f32_e32 v5, v6
	v_ldexp_f32 v2, v2, v3
	v_cmp_ngt_f32_e32 vcc, s4, v1
	s_nop 1
	v_cndmask_b32_e32 v6, 0, v2, vcc
	v_ldexp_f32 v2, v4, v5
	v_cmp_ngt_f32_e32 vcc, s4, v0
	s_nop 1
	v_cndmask_b32_e32 v2, 0, v2, vcc
	v_cmp_nlt_f32_e32 vcc, s2, v0
	s_nop 1
	v_cndmask_b32_e32 v0, v26, v2, vcc
	v_pk_add_f32 v[2:3], v[24:25], v[14:15] neg_lo:[0,1] neg_hi:[0,1]
	v_cvt_f16_f32_e32 v4, v0
	v_mul_f32_e32 v5, 0x3fb8aa3b, v3
	v_fma_f32 v7, v3, s5, -v5
	v_rndne_f32_e32 v24, v5
	v_fmac_f32_e32 v7, 0x32a5705f, v3
	v_sub_f32_e32 v5, v5, v24
	v_add_f32_e32 v5, v5, v7
	v_exp_f32_e32 v5, v5
	v_cvt_i32_f32_e32 v7, v24
	v_cmp_nlt_f32_e32 vcc, s2, v1
	v_pk_mul_f16 v158, v4, v158 op_sel_hi:[0,1]
	v_pk_mul_f16 v159, v4, v159 op_sel_hi:[0,1]
	v_ldexp_f32 v4, v5, v7
	v_mul_f32_e32 v5, 0x3fb8aa3b, v2
	v_cndmask_b32_e32 v1, v26, v6, vcc
	v_fma_f32 v6, v2, s5, -v5
	v_rndne_f32_e32 v7, v5
	v_fmac_f32_e32 v6, 0x32a5705f, v2
	v_sub_f32_e32 v5, v5, v7
	v_add_f32_e32 v5, v5, v6
	v_exp_f32_e32 v5, v5
	v_cvt_i32_f32_e32 v6, v7
	v_cmp_ngt_f32_e32 vcc, s4, v3
	s_nop 1
	v_cndmask_b32_e32 v4, 0, v4, vcc
	v_cmp_nlt_f32_e32 vcc, s2, v3
	s_nop 1
	v_cndmask_b32_e32 v3, v26, v4, vcc
	v_ldexp_f32 v4, v5, v6
	v_cvt_f16_f32_e32 v5, v1
	v_cmp_ngt_f32_e32 vcc, s4, v2
	v_pk_mul_f16 v156, v5, v156 op_sel_hi:[0,1]
	s_nop 0
	v_cndmask_b32_e32 v4, 0, v4, vcc
	v_cmp_nlt_f32_e32 vcc, s2, v2
	v_pk_mul_f16 v157, v5, v157 op_sel_hi:[0,1]
	s_nop 0
	v_cndmask_b32_e32 v2, v26, v4, vcc
	v_pk_fma_f32 v[16:17], v[16:17], v[0:1], v[2:3]
	v_mov_b64_e32 v[0:1], v[8:9]
	v_mov_b64_e32 v[2:3], v[10:11]
	v_mov_b64_e32 v[4:5], v[12:13]
	v_mov_b64_e32 v[6:7], v[14:15]
.LBB33_51:
	v_add_u32_e32 v8, s33, v155
	v_cmp_gt_i32_e32 vcc, s66, v8
	s_and_saveexec_b64 s[4:5], vcc
	s_cbranch_execz .LBB33_106
; %bb.52:
	s_load_dword s2, s[0:1], 0xd4
	v_mov_b32_e32 v10, 1.0
	s_waitcnt lgkmcnt(0)
	s_cmp_lg_u32 s2, 1
	s_cselect_b64 s[0:1], -1, 0
	s_cmp_eq_u32 s2, 1
	s_cselect_b64 s[6:7], -1, 0
	s_and_b64 vcc, exec, s[0:1]
	s_cbranch_vccnz .LBB33_54
; %bb.53:
	v_div_scale_f32 v8, s[4:5], v22, v22, 1.0
	v_rcp_f32_e32 v9, v8
	v_div_scale_f32 v10, vcc, 1.0, v22, 1.0
	v_fma_f32 v11, -v8, v9, 1.0
	v_fmac_f32_e32 v9, v11, v9
	v_mul_f32_e32 v11, v10, v9
	v_fma_f32 v12, -v8, v11, v10
	v_fmac_f32_e32 v11, v12, v9
	v_fma_f32 v8, -v8, v11, v10
	v_div_fmas_f32 v8, v8, v9, v11
	v_div_fixup_f32 v10, v8, v22, 1.0
.LBB33_54:
	s_mul_i32 s8, s74, s66
	s_add_i32 s8, s8, s33
	v_add_u32_e32 v8, s8, v155
	v_mul_lo_u32 v11, v8, s67
	v_add_u32_e32 v8, s68, v11
	v_mul_lo_u32 v8, s2, v8
	v_add_u32_e32 v8, s3, v8
	s_and_saveexec_b64 s[4:5], s[48:49]
	s_cbranch_execz .LBB33_56
; %bb.55:
	v_cvt_f32_f16_sdwa v15, v171 dst_sel:DWORD dst_unused:UNUSED_PAD src0_sel:WORD_1
	v_cvt_f32_f16_e32 v14, v171
	v_cvt_f32_f16_sdwa v25, v172 dst_sel:DWORD dst_unused:UNUSED_PAD src0_sel:WORD_1
	v_cvt_f32_f16_e32 v24, v172
	s_movk_i32 s9, 0x70
	v_mad_u64_u32 v[12:13], s[10:11], v8, s9, v[104:105]
	v_mov_b32_e32 v13, 0
	v_lshl_add_u64 v[26:27], v[12:13], 2, s[60:61]
	v_pk_mul_f32 v[12:13], v[10:11], v[14:15] op_sel_hi:[0,1]
	v_pk_mul_f32 v[14:15], v[10:11], v[24:25] op_sel_hi:[0,1]
	global_store_dwordx4 v[26:27], v[12:15], off
.LBB33_56:
	s_or_b64 exec, exec, s[4:5]
	v_cmp_eq_u32_e32 vcc, 0, v154
	s_and_b64 s[4:5], vcc, s[0:1]
	s_and_saveexec_b64 s[0:1], s[4:5]
	s_cbranch_execz .LBB33_58
; %bb.57:
	v_ashrrev_i32_e32 v9, 31, v8
	v_lshl_add_u64 v[8:9], v[8:9], 3, s[62:63]
	v_mov_b32_e32 v12, v0
	v_mov_b32_e32 v13, v22
	global_store_dwordx2 v[8:9], v[12:13], off
.LBB33_58:
	s_or_b64 exec, exec, s[0:1]
	v_cndmask_b32_e64 v0, 0, 1, s[6:7]
	v_cmp_ne_u32_e64 s[0:1], 1, v0
	s_andn2_b64 vcc, exec, s[6:7]
	v_mov_b32_e32 v0, 1.0
	s_cbranch_vccnz .LBB33_60
; %bb.59:
	v_div_scale_f32 v0, s[6:7], v23, v23, 1.0
	v_rcp_f32_e32 v8, v0
	v_div_scale_f32 v9, vcc, 1.0, v23, 1.0
	v_fma_f32 v10, -v0, v8, 1.0
	v_fmac_f32_e32 v8, v10, v8
	v_mul_f32_e32 v10, v9, v8
	v_fma_f32 v12, -v0, v10, v9
	v_fmac_f32_e32 v10, v12, v8
	v_fma_f32 v0, -v0, v10, v9
	v_div_fmas_f32 v0, v0, v8, v10
	v_div_fixup_f32 v0, v0, v23, 1.0
.LBB33_60:
	s_add_i32 s9, s68, 1
	v_add_u32_e32 v8, s9, v11
	v_mul_lo_u32 v8, s2, v8
	v_add_u32_e32 v8, s3, v8
	s_and_saveexec_b64 s[6:7], s[48:49]
	s_cbranch_execz .LBB33_62
; %bb.61:
	v_cvt_f32_f16_sdwa v13, v169 dst_sel:DWORD dst_unused:UNUSED_PAD src0_sel:WORD_1
	v_cvt_f32_f16_e32 v12, v169
	v_cvt_f32_f16_sdwa v15, v168 dst_sel:DWORD dst_unused:UNUSED_PAD src0_sel:WORD_1
	v_cvt_f32_f16_e32 v14, v168
	s_movk_i32 s10, 0x70
	v_mad_u64_u32 v[10:11], s[10:11], v8, s10, v[104:105]
	v_mov_b32_e32 v11, 0
	v_lshl_add_u64 v[24:25], v[10:11], 2, s[60:61]
	v_pk_mul_f32 v[10:11], v[0:1], v[12:13] op_sel_hi:[0,1]
	v_pk_mul_f32 v[12:13], v[0:1], v[14:15] op_sel_hi:[0,1]
	global_store_dwordx4 v[24:25], v[10:13], off
.LBB33_62:
	s_or_b64 exec, exec, s[6:7]
	s_and_saveexec_b64 s[6:7], s[4:5]
	s_cbranch_execz .LBB33_64
; %bb.63:
	v_ashrrev_i32_e32 v9, 31, v8
	v_lshl_add_u64 v[8:9], v[8:9], 3, s[62:63]
	v_mov_b32_e32 v22, v1
	global_store_dwordx2 v[8:9], v[22:23], off
.LBB33_64:
	s_or_b64 exec, exec, s[6:7]
	v_add_u32_e32 v0, s33, v153
	v_cmp_gt_i32_e32 vcc, s66, v0
	s_and_b64 exec, exec, vcc
	s_cbranch_execz .LBB33_106
; %bb.65:
	s_and_b64 vcc, exec, s[0:1]
	v_mov_b32_e32 v8, 1.0
	s_cbranch_vccnz .LBB33_67
; %bb.66:
	v_div_scale_f32 v0, s[6:7], v20, v20, 1.0
	v_rcp_f32_e32 v1, v0
	v_div_scale_f32 v8, vcc, 1.0, v20, 1.0
	v_fma_f32 v9, -v0, v1, 1.0
	v_fmac_f32_e32 v1, v9, v1
	v_mul_f32_e32 v9, v8, v1
	v_fma_f32 v10, -v0, v9, v8
	v_fmac_f32_e32 v9, v10, v1
	v_fma_f32 v0, -v0, v9, v8
	v_div_fmas_f32 v0, v0, v1, v9
	v_div_fixup_f32 v8, v0, v20, 1.0
.LBB33_67:
	v_add_u32_e32 v0, s8, v153
	v_mul_lo_u32 v0, v0, s67
	v_add_u32_e32 v0, s68, v0
	v_mul_lo_u32 v0, s2, v0
	v_add_u32_e32 v0, s3, v0
	s_and_saveexec_b64 s[6:7], s[48:49]
	s_cbranch_execz .LBB33_69
; %bb.68:
	v_cvt_f32_f16_sdwa v13, v167 dst_sel:DWORD dst_unused:UNUSED_PAD src0_sel:WORD_1
	v_cvt_f32_f16_e32 v12, v167
	v_cvt_f32_f16_sdwa v15, v166 dst_sel:DWORD dst_unused:UNUSED_PAD src0_sel:WORD_1
	v_cvt_f32_f16_e32 v14, v166
	s_movk_i32 s10, 0x70
	v_mad_u64_u32 v[10:11], s[10:11], v0, s10, v[104:105]
	v_mov_b32_e32 v11, 0
	v_lshl_add_u64 v[22:23], v[10:11], 2, s[60:61]
	v_pk_mul_f32 v[10:11], v[8:9], v[12:13] op_sel_hi:[0,1]
	v_pk_mul_f32 v[12:13], v[8:9], v[14:15] op_sel_hi:[0,1]
	global_store_dwordx4 v[22:23], v[10:13], off
.LBB33_69:
	s_or_b64 exec, exec, s[6:7]
	s_and_saveexec_b64 s[6:7], s[4:5]
	s_cbranch_execz .LBB33_71
; %bb.70:
	v_ashrrev_i32_e32 v1, 31, v0
	v_lshl_add_u64 v[0:1], v[0:1], 3, s[62:63]
	v_mov_b32_e32 v8, v2
	v_mov_b32_e32 v9, v20
	global_store_dwordx2 v[0:1], v[8:9], off
.LBB33_71:
	s_or_b64 exec, exec, s[6:7]
	v_lshrrev_b32_e32 v0, 1, v152
	v_add_u32_e32 v1, s33, v0
	v_cmp_gt_i32_e32 vcc, s66, v1
	s_and_b64 exec, exec, vcc
	s_cbranch_execz .LBB33_106
; %bb.72:
	s_and_b64 vcc, exec, s[0:1]
	v_mov_b32_e32 v2, 1.0
	s_cbranch_vccnz .LBB33_74
; %bb.73:
	v_div_scale_f32 v1, s[6:7], v21, v21, 1.0
	v_rcp_f32_e32 v2, v1
	v_div_scale_f32 v8, vcc, 1.0, v21, 1.0
	v_fma_f32 v9, -v1, v2, 1.0
	v_fmac_f32_e32 v2, v9, v2
	v_mul_f32_e32 v9, v8, v2
	v_fma_f32 v10, -v1, v9, v8
	v_fmac_f32_e32 v9, v10, v2
	v_fma_f32 v1, -v1, v9, v8
	v_div_fmas_f32 v1, v1, v2, v9
	v_div_fixup_f32 v2, v1, v21, 1.0
.LBB33_74:
	v_add_u32_e32 v0, s8, v0
	v_mul_lo_u32 v0, v0, s67
	v_add_u32_e32 v0, s9, v0
	v_mul_lo_u32 v0, s2, v0
	v_add_u32_e32 v0, s3, v0
	s_and_saveexec_b64 s[6:7], s[48:49]
	s_cbranch_execz .LBB33_76
; %bb.75:
	v_cvt_f32_f16_sdwa v11, v164 dst_sel:DWORD dst_unused:UNUSED_PAD src0_sel:WORD_1
	v_cvt_f32_f16_e32 v10, v164
	v_cvt_f32_f16_sdwa v13, v165 dst_sel:DWORD dst_unused:UNUSED_PAD src0_sel:WORD_1
	v_cvt_f32_f16_e32 v12, v165
	s_movk_i32 s10, 0x70
	v_mad_u64_u32 v[8:9], s[10:11], v0, s10, v[104:105]
	v_mov_b32_e32 v9, 0
	v_lshl_add_u64 v[14:15], v[8:9], 2, s[60:61]
	v_pk_mul_f32 v[8:9], v[2:3], v[10:11] op_sel_hi:[0,1]
	v_pk_mul_f32 v[10:11], v[2:3], v[12:13] op_sel_hi:[0,1]
	global_store_dwordx4 v[14:15], v[8:11], off
.LBB33_76:
	s_or_b64 exec, exec, s[6:7]
	s_and_saveexec_b64 s[6:7], s[4:5]
	s_cbranch_execz .LBB33_78
; %bb.77:
	v_ashrrev_i32_e32 v1, 31, v0
	v_lshl_add_u64 v[0:1], v[0:1], 3, s[62:63]
	v_mov_b32_e32 v20, v3
	global_store_dwordx2 v[0:1], v[20:21], off
.LBB33_78:
	s_or_b64 exec, exec, s[6:7]
	v_lshrrev_b32_e32 v0, 1, v151
	v_add_u32_e32 v1, s33, v0
	v_cmp_gt_i32_e32 vcc, s66, v1
	s_and_b64 exec, exec, vcc
	s_cbranch_execz .LBB33_106
; %bb.79:
	s_and_b64 vcc, exec, s[0:1]
	v_mov_b32_e32 v2, 1.0
	s_cbranch_vccnz .LBB33_81
; %bb.80:
	v_div_scale_f32 v1, s[6:7], v18, v18, 1.0
	v_rcp_f32_e32 v2, v1
	v_div_scale_f32 v3, vcc, 1.0, v18, 1.0
	v_fma_f32 v8, -v1, v2, 1.0
	v_fmac_f32_e32 v2, v8, v2
	v_mul_f32_e32 v8, v3, v2
	v_fma_f32 v9, -v1, v8, v3
	v_fmac_f32_e32 v8, v9, v2
	v_fma_f32 v1, -v1, v8, v3
	v_div_fmas_f32 v1, v1, v2, v8
	v_div_fixup_f32 v2, v1, v18, 1.0
.LBB33_81:
	v_add_u32_e32 v0, s8, v0
	v_mul_lo_u32 v0, v0, s67
	v_add_u32_e32 v0, s68, v0
	v_mul_lo_u32 v0, s2, v0
	v_add_u32_e32 v0, s3, v0
	s_and_saveexec_b64 s[6:7], s[48:49]
	s_cbranch_execz .LBB33_83
; %bb.82:
	v_cvt_f32_f16_sdwa v11, v162 dst_sel:DWORD dst_unused:UNUSED_PAD src0_sel:WORD_1
	v_cvt_f32_f16_e32 v10, v162
	v_cvt_f32_f16_sdwa v13, v163 dst_sel:DWORD dst_unused:UNUSED_PAD src0_sel:WORD_1
	v_cvt_f32_f16_e32 v12, v163
	s_movk_i32 s10, 0x70
	v_mad_u64_u32 v[8:9], s[10:11], v0, s10, v[104:105]
	v_mov_b32_e32 v9, 0
	v_lshl_add_u64 v[14:15], v[8:9], 2, s[60:61]
	v_pk_mul_f32 v[8:9], v[2:3], v[10:11] op_sel_hi:[0,1]
	v_pk_mul_f32 v[10:11], v[2:3], v[12:13] op_sel_hi:[0,1]
	global_store_dwordx4 v[14:15], v[8:11], off
.LBB33_83:
	s_or_b64 exec, exec, s[6:7]
	s_and_saveexec_b64 s[6:7], s[4:5]
	s_cbranch_execz .LBB33_85
; %bb.84:
	v_ashrrev_i32_e32 v1, 31, v0
	v_lshl_add_u64 v[0:1], v[0:1], 3, s[62:63]
	v_mov_b32_e32 v2, v4
	v_mov_b32_e32 v3, v18
	global_store_dwordx2 v[0:1], v[2:3], off
.LBB33_85:
	s_or_b64 exec, exec, s[6:7]
	v_lshrrev_b32_e32 v0, 1, v150
	v_add_u32_e32 v1, s33, v0
	v_cmp_gt_i32_e32 vcc, s66, v1
	s_and_b64 exec, exec, vcc
	s_cbranch_execz .LBB33_106
; %bb.86:
	s_and_b64 vcc, exec, s[0:1]
	v_mov_b32_e32 v2, 1.0
	s_cbranch_vccnz .LBB33_88
; %bb.87:
	v_div_scale_f32 v1, s[6:7], v19, v19, 1.0
	v_rcp_f32_e32 v2, v1
	v_div_scale_f32 v3, vcc, 1.0, v19, 1.0
	v_fma_f32 v4, -v1, v2, 1.0
	v_fmac_f32_e32 v2, v4, v2
	v_mul_f32_e32 v4, v3, v2
	v_fma_f32 v8, -v1, v4, v3
	v_fmac_f32_e32 v4, v8, v2
	v_fma_f32 v1, -v1, v4, v3
	v_div_fmas_f32 v1, v1, v2, v4
	v_div_fixup_f32 v2, v1, v19, 1.0
.LBB33_88:
	v_add_u32_e32 v0, s8, v0
	v_mul_lo_u32 v0, v0, s67
	v_add_u32_e32 v0, s9, v0
	v_mul_lo_u32 v0, s2, v0
	v_add_u32_e32 v0, s3, v0
	s_and_saveexec_b64 s[6:7], s[48:49]
	s_cbranch_execz .LBB33_90
; %bb.89:
	v_cvt_f32_f16_sdwa v11, v160 dst_sel:DWORD dst_unused:UNUSED_PAD src0_sel:WORD_1
	v_cvt_f32_f16_e32 v10, v160
	v_cvt_f32_f16_sdwa v13, v161 dst_sel:DWORD dst_unused:UNUSED_PAD src0_sel:WORD_1
	v_cvt_f32_f16_e32 v12, v161
	s_movk_i32 s10, 0x70
	v_mad_u64_u32 v[8:9], s[10:11], v0, s10, v[104:105]
	v_mov_b32_e32 v9, 0
	v_lshl_add_u64 v[14:15], v[8:9], 2, s[60:61]
	v_pk_mul_f32 v[8:9], v[2:3], v[10:11] op_sel_hi:[0,1]
	v_pk_mul_f32 v[10:11], v[2:3], v[12:13] op_sel_hi:[0,1]
	global_store_dwordx4 v[14:15], v[8:11], off
.LBB33_90:
	s_or_b64 exec, exec, s[6:7]
	s_and_saveexec_b64 s[6:7], s[4:5]
	s_cbranch_execz .LBB33_92
; %bb.91:
	v_ashrrev_i32_e32 v1, 31, v0
	v_lshl_add_u64 v[0:1], v[0:1], 3, s[62:63]
	v_mov_b32_e32 v18, v5
	global_store_dwordx2 v[0:1], v[18:19], off
.LBB33_92:
	s_or_b64 exec, exec, s[6:7]
	v_lshrrev_b32_e32 v0, 1, v127
	v_add_u32_e32 v1, s33, v0
	v_cmp_gt_i32_e32 vcc, s66, v1
	s_and_b64 exec, exec, vcc
	s_cbranch_execz .LBB33_106
; %bb.93:
	s_and_b64 vcc, exec, s[0:1]
	v_mov_b32_e32 v2, 1.0
	s_cbranch_vccnz .LBB33_95
; %bb.94:
	v_div_scale_f32 v1, s[6:7], v16, v16, 1.0
	v_rcp_f32_e32 v2, v1
	v_div_scale_f32 v3, vcc, 1.0, v16, 1.0
	v_fma_f32 v4, -v1, v2, 1.0
	v_fmac_f32_e32 v2, v4, v2
	v_mul_f32_e32 v4, v3, v2
	v_fma_f32 v5, -v1, v4, v3
	v_fmac_f32_e32 v4, v5, v2
	v_fma_f32 v1, -v1, v4, v3
	v_div_fmas_f32 v1, v1, v2, v4
	v_div_fixup_f32 v2, v1, v16, 1.0
.LBB33_95:
	v_add_u32_e32 v0, s8, v0
	v_mul_lo_u32 v0, v0, s67
	v_add_u32_e32 v0, s68, v0
	v_mul_lo_u32 v0, s2, v0
	v_add_u32_e32 v0, s3, v0
	s_and_saveexec_b64 s[6:7], s[48:49]
	s_cbranch_execz .LBB33_97
; %bb.96:
	v_cvt_f32_f16_sdwa v9, v158 dst_sel:DWORD dst_unused:UNUSED_PAD src0_sel:WORD_1
	v_cvt_f32_f16_e32 v8, v158
	v_cvt_f32_f16_sdwa v11, v159 dst_sel:DWORD dst_unused:UNUSED_PAD src0_sel:WORD_1
	v_cvt_f32_f16_e32 v10, v159
	s_movk_i32 s10, 0x70
	v_mad_u64_u32 v[4:5], s[10:11], v0, s10, v[104:105]
	v_mov_b32_e32 v5, 0
	v_lshl_add_u64 v[4:5], v[4:5], 2, s[60:61]
	v_pk_mul_f32 v[8:9], v[2:3], v[8:9] op_sel_hi:[0,1]
	v_pk_mul_f32 v[10:11], v[2:3], v[10:11] op_sel_hi:[0,1]
	global_store_dwordx4 v[4:5], v[8:11], off
.LBB33_97:
	s_or_b64 exec, exec, s[6:7]
	s_and_saveexec_b64 s[6:7], s[4:5]
	s_cbranch_execz .LBB33_99
; %bb.98:
	v_ashrrev_i32_e32 v1, 31, v0
	v_lshl_add_u64 v[0:1], v[0:1], 3, s[62:63]
	v_mov_b32_e32 v2, v6
	v_mov_b32_e32 v3, v16
	global_store_dwordx2 v[0:1], v[2:3], off
.LBB33_99:
	s_or_b64 exec, exec, s[6:7]
	v_lshrrev_b32_e32 v0, 1, v105
	v_add_u32_e32 v1, s33, v0
	v_cmp_gt_i32_e32 vcc, s66, v1
	s_and_b64 exec, exec, vcc
	s_cbranch_execz .LBB33_106
; %bb.100:
	s_and_b64 vcc, exec, s[0:1]
	v_mov_b32_e32 v2, 1.0
	s_cbranch_vccnz .LBB33_102
; %bb.101:
	v_div_scale_f32 v1, s[0:1], v17, v17, 1.0
	v_rcp_f32_e32 v2, v1
	v_div_scale_f32 v3, vcc, 1.0, v17, 1.0
	v_fma_f32 v4, -v1, v2, 1.0
	v_fmac_f32_e32 v2, v4, v2
	v_mul_f32_e32 v4, v3, v2
	v_fma_f32 v5, -v1, v4, v3
	v_fmac_f32_e32 v4, v5, v2
	v_fma_f32 v1, -v1, v4, v3
	v_div_fmas_f32 v1, v1, v2, v4
	v_div_fixup_f32 v2, v1, v17, 1.0
.LBB33_102:
	v_add_u32_e32 v0, s8, v0
	v_mul_lo_u32 v0, v0, s67
	v_add_u32_e32 v0, s9, v0
	v_mul_lo_u32 v0, s2, v0
	v_add_u32_e32 v0, s3, v0
	s_and_saveexec_b64 s[0:1], s[48:49]
	s_cbranch_execz .LBB33_104
; %bb.103:
	v_cvt_f32_f16_sdwa v9, v156 dst_sel:DWORD dst_unused:UNUSED_PAD src0_sel:WORD_1
	v_cvt_f32_f16_e32 v8, v156
	v_cvt_f32_f16_sdwa v11, v157 dst_sel:DWORD dst_unused:UNUSED_PAD src0_sel:WORD_1
	v_cvt_f32_f16_e32 v10, v157
	s_movk_i32 s2, 0x70
	v_mad_u64_u32 v[4:5], s[2:3], v0, s2, v[104:105]
	v_mov_b32_e32 v5, 0
	v_lshl_add_u64 v[4:5], v[4:5], 2, s[60:61]
	v_pk_mul_f32 v[8:9], v[2:3], v[8:9] op_sel_hi:[0,1]
	v_pk_mul_f32 v[10:11], v[2:3], v[10:11] op_sel_hi:[0,1]
	global_store_dwordx4 v[4:5], v[8:11], off
.LBB33_104:
	s_or_b64 exec, exec, s[0:1]
	s_and_b64 exec, exec, s[4:5]
	s_cbranch_execz .LBB33_106
; %bb.105:
	v_ashrrev_i32_e32 v1, 31, v0
	v_lshl_add_u64 v[0:1], v[0:1], 3, s[62:63]
	v_mov_b32_e32 v16, v7
	global_store_dwordx2 v[0:1], v[16:17], off
.LBB33_106:
	s_endpgm
	.section	.rodata,"a",@progbits
	.p2align	6, 0x0
	.amdhsa_kernel _ZL15flash_attn_tileILi112ELi112ELi32ELi2ELb0EEvPKcS1_S1_S1_S1_PKiPfP15HIP_vector_typeIfLj2EEffffjfiS5_IjLj3EEiiiiiiiiiiiliiliiiiil
		.amdhsa_group_segment_fixed_size 22592
		.amdhsa_private_segment_fixed_size 0
		.amdhsa_kernarg_size 464
		.amdhsa_user_sgpr_count 2
		.amdhsa_user_sgpr_dispatch_ptr 0
		.amdhsa_user_sgpr_queue_ptr 0
		.amdhsa_user_sgpr_kernarg_segment_ptr 1
		.amdhsa_user_sgpr_dispatch_id 0
		.amdhsa_user_sgpr_kernarg_preload_length 0
		.amdhsa_user_sgpr_kernarg_preload_offset 0
		.amdhsa_user_sgpr_private_segment_size 0
		.amdhsa_uses_dynamic_stack 0
		.amdhsa_enable_private_segment 0
		.amdhsa_system_sgpr_workgroup_id_x 1
		.amdhsa_system_sgpr_workgroup_id_y 1
		.amdhsa_system_sgpr_workgroup_id_z 1
		.amdhsa_system_sgpr_workgroup_info 0
		.amdhsa_system_vgpr_workitem_id 1
		.amdhsa_next_free_vgpr 202
		.amdhsa_next_free_sgpr 79
		.amdhsa_accum_offset 204
		.amdhsa_reserve_vcc 1
		.amdhsa_float_round_mode_32 0
		.amdhsa_float_round_mode_16_64 0
		.amdhsa_float_denorm_mode_32 3
		.amdhsa_float_denorm_mode_16_64 3
		.amdhsa_dx10_clamp 1
		.amdhsa_ieee_mode 1
		.amdhsa_fp16_overflow 0
		.amdhsa_tg_split 0
		.amdhsa_exception_fp_ieee_invalid_op 0
		.amdhsa_exception_fp_denorm_src 0
		.amdhsa_exception_fp_ieee_div_zero 0
		.amdhsa_exception_fp_ieee_overflow 0
		.amdhsa_exception_fp_ieee_underflow 0
		.amdhsa_exception_fp_ieee_inexact 0
		.amdhsa_exception_int_div_zero 0
	.end_amdhsa_kernel
	.section	.text._ZL15flash_attn_tileILi112ELi112ELi32ELi2ELb0EEvPKcS1_S1_S1_S1_PKiPfP15HIP_vector_typeIfLj2EEffffjfiS5_IjLj3EEiiiiiiiiiiiliiliiiiil,"axG",@progbits,_ZL15flash_attn_tileILi112ELi112ELi32ELi2ELb0EEvPKcS1_S1_S1_S1_PKiPfP15HIP_vector_typeIfLj2EEffffjfiS5_IjLj3EEiiiiiiiiiiiliiliiiiil,comdat
.Lfunc_end33:
	.size	_ZL15flash_attn_tileILi112ELi112ELi32ELi2ELb0EEvPKcS1_S1_S1_S1_PKiPfP15HIP_vector_typeIfLj2EEffffjfiS5_IjLj3EEiiiiiiiiiiiliiliiiiil, .Lfunc_end33-_ZL15flash_attn_tileILi112ELi112ELi32ELi2ELb0EEvPKcS1_S1_S1_S1_PKiPfP15HIP_vector_typeIfLj2EEffffjfiS5_IjLj3EEiiiiiiiiiiiliiliiiiil
                                        ; -- End function
	.section	.AMDGPU.csdata,"",@progbits
; Kernel info:
; codeLenInByte = 22180
; NumSgprs: 85
; NumVgprs: 202
; NumAgprs: 0
; TotalNumVgprs: 202
; ScratchSize: 0
; MemoryBound: 0
; FloatMode: 240
; IeeeMode: 1
; LDSByteSize: 22592 bytes/workgroup (compile time only)
; SGPRBlocks: 10
; VGPRBlocks: 25
; NumSGPRsForWavesPerEU: 85
; NumVGPRsForWavesPerEU: 202
; AccumOffset: 204
; Occupancy: 2
; WaveLimiterHint : 1
; COMPUTE_PGM_RSRC2:SCRATCH_EN: 0
; COMPUTE_PGM_RSRC2:USER_SGPR: 2
; COMPUTE_PGM_RSRC2:TRAP_HANDLER: 0
; COMPUTE_PGM_RSRC2:TGID_X_EN: 1
; COMPUTE_PGM_RSRC2:TGID_Y_EN: 1
; COMPUTE_PGM_RSRC2:TGID_Z_EN: 1
; COMPUTE_PGM_RSRC2:TIDIG_COMP_CNT: 1
; COMPUTE_PGM_RSRC3_GFX90A:ACCUM_OFFSET: 50
; COMPUTE_PGM_RSRC3_GFX90A:TG_SPLIT: 0
	.section	.text._ZL25flash_attn_mask_to_KV_maxILi32EEvPK7__half2Piiii,"axG",@progbits,_ZL25flash_attn_mask_to_KV_maxILi32EEvPK7__half2Piiii,comdat
	.globl	_ZL25flash_attn_mask_to_KV_maxILi32EEvPK7__half2Piiii ; -- Begin function _ZL25flash_attn_mask_to_KV_maxILi32EEvPK7__half2Piiii
	.p2align	8
	.type	_ZL25flash_attn_mask_to_KV_maxILi32EEvPK7__half2Piiii,@function
_ZL25flash_attn_mask_to_KV_maxILi32EEvPK7__half2Piiii: ; @_ZL25flash_attn_mask_to_KV_maxILi32EEvPK7__half2Piiii
; %bb.0:
	s_load_dwordx4 s[4:7], s[0:1], 0x0
	v_cmp_gt_u32_e32 vcc, 32, v0
	s_and_saveexec_b64 s[8:9], vcc
	s_cbranch_execz .LBB34_2
; %bb.1:
	v_lshlrev_b32_e32 v1, 2, v0
	v_mov_b32_e32 v2, 1
	ds_write_b32 v1, v2
.LBB34_2:
	s_or_b64 exec, exec, s[8:9]
	s_load_dwordx4 s[8:11], s[0:1], 0x10
	s_load_dword s33, s[0:1], 0x20
	v_and_b32_e32 v2, 31, v0
	v_lshlrev_b32_e32 v6, 2, v2
	v_lshrrev_b32_e32 v1, 3, v0
	s_waitcnt lgkmcnt(0)
	s_mul_i32 s1, s2, s9
	s_mul_i32 s0, s3, s10
	s_lshl_b32 s1, s1, 5
	s_add_i32 s0, s0, s1
	s_ashr_i32 s1, s0, 31
	s_lshl_b64 s[0:1], s[0:1], 2
	s_add_u32 s10, s4, s0
	s_addc_u32 s11, s5, s1
	v_cmp_eq_u32_e64 s[0:1], 0, v2
	v_mbcnt_lo_u32_b32 v2, -1, 0
	s_lshl_b32 s8, s8, 8
	s_mov_b64 s[12:13], 0
	v_mov_b32_e32 v3, 0
	s_movk_i32 s98, 0x204
	s_movk_i32 s99, 0x7fff
	;; [unrolled: 1-line block ×3, first 2 shown]
	v_mbcnt_hi_u32_b32 v7, -1, v2
	s_barrier
	s_waitcnt lgkmcnt(0)
                                        ; implicit-def: $sgpr4_sgpr5
	s_branch .LBB34_5
.LBB34_3:                               ;   in Loop: Header=BB34_5 Depth=1
	s_or_b64 exec, exec, s[14:15]
	s_waitcnt lgkmcnt(0)
	s_barrier
	ds_read_b32 v10, v6
	s_waitcnt lgkmcnt(0)
	s_barrier
	ds_bpermute_b32 v2, v2, v10
	v_cmp_ne_u32_e32 vcc, 0, v10
	s_waitcnt lgkmcnt(0)
	v_cmp_ne_u32_e64 s[4:5], 0, v2
	s_and_b64 s[4:5], vcc, s[4:5]
	s_nop 0
	v_cndmask_b32_e64 v2, 0, 1, s[4:5]
	ds_bpermute_b32 v2, v4, v2
	s_waitcnt lgkmcnt(0)
	v_cmp_ne_u32_e32 vcc, 0, v2
	s_and_b64 s[4:5], vcc, s[4:5]
	v_cndmask_b32_e64 v2, 0, 1, s[4:5]
	ds_bpermute_b32 v2, v5, v2
	s_waitcnt lgkmcnt(0)
	v_cmp_ne_u32_e32 vcc, 0, v2
	s_and_b64 s[4:5], vcc, s[4:5]
	;; [unrolled: 5-line block ×3, first 2 shown]
	v_cndmask_b32_e64 v2, 0, 1, s[4:5]
	ds_bpermute_b32 v2, v9, v2
	s_xor_b64 s[4:5], s[4:5], -1
	s_waitcnt lgkmcnt(0)
	v_cmp_eq_u32_e32 vcc, 0, v2
	s_or_b64 s[4:5], vcc, s[4:5]
.LBB34_4:                               ;   in Loop: Header=BB34_5 Depth=1
	s_and_b64 s[14:15], exec, s[4:5]
	s_or_b64 s[12:13], s[14:15], s[12:13]
	v_mov_b32_e32 v2, s8
	s_mov_b32 s8, s97
	s_andn2_b64 exec, exec, s[12:13]
	s_cbranch_execz .LBB34_132
.LBB34_5:                               ; =>This Inner Loop Header: Depth=1
	s_add_i32 s97, s8, 0xffffff00
	s_or_b64 s[4:5], s[4:5], exec
	s_cmp_lt_i32 s97, 0
	s_cbranch_scc1 .LBB34_4
; %bb.6:                                ;   in Loop: Header=BB34_5 Depth=1
	s_lshr_b32 s4, s97, 1
	v_add_u32_e32 v2, s4, v0
	v_lshl_add_u64 v[4:5], v[2:3], 2, s[10:11]
	global_load_dword v4, v[4:5], off
	s_mov_b64 s[14:15], 0
	s_waitcnt vmcnt(0)
	v_cmp_class_f16_e64 s[4:5], v4, s98
	v_and_b32_sdwa v4, s99, v4 dst_sel:DWORD dst_unused:UNUSED_PAD src0_sel:DWORD src1_sel:WORD_1
	v_cmp_eq_f16_e32 vcc, s96, v4
	s_and_b64 s[16:17], s[4:5], vcc
	s_and_saveexec_b64 s[4:5], s[16:17]
	s_cbranch_execz .LBB34_130
; %bb.7:                                ;   in Loop: Header=BB34_5 Depth=1
	v_add_u32_e32 v4, s9, v2
	v_ashrrev_i32_e32 v5, 31, v4
	v_lshl_add_u64 v[8:9], v[4:5], 2, s[10:11]
	global_load_dword v2, v[8:9], off
	s_mov_b64 s[16:17], 0
	s_waitcnt vmcnt(0)
	v_cmp_class_f16_e64 s[18:19], v2, s98
	s_and_saveexec_b64 s[14:15], s[18:19]
	s_cbranch_execz .LBB34_129
; %bb.8:                                ;   in Loop: Header=BB34_5 Depth=1
	v_cmp_class_f16_sdwa s[20:21], v2, s98 src0_sel:WORD_1 src1_sel:DWORD
	s_mov_b64 s[18:19], 0
	s_and_saveexec_b64 s[16:17], s[20:21]
	s_cbranch_execz .LBB34_128
; %bb.9:                                ;   in Loop: Header=BB34_5 Depth=1
	v_add_u32_e32 v4, s9, v4
	v_ashrrev_i32_e32 v5, 31, v4
	v_lshl_add_u64 v[8:9], v[4:5], 2, s[10:11]
	global_load_dword v2, v[8:9], off
	s_mov_b64 s[20:21], 0
	s_waitcnt vmcnt(0)
	v_cmp_class_f16_e64 s[22:23], v2, s98
	s_and_saveexec_b64 s[18:19], s[22:23]
	s_cbranch_execz .LBB34_127
; %bb.10:                               ;   in Loop: Header=BB34_5 Depth=1
	v_cmp_class_f16_sdwa s[24:25], v2, s98 src0_sel:WORD_1 src1_sel:DWORD
	s_mov_b64 s[22:23], 0
	s_and_saveexec_b64 s[20:21], s[24:25]
	s_cbranch_execz .LBB34_126
; %bb.11:                               ;   in Loop: Header=BB34_5 Depth=1
	v_add_u32_e32 v4, s9, v4
	v_ashrrev_i32_e32 v5, 31, v4
	v_lshl_add_u64 v[8:9], v[4:5], 2, s[10:11]
	global_load_dword v2, v[8:9], off
	s_mov_b64 s[24:25], 0
	s_waitcnt vmcnt(0)
	v_cmp_class_f16_e64 s[26:27], v2, s98
	s_and_saveexec_b64 s[22:23], s[26:27]
	s_cbranch_execz .LBB34_125
; %bb.12:                               ;   in Loop: Header=BB34_5 Depth=1
	v_cmp_class_f16_sdwa s[28:29], v2, s98 src0_sel:WORD_1 src1_sel:DWORD
	s_mov_b64 s[26:27], 0
	s_and_saveexec_b64 s[24:25], s[28:29]
	s_cbranch_execz .LBB34_124
; %bb.13:                               ;   in Loop: Header=BB34_5 Depth=1
	;; [unrolled: 15-line block ×18, first 2 shown]
	v_add_u32_e32 v4, s9, v4
	v_ashrrev_i32_e32 v5, 31, v4
	v_lshl_add_u64 v[8:9], v[4:5], 2, s[10:11]
	global_load_dword v2, v[8:9], off
	s_mov_b64 s[94:95], 0
	s_waitcnt vmcnt(0)
	v_cmp_class_f16_e64 vcc, v2, s98
	s_mov_b64 s[92:93], exec
                                        ; implicit-def: $vgpr12 : SGPR spill to VGPR lane
	v_writelane_b32 v12, s92, 0
	s_and_b64 vcc, s[92:93], vcc
	s_nop 0
	v_writelane_b32 v12, s93, 1
	s_mov_b64 exec, vcc
	s_cbranch_execz .LBB34_91
; %bb.46:                               ;   in Loop: Header=BB34_5 Depth=1
	v_cmp_class_f16_sdwa s[94:95], v2, s98 src0_sel:WORD_1 src1_sel:DWORD
	s_mov_b64 vcc, 0
	s_mov_b64 s[92:93], exec
	v_writelane_b32 v12, s92, 2
	s_and_b64 s[94:95], s[92:93], s[94:95]
	s_nop 0
	v_writelane_b32 v12, s93, 3
	s_mov_b64 exec, s[94:95]
	s_cbranch_execz .LBB34_90
; %bb.47:                               ;   in Loop: Header=BB34_5 Depth=1
	v_add_u32_e32 v4, s9, v4
	v_ashrrev_i32_e32 v5, 31, v4
	v_lshl_add_u64 v[8:9], v[4:5], 2, s[10:11]
	global_load_dword v2, v[8:9], off
	s_waitcnt vmcnt(0)
	v_cmp_class_f16_e64 s[94:95], v2, s98
	s_mov_b64 s[92:93], exec
	v_writelane_b32 v12, s92, 4
	s_and_b64 s[94:95], s[92:93], s[94:95]
	s_nop 0
	v_writelane_b32 v12, s93, 5
	s_mov_b64 exec, s[94:95]
	s_cbranch_execz .LBB34_89
; %bb.48:                               ;   in Loop: Header=BB34_5 Depth=1
	v_cmp_class_f16_sdwa s[94:95], v2, s98 src0_sel:WORD_1 src1_sel:DWORD
	s_mov_b64 vcc, 0
	s_mov_b64 s[92:93], exec
	v_writelane_b32 v12, s92, 6
	s_and_b64 s[94:95], s[92:93], s[94:95]
	s_nop 0
	v_writelane_b32 v12, s93, 7
	s_mov_b64 exec, s[94:95]
	s_cbranch_execz .LBB34_88
; %bb.49:                               ;   in Loop: Header=BB34_5 Depth=1
	v_add_u32_e32 v4, s9, v4
	v_ashrrev_i32_e32 v5, 31, v4
	v_lshl_add_u64 v[8:9], v[4:5], 2, s[10:11]
	global_load_dword v2, v[8:9], off
	s_waitcnt vmcnt(0)
	v_cmp_class_f16_e64 s[94:95], v2, s98
	s_mov_b64 s[92:93], exec
	v_writelane_b32 v12, s92, 8
	s_and_b64 s[94:95], s[92:93], s[94:95]
	s_nop 0
	v_writelane_b32 v12, s93, 9
	s_mov_b64 exec, s[94:95]
	;; [unrolled: 24-line block ×10, first 2 shown]
	s_cbranch_execz .LBB34_71
; %bb.66:                               ;   in Loop: Header=BB34_5 Depth=1
	v_cmp_class_f16_sdwa s[94:95], v2, s98 src0_sel:WORD_1 src1_sel:DWORD
	s_mov_b64 vcc, 0
	s_mov_b64 s[92:93], exec
	v_writelane_b32 v12, s92, 42
	s_and_b64 s[94:95], s[92:93], s[94:95]
	s_nop 0
	v_writelane_b32 v12, s93, 43
	s_mov_b64 exec, s[94:95]
	s_cbranch_execz .LBB34_70
; %bb.67:                               ;   in Loop: Header=BB34_5 Depth=1
	v_add_u32_e32 v4, s9, v4
	v_ashrrev_i32_e32 v5, 31, v4
	v_lshl_add_u64 v[4:5], v[4:5], 2, s[10:11]
	global_load_dword v2, v[4:5], off
	s_waitcnt vmcnt(0)
	v_cmp_class_f16_e64 s[94:95], v2, s98
	s_and_saveexec_b64 s[92:93], s[94:95]
; %bb.68:                               ;   in Loop: Header=BB34_5 Depth=1
	v_cmp_class_f16_sdwa s[94:95], v2, s98 src0_sel:WORD_1 src1_sel:DWORD
	s_and_b64 vcc, s[94:95], exec
; %bb.69:                               ;   in Loop: Header=BB34_5 Depth=1
	s_or_b64 exec, exec, s[92:93]
	s_and_b64 vcc, vcc, exec
.LBB34_70:                              ;   in Loop: Header=BB34_5 Depth=1
	v_readlane_b32 s94, v12, 42
	v_readlane_b32 s95, v12, 43
	s_or_b64 exec, exec, s[94:95]
	s_and_b64 vcc, vcc, exec
.LBB34_71:                              ;   in Loop: Header=BB34_5 Depth=1
	v_readlane_b32 s92, v12, 40
	v_readlane_b32 s93, v12, 41
	s_or_b64 exec, exec, s[92:93]
	s_and_b64 vcc, vcc, exec
.LBB34_72:                              ;   in Loop: Header=BB34_5 Depth=1
	v_readlane_b32 s94, v12, 38
	v_readlane_b32 s95, v12, 39
	s_or_b64 exec, exec, s[94:95]
	s_and_b64 vcc, vcc, exec
.LBB34_73:                              ;   in Loop: Header=BB34_5 Depth=1
	v_readlane_b32 s92, v12, 36
	v_readlane_b32 s93, v12, 37
	s_or_b64 exec, exec, s[92:93]
	s_and_b64 vcc, vcc, exec
.LBB34_74:                              ;   in Loop: Header=BB34_5 Depth=1
	v_readlane_b32 s94, v12, 34
	v_readlane_b32 s95, v12, 35
	s_or_b64 exec, exec, s[94:95]
	s_and_b64 vcc, vcc, exec
.LBB34_75:                              ;   in Loop: Header=BB34_5 Depth=1
	v_readlane_b32 s92, v12, 32
	v_readlane_b32 s93, v12, 33
	s_or_b64 exec, exec, s[92:93]
	s_and_b64 vcc, vcc, exec
.LBB34_76:                              ;   in Loop: Header=BB34_5 Depth=1
	v_readlane_b32 s94, v12, 30
	v_readlane_b32 s95, v12, 31
	s_or_b64 exec, exec, s[94:95]
	s_and_b64 vcc, vcc, exec
.LBB34_77:                              ;   in Loop: Header=BB34_5 Depth=1
	v_readlane_b32 s92, v12, 28
	v_readlane_b32 s93, v12, 29
	s_or_b64 exec, exec, s[92:93]
	s_and_b64 vcc, vcc, exec
.LBB34_78:                              ;   in Loop: Header=BB34_5 Depth=1
	v_readlane_b32 s94, v12, 26
	v_readlane_b32 s95, v12, 27
	s_or_b64 exec, exec, s[94:95]
	s_and_b64 vcc, vcc, exec
.LBB34_79:                              ;   in Loop: Header=BB34_5 Depth=1
	v_readlane_b32 s92, v12, 24
	v_readlane_b32 s93, v12, 25
	s_or_b64 exec, exec, s[92:93]
	s_and_b64 vcc, vcc, exec
.LBB34_80:                              ;   in Loop: Header=BB34_5 Depth=1
	v_readlane_b32 s94, v12, 22
	v_readlane_b32 s95, v12, 23
	s_or_b64 exec, exec, s[94:95]
	s_and_b64 vcc, vcc, exec
.LBB34_81:                              ;   in Loop: Header=BB34_5 Depth=1
	v_readlane_b32 s92, v12, 20
	v_readlane_b32 s93, v12, 21
	s_or_b64 exec, exec, s[92:93]
	s_and_b64 vcc, vcc, exec
.LBB34_82:                              ;   in Loop: Header=BB34_5 Depth=1
	v_readlane_b32 s94, v12, 18
	v_readlane_b32 s95, v12, 19
	s_or_b64 exec, exec, s[94:95]
	s_and_b64 vcc, vcc, exec
.LBB34_83:                              ;   in Loop: Header=BB34_5 Depth=1
	v_readlane_b32 s92, v12, 16
	v_readlane_b32 s93, v12, 17
	s_or_b64 exec, exec, s[92:93]
	s_and_b64 vcc, vcc, exec
.LBB34_84:                              ;   in Loop: Header=BB34_5 Depth=1
	v_readlane_b32 s94, v12, 14
	v_readlane_b32 s95, v12, 15
	s_or_b64 exec, exec, s[94:95]
	s_and_b64 vcc, vcc, exec
.LBB34_85:                              ;   in Loop: Header=BB34_5 Depth=1
	v_readlane_b32 s92, v12, 12
	v_readlane_b32 s93, v12, 13
	s_or_b64 exec, exec, s[92:93]
	s_and_b64 vcc, vcc, exec
.LBB34_86:                              ;   in Loop: Header=BB34_5 Depth=1
	v_readlane_b32 s94, v12, 10
	v_readlane_b32 s95, v12, 11
	s_or_b64 exec, exec, s[94:95]
	s_and_b64 vcc, vcc, exec
.LBB34_87:                              ;   in Loop: Header=BB34_5 Depth=1
	v_readlane_b32 s92, v12, 8
	v_readlane_b32 s93, v12, 9
	s_or_b64 exec, exec, s[92:93]
	s_and_b64 vcc, vcc, exec
.LBB34_88:                              ;   in Loop: Header=BB34_5 Depth=1
	v_readlane_b32 s94, v12, 6
	v_readlane_b32 s95, v12, 7
	s_or_b64 exec, exec, s[94:95]
	s_and_b64 vcc, vcc, exec
.LBB34_89:                              ;   in Loop: Header=BB34_5 Depth=1
	v_readlane_b32 s92, v12, 4
	v_readlane_b32 s93, v12, 5
	s_or_b64 exec, exec, s[92:93]
	s_and_b64 vcc, vcc, exec
.LBB34_90:                              ;   in Loop: Header=BB34_5 Depth=1
	v_readlane_b32 s94, v12, 2
	v_readlane_b32 s95, v12, 3
	s_or_b64 exec, exec, s[94:95]
	s_and_b64 s[94:95], vcc, exec
.LBB34_91:                              ;   in Loop: Header=BB34_5 Depth=1
	v_readlane_b32 s92, v12, 0
	v_readlane_b32 s93, v12, 1
	s_or_b64 exec, exec, s[92:93]
	s_and_b64 s[92:93], s[94:95], exec
.LBB34_92:                              ;   in Loop: Header=BB34_5 Depth=1
	s_or_b64 exec, exec, s[90:91]
	s_and_b64 s[90:91], s[92:93], exec
.LBB34_93:                              ;   in Loop: Header=BB34_5 Depth=1
	s_or_b64 exec, exec, s[88:89]
	s_and_b64 s[88:89], s[90:91], exec
.LBB34_94:                              ;   in Loop: Header=BB34_5 Depth=1
	s_or_b64 exec, exec, s[86:87]
	s_and_b64 s[86:87], s[88:89], exec
.LBB34_95:                              ;   in Loop: Header=BB34_5 Depth=1
	s_or_b64 exec, exec, s[84:85]
	s_and_b64 s[84:85], s[86:87], exec
.LBB34_96:                              ;   in Loop: Header=BB34_5 Depth=1
	s_or_b64 exec, exec, s[82:83]
	s_and_b64 s[82:83], s[84:85], exec
.LBB34_97:                              ;   in Loop: Header=BB34_5 Depth=1
	s_or_b64 exec, exec, s[80:81]
	s_and_b64 s[80:81], s[82:83], exec
.LBB34_98:                              ;   in Loop: Header=BB34_5 Depth=1
	s_or_b64 exec, exec, s[78:79]
	s_and_b64 s[78:79], s[80:81], exec
.LBB34_99:                              ;   in Loop: Header=BB34_5 Depth=1
	s_or_b64 exec, exec, s[76:77]
	s_and_b64 s[76:77], s[78:79], exec
.LBB34_100:                             ;   in Loop: Header=BB34_5 Depth=1
	s_or_b64 exec, exec, s[74:75]
	s_and_b64 s[74:75], s[76:77], exec
.LBB34_101:                             ;   in Loop: Header=BB34_5 Depth=1
	s_or_b64 exec, exec, s[72:73]
	s_and_b64 s[72:73], s[74:75], exec
.LBB34_102:                             ;   in Loop: Header=BB34_5 Depth=1
	s_or_b64 exec, exec, s[70:71]
	s_and_b64 s[70:71], s[72:73], exec
.LBB34_103:                             ;   in Loop: Header=BB34_5 Depth=1
	s_or_b64 exec, exec, s[68:69]
	s_and_b64 s[68:69], s[70:71], exec
.LBB34_104:                             ;   in Loop: Header=BB34_5 Depth=1
	s_or_b64 exec, exec, s[66:67]
	s_and_b64 s[66:67], s[68:69], exec
.LBB34_105:                             ;   in Loop: Header=BB34_5 Depth=1
	s_or_b64 exec, exec, s[64:65]
	s_and_b64 s[64:65], s[66:67], exec
.LBB34_106:                             ;   in Loop: Header=BB34_5 Depth=1
	s_or_b64 exec, exec, s[62:63]
	s_and_b64 s[62:63], s[64:65], exec
.LBB34_107:                             ;   in Loop: Header=BB34_5 Depth=1
	s_or_b64 exec, exec, s[60:61]
	s_and_b64 s[60:61], s[62:63], exec
.LBB34_108:                             ;   in Loop: Header=BB34_5 Depth=1
	s_or_b64 exec, exec, s[58:59]
	s_and_b64 s[58:59], s[60:61], exec
.LBB34_109:                             ;   in Loop: Header=BB34_5 Depth=1
	s_or_b64 exec, exec, s[56:57]
	s_and_b64 s[56:57], s[58:59], exec
.LBB34_110:                             ;   in Loop: Header=BB34_5 Depth=1
	s_or_b64 exec, exec, s[54:55]
	s_and_b64 s[54:55], s[56:57], exec
.LBB34_111:                             ;   in Loop: Header=BB34_5 Depth=1
	s_or_b64 exec, exec, s[52:53]
	s_and_b64 s[52:53], s[54:55], exec
.LBB34_112:                             ;   in Loop: Header=BB34_5 Depth=1
	s_or_b64 exec, exec, s[50:51]
	s_and_b64 s[50:51], s[52:53], exec
.LBB34_113:                             ;   in Loop: Header=BB34_5 Depth=1
	s_or_b64 exec, exec, s[48:49]
	s_and_b64 s[48:49], s[50:51], exec
.LBB34_114:                             ;   in Loop: Header=BB34_5 Depth=1
	s_or_b64 exec, exec, s[46:47]
	s_and_b64 s[46:47], s[48:49], exec
.LBB34_115:                             ;   in Loop: Header=BB34_5 Depth=1
	s_or_b64 exec, exec, s[44:45]
	s_and_b64 s[44:45], s[46:47], exec
.LBB34_116:                             ;   in Loop: Header=BB34_5 Depth=1
	s_or_b64 exec, exec, s[42:43]
	s_and_b64 s[42:43], s[44:45], exec
.LBB34_117:                             ;   in Loop: Header=BB34_5 Depth=1
	s_or_b64 exec, exec, s[40:41]
	s_and_b64 s[40:41], s[42:43], exec
.LBB34_118:                             ;   in Loop: Header=BB34_5 Depth=1
	s_or_b64 exec, exec, s[38:39]
	s_and_b64 s[38:39], s[40:41], exec
.LBB34_119:                             ;   in Loop: Header=BB34_5 Depth=1
	s_or_b64 exec, exec, s[36:37]
	s_and_b64 s[36:37], s[38:39], exec
.LBB34_120:                             ;   in Loop: Header=BB34_5 Depth=1
	s_or_b64 exec, exec, s[34:35]
	s_and_b64 s[34:35], s[36:37], exec
.LBB34_121:                             ;   in Loop: Header=BB34_5 Depth=1
	s_or_b64 exec, exec, s[30:31]
	s_and_b64 s[30:31], s[34:35], exec
.LBB34_122:                             ;   in Loop: Header=BB34_5 Depth=1
	s_or_b64 exec, exec, s[28:29]
	s_and_b64 s[28:29], s[30:31], exec
.LBB34_123:                             ;   in Loop: Header=BB34_5 Depth=1
	s_or_b64 exec, exec, s[26:27]
	s_and_b64 s[26:27], s[28:29], exec
.LBB34_124:                             ;   in Loop: Header=BB34_5 Depth=1
	s_or_b64 exec, exec, s[24:25]
	s_and_b64 s[24:25], s[26:27], exec
.LBB34_125:                             ;   in Loop: Header=BB34_5 Depth=1
	s_or_b64 exec, exec, s[22:23]
	s_and_b64 s[22:23], s[24:25], exec
.LBB34_126:                             ;   in Loop: Header=BB34_5 Depth=1
	s_or_b64 exec, exec, s[20:21]
	s_and_b64 s[20:21], s[22:23], exec
.LBB34_127:                             ;   in Loop: Header=BB34_5 Depth=1
	s_or_b64 exec, exec, s[18:19]
	s_and_b64 s[18:19], s[20:21], exec
.LBB34_128:                             ;   in Loop: Header=BB34_5 Depth=1
	s_or_b64 exec, exec, s[16:17]
	s_and_b64 s[16:17], s[18:19], exec
.LBB34_129:                             ;   in Loop: Header=BB34_5 Depth=1
	s_or_b64 exec, exec, s[14:15]
	s_and_b64 s[14:15], s[16:17], exec
.LBB34_130:                             ;   in Loop: Header=BB34_5 Depth=1
	s_or_b64 exec, exec, s[4:5]
	v_and_b32_e32 v2, 0x60, v7
	v_add_u32_e32 v9, 32, v2
	v_xor_b32_e32 v2, 16, v7
	v_cmp_lt_i32_e32 vcc, v2, v9
	v_cndmask_b32_e64 v4, 0, 1, s[14:15]
	v_xor_b32_e32 v11, 1, v7
	v_cndmask_b32_e32 v2, v7, v2, vcc
	v_lshlrev_b32_e32 v2, 2, v2
	ds_bpermute_b32 v4, v2, v4
	s_waitcnt lgkmcnt(0)
	v_cmp_ne_u32_e32 vcc, 0, v4
	v_xor_b32_e32 v4, 8, v7
	s_and_b64 s[4:5], s[14:15], vcc
	v_cmp_lt_i32_e32 vcc, v4, v9
	v_cndmask_b32_e64 v5, 0, 1, s[4:5]
	s_nop 0
	v_cndmask_b32_e32 v4, v7, v4, vcc
	v_lshlrev_b32_e32 v4, 2, v4
	ds_bpermute_b32 v5, v4, v5
	s_waitcnt lgkmcnt(0)
	v_cmp_ne_u32_e32 vcc, 0, v5
	v_xor_b32_e32 v5, 4, v7
	s_and_b64 s[4:5], vcc, s[4:5]
	v_cmp_lt_i32_e32 vcc, v5, v9
	v_cndmask_b32_e64 v8, 0, 1, s[4:5]
	s_nop 0
	v_cndmask_b32_e32 v5, v7, v5, vcc
	v_lshlrev_b32_e32 v5, 2, v5
	ds_bpermute_b32 v8, v5, v8
	s_waitcnt lgkmcnt(0)
	v_cmp_ne_u32_e32 vcc, 0, v8
	v_xor_b32_e32 v8, 2, v7
	s_and_b64 s[4:5], vcc, s[4:5]
	v_cmp_lt_i32_e32 vcc, v8, v9
	v_cndmask_b32_e64 v10, 0, 1, s[4:5]
	s_nop 0
	v_cndmask_b32_e32 v8, v7, v8, vcc
	v_lshlrev_b32_e32 v8, 2, v8
	ds_bpermute_b32 v10, v8, v10
	s_waitcnt lgkmcnt(0)
	v_cmp_ne_u32_e32 vcc, 0, v10
	s_and_b64 s[4:5], vcc, s[4:5]
	v_cmp_lt_i32_e32 vcc, v11, v9
	v_cndmask_b32_e64 v10, 0, 1, s[4:5]
	s_nop 0
	v_cndmask_b32_e32 v9, v7, v11, vcc
	v_lshlrev_b32_e32 v9, 2, v9
	ds_bpermute_b32 v10, v9, v10
	s_and_saveexec_b64 s[14:15], s[0:1]
	s_cbranch_execz .LBB34_3
; %bb.131:                              ;   in Loop: Header=BB34_5 Depth=1
	s_waitcnt lgkmcnt(0)
	v_cmp_ne_u32_e32 vcc, 0, v10
	s_and_b64 s[4:5], vcc, s[4:5]
	v_cndmask_b32_e64 v10, 0, 1, s[4:5]
	ds_write_b32 v1, v10
	s_branch .LBB34_3
.LBB34_132:
	s_or_b64 exec, exec, s[12:13]
	v_cmp_eq_u32_e32 vcc, 0, v0
	s_and_saveexec_b64 s[0:1], vcc
	s_cbranch_execz .LBB34_134
; %bb.133:
	s_mul_i32 s0, s33, s3
	s_add_i32 s0, s0, s2
	s_ashr_i32 s1, s0, 31
	s_lshl_b64 s[0:1], s[0:1], 2
	s_add_u32 s0, s6, s0
	s_addc_u32 s1, s7, s1
	v_mov_b32_e32 v0, 0
	global_store_dword v0, v2, s[0:1]
.LBB34_134:
	s_endpgm
	.section	.rodata,"a",@progbits
	.p2align	6, 0x0
	.amdhsa_kernel _ZL25flash_attn_mask_to_KV_maxILi32EEvPK7__half2Piiii
		.amdhsa_group_segment_fixed_size 128
		.amdhsa_private_segment_fixed_size 0
		.amdhsa_kernarg_size 288
		.amdhsa_user_sgpr_count 2
		.amdhsa_user_sgpr_dispatch_ptr 0
		.amdhsa_user_sgpr_queue_ptr 0
		.amdhsa_user_sgpr_kernarg_segment_ptr 1
		.amdhsa_user_sgpr_dispatch_id 0
		.amdhsa_user_sgpr_kernarg_preload_length 0
		.amdhsa_user_sgpr_kernarg_preload_offset 0
		.amdhsa_user_sgpr_private_segment_size 0
		.amdhsa_uses_dynamic_stack 0
		.amdhsa_enable_private_segment 0
		.amdhsa_system_sgpr_workgroup_id_x 1
		.amdhsa_system_sgpr_workgroup_id_y 1
		.amdhsa_system_sgpr_workgroup_id_z 0
		.amdhsa_system_sgpr_workgroup_info 0
		.amdhsa_system_vgpr_workitem_id 0
		.amdhsa_next_free_vgpr 13
		.amdhsa_next_free_sgpr 100
		.amdhsa_accum_offset 16
		.amdhsa_reserve_vcc 1
		.amdhsa_float_round_mode_32 0
		.amdhsa_float_round_mode_16_64 0
		.amdhsa_float_denorm_mode_32 3
		.amdhsa_float_denorm_mode_16_64 3
		.amdhsa_dx10_clamp 1
		.amdhsa_ieee_mode 1
		.amdhsa_fp16_overflow 0
		.amdhsa_tg_split 0
		.amdhsa_exception_fp_ieee_invalid_op 0
		.amdhsa_exception_fp_denorm_src 0
		.amdhsa_exception_fp_ieee_div_zero 0
		.amdhsa_exception_fp_ieee_overflow 0
		.amdhsa_exception_fp_ieee_underflow 0
		.amdhsa_exception_fp_ieee_inexact 0
		.amdhsa_exception_int_div_zero 0
	.end_amdhsa_kernel
	.section	.text._ZL25flash_attn_mask_to_KV_maxILi32EEvPK7__half2Piiii,"axG",@progbits,_ZL25flash_attn_mask_to_KV_maxILi32EEvPK7__half2Piiii,comdat
.Lfunc_end34:
	.size	_ZL25flash_attn_mask_to_KV_maxILi32EEvPK7__half2Piiii, .Lfunc_end34-_ZL25flash_attn_mask_to_KV_maxILi32EEvPK7__half2Piiii
                                        ; -- End function
	.section	.AMDGPU.csdata,"",@progbits
; Kernel info:
; codeLenInByte = 4292
; NumSgprs: 106
; NumVgprs: 13
; NumAgprs: 0
; TotalNumVgprs: 13
; ScratchSize: 0
; MemoryBound: 0
; FloatMode: 240
; IeeeMode: 1
; LDSByteSize: 128 bytes/workgroup (compile time only)
; SGPRBlocks: 13
; VGPRBlocks: 1
; NumSGPRsForWavesPerEU: 106
; NumVGPRsForWavesPerEU: 13
; AccumOffset: 16
; Occupancy: 7
; WaveLimiterHint : 0
; COMPUTE_PGM_RSRC2:SCRATCH_EN: 0
; COMPUTE_PGM_RSRC2:USER_SGPR: 2
; COMPUTE_PGM_RSRC2:TRAP_HANDLER: 0
; COMPUTE_PGM_RSRC2:TGID_X_EN: 1
; COMPUTE_PGM_RSRC2:TGID_Y_EN: 1
; COMPUTE_PGM_RSRC2:TGID_Z_EN: 0
; COMPUTE_PGM_RSRC2:TIDIG_COMP_CNT: 0
; COMPUTE_PGM_RSRC3_GFX90A:ACCUM_OFFSET: 3
; COMPUTE_PGM_RSRC3_GFX90A:TG_SPLIT: 0
	.section	.text._ZL33flash_attn_stream_k_fixup_uniformILi112ELi32ELi2EEvPfPK15HIP_vector_typeIfLj2EEiiiiiiS1_IjLj3EES5_S5_,"axG",@progbits,_ZL33flash_attn_stream_k_fixup_uniformILi112ELi32ELi2EEvPfPK15HIP_vector_typeIfLj2EEiiiiiiS1_IjLj3EES5_S5_,comdat
	.globl	_ZL33flash_attn_stream_k_fixup_uniformILi112ELi32ELi2EEvPfPK15HIP_vector_typeIfLj2EEiiiiiiS1_IjLj3EES5_S5_ ; -- Begin function _ZL33flash_attn_stream_k_fixup_uniformILi112ELi32ELi2EEvPfPK15HIP_vector_typeIfLj2EEiiiiiiS1_IjLj3EES5_S5_
	.p2align	8
	.type	_ZL33flash_attn_stream_k_fixup_uniformILi112ELi32ELi2EEvPfPK15HIP_vector_typeIfLj2EEiiiiiiS1_IjLj3EES5_S5_,@function
_ZL33flash_attn_stream_k_fixup_uniformILi112ELi32ELi2EEvPfPK15HIP_vector_typeIfLj2EEiiiiiiS1_IjLj3EES5_S5_: ; @_ZL33flash_attn_stream_k_fixup_uniformILi112ELi32ELi2EEvPfPK15HIP_vector_typeIfLj2EEiiiiiiS1_IjLj3EES5_S5_
; %bb.0:
	s_load_dwordx8 s[8:15], s[0:1], 0x1c
	s_load_dwordx2 s[6:7], s[0:1], 0x10
	s_load_dwordx4 s[16:19], s[0:1], 0x3c
	s_waitcnt lgkmcnt(0)
	s_mul_hi_u32 s5, s11, s2
	s_add_i32 s5, s2, s5
	s_lshr_b32 s5, s5, s12
	s_mul_i32 s11, s5, s13
	s_sub_i32 s12, s2, s11
	s_mul_hi_u32 s11, s12, s14
	s_add_i32 s11, s12, s11
	s_lshr_b32 s11, s11, s15
	s_mul_i32 s13, s11, s16
	s_sub_i32 s12, s12, s13
	;; [unrolled: 5-line block ×3, first 2 shown]
	s_lshl_b32 s12, s16, 5
	s_lshl_b32 s17, s13, 1
	s_add_i32 s12, s12, s3
	s_cmp_lt_i32 s12, s6
	s_cselect_b64 s[12:13], -1, 0
	s_add_i32 s17, s17, s4
	s_cmp_lt_i32 s17, s9
	s_cselect_b64 s[14:15], -1, 0
	s_and_b64 s[12:13], s[12:13], s[14:15]
	s_andn2_b64 vcc, exec, s[12:13]
	s_cbranch_vccnz .LBB35_6
; %bb.1:
	s_load_dwordx4 s[12:15], s[0:1], 0x0
	s_mul_i32 s0, s5, s6
	s_mul_i32 s11, s11, s9
	s_add_i32 s0, s0, s3
	s_mul_i32 s0, s0, s7
	s_add_i32 s5, s17, s11
	;; [unrolled: 2-line block ×3, first 2 shown]
	s_mulk_i32 s1, 0xe00
	s_mulk_i32 s0, 0x70
	s_add_i32 s0, s0, s1
	v_add_u32_e32 v4, s0, v0
	s_waitcnt lgkmcnt(0)
	v_mov_b32_e32 v2, s12
	v_mov_b32_e32 v3, s13
	v_ashrrev_i32_e32 v5, 31, v4
	v_lshl_add_u64 v[2:3], v[4:5], 2, v[2:3]
	global_load_dword v7, v[2:3], off
	s_mul_i32 s5, s2, s10
	s_lshl_b32 s11, s3, 1
	s_add_i32 s9, s5, s10
	s_add_i32 s0, s11, s4
	s_lshl_b32 s1, s9, 6
	s_add_i32 s0, s0, s1
	s_sub_i32 s0, s0, 64
	s_ashr_i32 s1, s0, 31
	s_lshl_b64 s[0:1], s[0:1], 3
	s_add_u32 s0, s14, s0
	s_addc_u32 s1, s15, s1
	s_load_dword s12, s[0:1], 0x4
	s_add_i32 s6, s9, -2
	s_cmp_lt_i32 s6, s5
	s_cbranch_scc1 .LBB35_4
; %bb.2:
	s_lshl_b32 s6, s8, 8
	s_ashr_i32 s7, s6, 31
	s_lshl_b64 s[6:7], s[6:7], 2
	s_add_u32 s6, s14, s6
	s_addc_u32 s7, s15, s7
	s_add_i32 s2, s2, 1
	s_load_dword s0, s[0:1], 0x0
	s_mul_i32 s1, s10, s2
	s_lshl_b32 s2, s1, 6
	s_add_i32 s2, s4, s2
	s_mulk_i32 s3, 0xe0
	s_mulk_i32 s4, 0x70
	s_lshl_b32 s8, s8, 6
	s_mulk_i32 s1, 0x1c00
	s_add_i32 s3, s4, s3
	s_add_i32 s2, s2, s8
	;; [unrolled: 1-line block ×4, first 2 shown]
	v_add_u32_e32 v0, s3, v0
	s_add_i32 s9, s9, -1
	s_addk_i32 s2, 0xff80
	v_add_u32_e32 v0, 0xffffc800, v0
	s_waitcnt lgkmcnt(0)
	v_mov_b32_e32 v6, s12
	v_mov_b32_e32 v5, s0
	s_mov_b32 s4, 0x3fb8aa3b
	s_mov_b32 s8, 0xc2ce8ed0
	;; [unrolled: 1-line block ×3, first 2 shown]
	v_mov_b32_e32 v4, 0x7f800000
	s_mov_b32 s11, 0xc1a00000
.LBB35_3:                               ; =>This Inner Loop Header: Depth=1
	v_ashrrev_i32_e32 v1, 31, v0
	v_lshl_add_u64 v[8:9], v[0:1], 2, s[6:7]
	global_load_dword v1, v[8:9], off
	s_ashr_i32 s3, s2, 31
	s_lshl_b64 s[0:1], s[2:3], 3
	s_add_u32 s0, s14, s0
	s_addc_u32 s1, s15, s1
	s_load_dwordx2 s[12:13], s[0:1], 0x0
	s_waitcnt vmcnt(1)
	v_mov_b32_e32 v8, v7
	v_max_f32_e32 v7, v5, v5
	v_mov_b32_e32 v9, v6
	s_add_i32 s9, s9, -1
	s_waitcnt lgkmcnt(0)
	v_max_f32_e64 v6, s12, s12
	v_max_f32_e32 v6, v7, v6
	v_sub_f32_e32 v10, s12, v6
	v_sub_f32_e32 v7, v5, v6
	v_mul_f32_e32 v11, 0x3fb8aa3b, v10
	v_mov_b32_e32 v5, v6
	v_mul_f32_e32 v6, 0x3fb8aa3b, v7
	v_fma_f32 v14, v10, s4, -v11
	v_rndne_f32_e32 v15, v11
	v_fma_f32 v12, v7, s4, -v6
	v_rndne_f32_e32 v13, v6
	v_fmac_f32_e32 v14, 0x32a5705f, v10
	v_sub_f32_e32 v11, v11, v15
	v_fmac_f32_e32 v12, 0x32a5705f, v7
	v_sub_f32_e32 v6, v6, v13
	v_add_f32_e32 v11, v11, v14
	v_cvt_i32_f32_e32 v15, v15
	v_add_f32_e32 v6, v6, v12
	v_exp_f32_e32 v11, v11
	v_cvt_i32_f32_e32 v13, v13
	v_exp_f32_e32 v6, v6
	v_cmp_ngt_f32_e32 vcc, s8, v10
	v_ldexp_f32 v11, v11, v15
	v_cmp_ngt_f32_e64 s[0:1], s8, v7
	v_ldexp_f32 v6, v6, v13
	v_cndmask_b32_e32 v11, 0, v11, vcc
	v_cmp_nlt_f32_e32 vcc, s10, v10
	v_cndmask_b32_e64 v6, 0, v6, s[0:1]
	v_cmp_nlt_f32_e64 s[0:1], s10, v7
	v_cndmask_b32_e32 v11, v4, v11, vcc
	v_cmp_le_f32_e32 vcc, s11, v10
	v_cndmask_b32_e64 v6, v4, v6, s[0:1]
	v_cmp_le_f32_e64 s[0:1], s11, v7
	v_cndmask_b32_e32 v7, 0, v11, vcc
	s_sub_i32 s2, s2, 64
	v_cndmask_b32_e64 v10, 0, v6, s[0:1]
	v_mul_f32_e32 v6, s13, v7
	v_add_u32_e32 v0, 0xffffe400, v0
	s_cmp_le_i32 s9, s5
	v_fmac_f32_e32 v6, v9, v10
	s_waitcnt vmcnt(0)
	v_mul_f32_e32 v7, v1, v7
	v_fmac_f32_e32 v7, v8, v10
	s_cbranch_scc0 .LBB35_3
	s_branch .LBB35_5
.LBB35_4:
	s_waitcnt lgkmcnt(0)
	v_mov_b32_e32 v6, s12
.LBB35_5:
	s_waitcnt vmcnt(0)
	v_div_scale_f32 v0, s[0:1], v6, v6, v7
	v_rcp_f32_e32 v1, v0
	v_div_scale_f32 v4, vcc, v7, v6, v7
	v_fma_f32 v5, -v0, v1, 1.0
	v_fmac_f32_e32 v1, v5, v1
	v_mul_f32_e32 v5, v4, v1
	v_fma_f32 v8, -v0, v5, v4
	v_fmac_f32_e32 v5, v8, v1
	v_fma_f32 v0, -v0, v5, v4
	v_div_fmas_f32 v0, v0, v1, v5
	v_div_fixup_f32 v0, v0, v6, v7
	global_store_dword v[2:3], v0, off
.LBB35_6:
	s_endpgm
	.section	.rodata,"a",@progbits
	.p2align	6, 0x0
	.amdhsa_kernel _ZL33flash_attn_stream_k_fixup_uniformILi112ELi32ELi2EEvPfPK15HIP_vector_typeIfLj2EEiiiiiiS1_IjLj3EES5_S5_
		.amdhsa_group_segment_fixed_size 0
		.amdhsa_private_segment_fixed_size 0
		.amdhsa_kernarg_size 76
		.amdhsa_user_sgpr_count 2
		.amdhsa_user_sgpr_dispatch_ptr 0
		.amdhsa_user_sgpr_queue_ptr 0
		.amdhsa_user_sgpr_kernarg_segment_ptr 1
		.amdhsa_user_sgpr_dispatch_id 0
		.amdhsa_user_sgpr_kernarg_preload_length 0
		.amdhsa_user_sgpr_kernarg_preload_offset 0
		.amdhsa_user_sgpr_private_segment_size 0
		.amdhsa_uses_dynamic_stack 0
		.amdhsa_enable_private_segment 0
		.amdhsa_system_sgpr_workgroup_id_x 1
		.amdhsa_system_sgpr_workgroup_id_y 1
		.amdhsa_system_sgpr_workgroup_id_z 1
		.amdhsa_system_sgpr_workgroup_info 0
		.amdhsa_system_vgpr_workitem_id 0
		.amdhsa_next_free_vgpr 16
		.amdhsa_next_free_sgpr 20
		.amdhsa_accum_offset 16
		.amdhsa_reserve_vcc 1
		.amdhsa_float_round_mode_32 0
		.amdhsa_float_round_mode_16_64 0
		.amdhsa_float_denorm_mode_32 3
		.amdhsa_float_denorm_mode_16_64 3
		.amdhsa_dx10_clamp 1
		.amdhsa_ieee_mode 1
		.amdhsa_fp16_overflow 0
		.amdhsa_tg_split 0
		.amdhsa_exception_fp_ieee_invalid_op 0
		.amdhsa_exception_fp_denorm_src 0
		.amdhsa_exception_fp_ieee_div_zero 0
		.amdhsa_exception_fp_ieee_overflow 0
		.amdhsa_exception_fp_ieee_underflow 0
		.amdhsa_exception_fp_ieee_inexact 0
		.amdhsa_exception_int_div_zero 0
	.end_amdhsa_kernel
	.section	.text._ZL33flash_attn_stream_k_fixup_uniformILi112ELi32ELi2EEvPfPK15HIP_vector_typeIfLj2EEiiiiiiS1_IjLj3EES5_S5_,"axG",@progbits,_ZL33flash_attn_stream_k_fixup_uniformILi112ELi32ELi2EEvPfPK15HIP_vector_typeIfLj2EEiiiiiiS1_IjLj3EES5_S5_,comdat
.Lfunc_end35:
	.size	_ZL33flash_attn_stream_k_fixup_uniformILi112ELi32ELi2EEvPfPK15HIP_vector_typeIfLj2EEiiiiiiS1_IjLj3EES5_S5_, .Lfunc_end35-_ZL33flash_attn_stream_k_fixup_uniformILi112ELi32ELi2EEvPfPK15HIP_vector_typeIfLj2EEiiiiiiS1_IjLj3EES5_S5_
                                        ; -- End function
	.section	.AMDGPU.csdata,"",@progbits
; Kernel info:
; codeLenInByte = 836
; NumSgprs: 26
; NumVgprs: 16
; NumAgprs: 0
; TotalNumVgprs: 16
; ScratchSize: 0
; MemoryBound: 0
; FloatMode: 240
; IeeeMode: 1
; LDSByteSize: 0 bytes/workgroup (compile time only)
; SGPRBlocks: 3
; VGPRBlocks: 1
; NumSGPRsForWavesPerEU: 26
; NumVGPRsForWavesPerEU: 16
; AccumOffset: 16
; Occupancy: 8
; WaveLimiterHint : 0
; COMPUTE_PGM_RSRC2:SCRATCH_EN: 0
; COMPUTE_PGM_RSRC2:USER_SGPR: 2
; COMPUTE_PGM_RSRC2:TRAP_HANDLER: 0
; COMPUTE_PGM_RSRC2:TGID_X_EN: 1
; COMPUTE_PGM_RSRC2:TGID_Y_EN: 1
; COMPUTE_PGM_RSRC2:TGID_Z_EN: 1
; COMPUTE_PGM_RSRC2:TIDIG_COMP_CNT: 0
; COMPUTE_PGM_RSRC3_GFX90A:ACCUM_OFFSET: 3
; COMPUTE_PGM_RSRC3_GFX90A:TG_SPLIT: 0
	.section	.text._ZL33flash_attn_stream_k_fixup_generalILi112ELi32ELi2EEvPfPK15HIP_vector_typeIfLj2EEiiiiS1_IjLj3EES5_S5_S5_,"axG",@progbits,_ZL33flash_attn_stream_k_fixup_generalILi112ELi32ELi2EEvPfPK15HIP_vector_typeIfLj2EEiiiiS1_IjLj3EES5_S5_S5_,comdat
	.globl	_ZL33flash_attn_stream_k_fixup_generalILi112ELi32ELi2EEvPfPK15HIP_vector_typeIfLj2EEiiiiS1_IjLj3EES5_S5_S5_ ; -- Begin function _ZL33flash_attn_stream_k_fixup_generalILi112ELi32ELi2EEvPfPK15HIP_vector_typeIfLj2EEiiiiS1_IjLj3EES5_S5_S5_
	.p2align	8
	.type	_ZL33flash_attn_stream_k_fixup_generalILi112ELi32ELi2EEvPfPK15HIP_vector_typeIfLj2EEiiiiS1_IjLj3EES5_S5_S5_,@function
_ZL33flash_attn_stream_k_fixup_generalILi112ELi32ELi2EEvPfPK15HIP_vector_typeIfLj2EEiiiiS1_IjLj3EES5_S5_S5_: ; @_ZL33flash_attn_stream_k_fixup_generalILi112ELi32ELi2EEvPfPK15HIP_vector_typeIfLj2EEiiiiS1_IjLj3EES5_S5_S5_
; %bb.0:
	s_load_dwordx4 s[12:15], s[0:1], 0x10
	s_load_dword s22, s[0:1], 0x50
	s_mov_b32 s8, 0
	s_waitcnt lgkmcnt(0)
	s_mul_hi_i32 s9, s15, s2
	s_cmp_lg_u64 s[8:9], 0
	s_mul_i32 s5, s15, s2
	s_cbranch_scc0 .LBB36_21
; %bb.1:
	v_cvt_f32_u32_e32 v1, s22
	v_cvt_f32_ubyte0_e32 v2, 0
	s_sub_u32 s8, 0, s22
	s_subb_u32 s10, 0, 0
	v_fmamk_f32 v1, v2, 0x4f800000, v1
	v_rcp_f32_e32 v1, v1
	s_nop 0
	v_mul_f32_e32 v1, 0x5f7ffffc, v1
	v_mul_f32_e32 v2, 0x2f800000, v1
	v_trunc_f32_e32 v2, v2
	v_fmamk_f32 v1, v2, 0xcf800000, v1
	v_cvt_u32_f32_e32 v2, v2
	v_cvt_u32_f32_e32 v1, v1
	v_readfirstlane_b32 s11, v2
	v_readfirstlane_b32 s16, v1
	s_mul_i32 s17, s8, s11
	s_mul_hi_u32 s19, s8, s16
	s_mul_i32 s18, s10, s16
	s_add_i32 s17, s19, s17
	s_add_i32 s17, s17, s18
	s_mul_i32 s20, s8, s16
	s_mul_hi_u32 s18, s16, s17
	s_mul_i32 s19, s16, s17
	s_mul_hi_u32 s16, s16, s20
	s_add_u32 s16, s16, s19
	s_addc_u32 s18, 0, s18
	s_mul_hi_u32 s21, s11, s20
	s_mul_i32 s20, s11, s20
	s_add_u32 s16, s16, s20
	s_mul_hi_u32 s19, s11, s17
	s_addc_u32 s16, s18, s21
	s_addc_u32 s18, s19, 0
	s_mul_i32 s17, s11, s17
	s_add_u32 s16, s16, s17
	s_addc_u32 s17, 0, s18
	v_add_co_u32_e32 v1, vcc, s16, v1
	s_cmp_lg_u64 vcc, 0
	s_addc_u32 s11, s11, s17
	v_readfirstlane_b32 s17, v1
	s_mul_i32 s16, s8, s11
	s_mul_hi_u32 s18, s8, s17
	s_add_i32 s16, s18, s16
	s_mul_i32 s10, s10, s17
	s_add_i32 s16, s16, s10
	s_mul_i32 s8, s8, s17
	s_mul_hi_u32 s18, s11, s8
	s_mul_i32 s19, s11, s8
	s_mul_i32 s21, s17, s16
	s_mul_hi_u32 s8, s17, s8
	s_mul_hi_u32 s20, s17, s16
	s_add_u32 s8, s8, s21
	s_addc_u32 s17, 0, s20
	s_add_u32 s8, s8, s19
	s_mul_hi_u32 s10, s11, s16
	s_addc_u32 s8, s17, s18
	s_addc_u32 s10, s10, 0
	s_mul_i32 s16, s11, s16
	s_add_u32 s8, s8, s16
	s_addc_u32 s10, 0, s10
	v_add_co_u32_e32 v1, vcc, s8, v1
	s_cmp_lg_u64 vcc, 0
	s_addc_u32 s16, s11, s10
	s_ashr_i32 s10, s9, 31
	s_add_u32 s8, s5, s10
	s_mov_b32 s11, s10
	s_addc_u32 s9, s9, s10
	s_xor_b64 s[8:9], s[8:9], s[10:11]
	v_readfirstlane_b32 s19, v1
	s_mul_i32 s18, s8, s16
	s_mul_hi_u32 s20, s8, s19
	s_mul_hi_u32 s17, s8, s16
	s_add_u32 s18, s20, s18
	s_addc_u32 s17, 0, s17
	s_mul_hi_u32 s21, s9, s19
	s_mul_i32 s19, s9, s19
	s_add_u32 s18, s18, s19
	s_mul_hi_u32 s20, s9, s16
	s_addc_u32 s17, s17, s21
	s_addc_u32 s18, s20, 0
	s_mul_i32 s16, s9, s16
	s_add_u32 s16, s17, s16
	s_addc_u32 s17, 0, s18
	s_add_u32 s18, s16, 1
	s_addc_u32 s19, s17, 0
	s_add_u32 s20, s16, 2
	s_mul_i32 s23, s22, s17
	s_mul_hi_u32 s24, s22, s16
	s_addc_u32 s21, s17, 0
	s_add_i32 s24, s24, s23
	s_mul_i32 s23, s22, s16
	v_mov_b32_e32 v1, s23
	v_sub_co_u32_e32 v1, vcc, s8, v1
	s_cmp_lg_u64 vcc, 0
	s_subb_u32 s8, s9, s24
	v_subrev_co_u32_e32 v2, vcc, s22, v1
	s_cmp_lg_u64 vcc, 0
	s_subb_u32 s9, s8, 0
	v_readfirstlane_b32 s23, v2
	s_cmp_ge_u32 s23, s22
	s_cselect_b32 s23, -1, 0
	s_cmp_eq_u32 s9, 0
	s_cselect_b32 s9, s23, -1
	s_cmp_lg_u32 s9, 0
	s_cselect_b32 s9, s21, s19
	v_readfirstlane_b32 s19, v1
	s_cselect_b32 s18, s20, s18
	s_cmp_ge_u32 s19, s22
	s_cselect_b32 s19, -1, 0
	s_cmp_eq_u32 s8, 0
	s_cselect_b32 s8, s19, -1
	s_cmp_lg_u32 s8, 0
	s_cselect_b32 s9, s9, s17
	s_cselect_b32 s8, s18, s16
	s_xor_b64 s[8:9], s[8:9], s[10:11]
	s_sub_u32 s20, s8, s10
	s_load_dwordx4 s[16:19], s[0:1], 0x44
	s_cbranch_execnz .LBB36_3
.LBB36_2:
	v_cvt_f32_u32_e32 v1, s22
	s_sub_i32 s6, 0, s22
	v_rcp_iflag_f32_e32 v1, v1
	s_nop 0
	v_mul_f32_e32 v1, 0x4f7ffffe, v1
	v_cvt_u32_f32_e32 v1, v1
	s_nop 0
	v_readfirstlane_b32 s7, v1
	s_mul_i32 s6, s6, s7
	s_mul_hi_u32 s6, s7, s6
	s_add_i32 s7, s7, s6
	s_mul_hi_u32 s6, s5, s7
	s_mul_i32 s8, s6, s22
	s_sub_i32 s5, s5, s8
	s_add_i32 s7, s6, 1
	s_sub_i32 s8, s5, s22
	s_cmp_ge_u32 s5, s22
	s_cselect_b32 s6, s7, s6
	s_cselect_b32 s5, s8, s5
	s_add_i32 s7, s6, 1
	s_cmp_ge_u32 s5, s22
	s_cselect_b32 s20, s7, s6
.LBB36_3:
	s_add_i32 s5, s2, 1
	s_mul_hi_i32 s9, s15, s5
	s_mov_b32 s8, 0
	s_cmp_lg_u64 s[8:9], 0
	s_mul_i32 s5, s15, s5
	s_cbranch_scc0 .LBB36_22
; %bb.4:
	v_cvt_f32_u32_e32 v1, s22
	v_cvt_f32_ubyte0_e32 v2, 0
	s_sub_u32 s8, 0, s22
	s_subb_u32 s10, 0, 0
	v_fmamk_f32 v1, v2, 0x4f800000, v1
	v_rcp_f32_e32 v1, v1
	s_nop 0
	v_mul_f32_e32 v1, 0x5f7ffffc, v1
	v_mul_f32_e32 v2, 0x2f800000, v1
	v_trunc_f32_e32 v2, v2
	v_fmamk_f32 v1, v2, 0xcf800000, v1
	v_cvt_u32_f32_e32 v2, v2
	v_cvt_u32_f32_e32 v1, v1
	v_readfirstlane_b32 s11, v2
	s_waitcnt lgkmcnt(0)
	v_readfirstlane_b32 s19, v1
	s_mul_i32 s21, s8, s11
	s_mul_hi_u32 s24, s8, s19
	s_mul_i32 s23, s10, s19
	s_add_i32 s21, s24, s21
	s_add_i32 s21, s21, s23
	s_mul_i32 s25, s8, s19
	s_mul_hi_u32 s23, s19, s21
	s_mul_i32 s24, s19, s21
	s_mul_hi_u32 s19, s19, s25
	s_add_u32 s19, s19, s24
	s_addc_u32 s23, 0, s23
	s_mul_hi_u32 s26, s11, s25
	s_mul_i32 s25, s11, s25
	s_add_u32 s19, s19, s25
	s_mul_hi_u32 s24, s11, s21
	s_addc_u32 s19, s23, s26
	s_addc_u32 s23, s24, 0
	s_mul_i32 s21, s11, s21
	s_add_u32 s19, s19, s21
	s_addc_u32 s21, 0, s23
	v_add_co_u32_e32 v1, vcc, s19, v1
	s_cmp_lg_u64 vcc, 0
	s_addc_u32 s11, s11, s21
	v_readfirstlane_b32 s21, v1
	s_mul_i32 s19, s8, s11
	s_mul_hi_u32 s23, s8, s21
	s_add_i32 s19, s23, s19
	s_mul_i32 s10, s10, s21
	s_add_i32 s19, s19, s10
	s_mul_i32 s8, s8, s21
	s_mul_hi_u32 s23, s11, s8
	s_mul_i32 s24, s11, s8
	s_mul_i32 s26, s21, s19
	s_mul_hi_u32 s8, s21, s8
	s_mul_hi_u32 s25, s21, s19
	s_add_u32 s8, s8, s26
	s_addc_u32 s21, 0, s25
	s_add_u32 s8, s8, s24
	s_mul_hi_u32 s10, s11, s19
	s_addc_u32 s8, s21, s23
	s_addc_u32 s10, s10, 0
	s_mul_i32 s19, s11, s19
	s_add_u32 s8, s8, s19
	s_addc_u32 s10, 0, s10
	v_add_co_u32_e32 v1, vcc, s8, v1
	s_cmp_lg_u64 vcc, 0
	s_addc_u32 s19, s11, s10
	s_ashr_i32 s10, s9, 31
	s_add_u32 s8, s5, s10
	s_mov_b32 s11, s10
	s_addc_u32 s9, s9, s10
	s_xor_b64 s[8:9], s[8:9], s[10:11]
	v_readfirstlane_b32 s23, v1
	s_mul_i32 s21, s8, s19
	s_mul_hi_u32 s24, s8, s23
	s_mul_hi_u32 s11, s8, s19
	s_add_u32 s21, s24, s21
	s_addc_u32 s11, 0, s11
	s_mul_hi_u32 s25, s9, s23
	s_mul_i32 s23, s9, s23
	s_add_u32 s21, s21, s23
	s_mul_hi_u32 s24, s9, s19
	s_addc_u32 s11, s11, s25
	s_addc_u32 s21, s24, 0
	s_mul_i32 s19, s9, s19
	s_add_u32 s11, s11, s19
	s_addc_u32 s19, 0, s21
	s_mul_i32 s19, s22, s19
	s_mul_hi_u32 s24, s22, s11
	s_add_i32 s24, s24, s19
	s_mul_i32 s19, s22, s11
	v_mov_b32_e32 v1, s19
	s_add_u32 s21, s11, 1
	s_add_u32 s23, s11, 2
	v_sub_co_u32_e32 v1, vcc, s8, v1
	s_cmp_lg_u64 vcc, 0
	s_subb_u32 s8, s9, s24
	v_subrev_co_u32_e32 v2, vcc, s22, v1
	s_cmp_lg_u64 vcc, 0
	s_subb_u32 s9, s8, 0
	v_cmp_le_u32_e32 vcc, s22, v2
	s_cmp_eq_u32 s9, 0
	v_mov_b32_e32 v3, s21
	v_cndmask_b32_e64 v2, 0, -1, vcc
	s_cselect_b64 vcc, -1, 0
	v_cndmask_b32_e32 v2, -1, v2, vcc
	v_mov_b32_e32 v4, s23
	v_cmp_ne_u32_e32 vcc, 0, v2
	s_cmp_eq_u32 s8, 0
	s_nop 0
	v_cndmask_b32_e32 v2, v3, v4, vcc
	v_cmp_le_u32_e32 vcc, s22, v1
	v_mov_b32_e32 v3, s11
	s_nop 0
	v_cndmask_b32_e64 v1, 0, -1, vcc
	s_cselect_b64 vcc, -1, 0
	v_cndmask_b32_e32 v1, -1, v1, vcc
	v_cmp_ne_u32_e32 vcc, 0, v1
	s_nop 1
	v_cndmask_b32_e32 v1, v3, v2, vcc
	v_xor_b32_e32 v1, s10, v1
	v_subrev_co_u32_e32 v2, vcc, s10, v1
	s_cbranch_execnz .LBB36_6
.LBB36_5:
	v_cvt_f32_u32_e32 v1, s22
	s_sub_i32 s6, 0, s22
	s_mov_b32 s7, 0
	v_rcp_iflag_f32_e32 v1, v1
	s_nop 0
	v_mul_f32_e32 v1, 0x4f7ffffe, v1
	v_cvt_u32_f32_e32 v1, v1
	s_nop 0
	v_readfirstlane_b32 s8, v1
	s_mul_i32 s6, s6, s8
	s_mul_hi_u32 s6, s8, s6
	s_add_i32 s8, s8, s6
	s_mul_hi_u32 s6, s5, s8
	s_mul_i32 s9, s6, s22
	s_sub_i32 s5, s5, s9
	s_add_i32 s8, s6, 1
	s_sub_i32 s9, s5, s22
	s_cmp_ge_u32 s5, s22
	s_cselect_b32 s6, s8, s6
	s_cselect_b32 s5, s9, s5
	s_add_i32 s8, s6, 1
	s_cmp_ge_u32 s5, s22
	s_cselect_b32 s6, s8, s6
	v_mov_b64_e32 v[2:3], s[6:7]
.LBB36_6:
	s_waitcnt lgkmcnt(0)
	s_mul_hi_u32 s5, s20, s16
	s_add_i32 s5, s5, s20
	v_mul_hi_u32 v1, v2, s16
	s_lshr_b32 s19, s5, s17
	v_add_u32_e32 v1, v1, v2
	s_mul_i32 s5, s19, s18
	v_lshrrev_b32_e32 v1, s17, v1
	s_cmp_eq_u32 s5, s20
	v_cmp_eq_u32_e64 s[6:7], s19, v1
	v_mul_lo_u32 v1, v1, s18
	v_cmp_eq_u32_e32 vcc, s20, v2
	s_cselect_b64 s[10:11], -1, 0
	v_cmp_ne_u32_e64 s[8:9], v1, v2
	s_and_b64 s[6:7], s[6:7], s[8:9]
	s_or_b64 s[8:9], vcc, s[10:11]
	s_or_b64 s[6:7], s[8:9], s[6:7]
	s_and_b64 vcc, exec, s[6:7]
	s_cbranch_vccnz .LBB36_24
; %bb.7:
	s_load_dwordx8 s[24:31], s[0:1], 0x20
	s_load_dword s5, s[0:1], 0x40
	s_waitcnt lgkmcnt(0)
	s_mul_hi_u32 s6, s20, s24
	s_add_i32 s6, s6, s20
	s_lshr_b32 s7, s6, s25
	s_mul_i32 s6, s7, s26
	s_sub_i32 s6, s20, s6
	s_mul_hi_u32 s8, s6, s27
	s_add_i32 s8, s6, s8
	s_lshr_b32 s23, s8, s28
	s_mul_i32 s8, s23, s29
	s_sub_i32 s6, s6, s8
	;; [unrolled: 5-line block ×3, first 2 shown]
	s_mul_hi_u32 s6, s5, s16
	s_add_i32 s5, s5, s6
	s_lshr_b32 s24, s5, s17
	s_lshl_b32 s5, s24, 5
	s_lshl_b32 s25, s8, 1
	s_add_i32 s5, s5, s3
	s_cmp_lt_i32 s5, s12
	s_cselect_b64 s[8:9], -1, 0
	s_add_i32 s25, s25, s4
	s_cmp_lt_i32 s25, s14
	s_cselect_b64 s[10:11], -1, 0
	s_and_b64 s[8:9], s[8:9], s[10:11]
	s_andn2_b64 vcc, exec, s[8:9]
	s_mov_b32 s6, 0
	s_cbranch_vccnz .LBB36_24
; %bb.8:
	s_load_dwordx4 s[8:11], s[0:1], 0x0
	s_lshl_b32 s21, s3, 1
	s_lshl_b32 s0, s22, 8
	s_mov_b32 s1, s6
	s_add_i32 s21, s21, s4
	s_lshl_b64 s[0:1], s[0:1], 2
	s_waitcnt lgkmcnt(0)
	s_add_u32 s4, s10, s0
	s_mul_i32 s0, s7, s12
	s_addc_u32 s5, s11, s1
	s_mul_i32 s23, s23, s14
	s_add_i32 s0, s0, s3
	s_mul_i32 s0, s0, s13
	s_add_i32 s3, s25, s23
	;; [unrolled: 2-line block ×3, first 2 shown]
	s_mulk_i32 s1, 0xe00
	s_mulk_i32 s0, 0x70
	s_add_i32 s1, s1, s0
	v_add_u32_e32 v4, s1, v0
	v_mov_b32_e32 v2, s8
	v_mov_b32_e32 v3, s9
	v_ashrrev_i32_e32 v5, 31, v4
	v_lshl_add_u64 v[2:3], v[4:5], 2, v[2:3]
	global_load_dword v5, v[2:3], off
	s_lshl_b32 s0, s2, 6
	s_add_i32 s0, s21, s0
	s_ashr_i32 s1, s0, 31
	s_lshl_b64 s[0:1], s[0:1], 3
	s_add_u32 s0, s10, s0
	s_addc_u32 s1, s11, s1
	s_add_i32 s12, s2, -1
	s_mul_i32 s2, s21, 0x70
	v_add_u32_e32 v4, s2, v0
	v_cvt_f32_u32_e32 v0, s22
	v_cvt_f32_ubyte0_e32 v1, 0
	s_load_dwordx2 s[0:1], s[0:1], 0x0
	v_mov_b32_e32 v8, s20
	v_fmac_f32_e32 v0, 0x4f800000, v1
	v_rcp_f32_e32 v0, v0
	v_cvt_f32_u32_e32 v1, s22
	s_waitcnt lgkmcnt(0)
	v_mov_b32_e32 v6, s1
	v_mov_b32_e32 v7, s0
	v_mul_f32_e32 v0, 0x5f7ffffc, v0
	v_rcp_iflag_f32_e32 v1, v1
	v_mul_f32_e32 v9, 0x2f800000, v0
	v_trunc_f32_e32 v10, v9
	v_fmac_f32_e32 v0, 0xcf800000, v10
	v_cvt_u32_f32_e32 v9, v0
	v_mul_f32_e32 v0, 0x4f7ffffe, v1
	v_cvt_u32_f32_e32 v10, v10
	v_cvt_u32_f32_e32 v11, v0
	s_mov_b32 s8, 0x3fb8aa3b
	s_mov_b32 s9, 0xc2ce8ed0
	;; [unrolled: 1-line block ×4, first 2 shown]
	v_mov_b32_e32 v12, 0x7f800000
	s_mul_hi_i32 s7, s12, s15
	s_cmp_lg_u64 s[6:7], 0
	s_mul_i32 s2, s12, s15
	s_cbranch_scc0 .LBB36_15
.LBB36_9:
	s_sub_u32 s0, 0, s22
	v_readfirstlane_b32 s3, v9
	v_readfirstlane_b32 s24, v10
	s_subb_u32 s1, 0, 0
	s_mul_hi_u32 s23, s0, s3
	s_mul_i32 s25, s0, s24
	s_mul_i32 s20, s1, s3
	s_add_i32 s23, s23, s25
	s_add_i32 s23, s23, s20
	s_mul_i32 s26, s0, s3
	s_mul_hi_u32 s20, s3, s23
	s_mul_i32 s25, s3, s23
	s_mul_hi_u32 s3, s3, s26
	s_add_u32 s3, s3, s25
	s_addc_u32 s20, 0, s20
	s_mul_hi_u32 s27, s24, s26
	s_mul_i32 s26, s24, s26
	s_add_u32 s3, s3, s26
	s_mul_hi_u32 s25, s24, s23
	s_addc_u32 s3, s20, s27
	s_addc_u32 s20, s25, 0
	s_mul_i32 s23, s24, s23
	s_add_u32 s3, s3, s23
	s_addc_u32 s20, 0, s20
	v_add_co_u32_e32 v0, vcc, s3, v9
	s_cmp_lg_u64 vcc, 0
	s_addc_u32 s3, s24, s20
	v_readfirstlane_b32 s23, v0
	s_mul_i32 s20, s0, s3
	s_mul_hi_u32 s24, s0, s23
	s_add_i32 s20, s24, s20
	s_mul_i32 s1, s1, s23
	s_add_i32 s20, s20, s1
	s_mul_i32 s0, s0, s23
	s_mul_hi_u32 s24, s3, s0
	s_mul_i32 s25, s3, s0
	s_mul_i32 s27, s23, s20
	s_mul_hi_u32 s0, s23, s0
	s_mul_hi_u32 s26, s23, s20
	s_add_u32 s0, s0, s27
	s_addc_u32 s23, 0, s26
	s_add_u32 s0, s0, s25
	s_mul_hi_u32 s1, s3, s20
	s_addc_u32 s0, s23, s24
	s_addc_u32 s1, s1, 0
	s_mul_i32 s20, s3, s20
	s_add_u32 s0, s0, s20
	s_addc_u32 s1, 0, s1
	v_add_co_u32_e32 v0, vcc, s0, v0
	s_cmp_lg_u64 vcc, 0
	s_addc_u32 s3, s3, s1
	s_ashr_i32 s0, s7, 31
	s_add_u32 s24, s2, s0
	s_mov_b32 s1, s0
	s_addc_u32 s25, s7, s0
	s_xor_b64 s[24:25], s[24:25], s[0:1]
	v_readfirstlane_b32 s20, v0
	s_mul_i32 s7, s24, s3
	s_mul_hi_u32 s23, s24, s20
	s_mul_hi_u32 s1, s24, s3
	s_add_u32 s7, s23, s7
	s_addc_u32 s1, 0, s1
	s_mul_hi_u32 s26, s25, s20
	s_mul_i32 s20, s25, s20
	s_add_u32 s7, s7, s20
	s_mul_hi_u32 s23, s25, s3
	s_addc_u32 s1, s1, s26
	s_addc_u32 s7, s23, 0
	s_mul_i32 s3, s25, s3
	s_add_u32 s1, s1, s3
	s_addc_u32 s3, 0, s7
	s_mul_i32 s3, s22, s3
	s_mul_hi_u32 s23, s22, s1
	s_add_i32 s23, s23, s3
	s_mul_i32 s3, s22, s1
	v_mov_b32_e32 v0, s3
	s_add_u32 s7, s1, 1
	s_add_u32 s20, s1, 2
	v_sub_co_u32_e32 v0, vcc, s24, v0
	s_cmp_lg_u64 vcc, 0
	s_subb_u32 s3, s25, s23
	v_subrev_co_u32_e32 v1, vcc, s22, v0
	s_cmp_lg_u64 vcc, 0
	s_subb_u32 s23, s3, 0
	v_cmp_le_u32_e32 vcc, s22, v1
	s_cmp_eq_u32 s23, 0
	v_mov_b32_e32 v13, s7
	v_cndmask_b32_e64 v1, 0, -1, vcc
	s_cselect_b64 vcc, -1, 0
	v_cndmask_b32_e32 v1, -1, v1, vcc
	v_mov_b32_e32 v14, s20
	v_cmp_ne_u32_e32 vcc, 0, v1
	s_cmp_eq_u32 s3, 0
	s_nop 0
	v_cndmask_b32_e32 v1, v13, v14, vcc
	v_cmp_le_u32_e32 vcc, s22, v0
	v_mov_b32_e32 v13, s1
	s_nop 0
	v_cndmask_b32_e64 v0, 0, -1, vcc
	s_cselect_b64 vcc, -1, 0
	v_cndmask_b32_e32 v0, -1, v0, vcc
	v_cmp_ne_u32_e32 vcc, 0, v0
	s_nop 1
	v_cndmask_b32_e32 v0, v13, v1, vcc
	v_xor_b32_e32 v0, s0, v0
	v_subrev_co_u32_e32 v0, vcc, s0, v0
	s_cbranch_execnz .LBB36_11
.LBB36_10:
	s_sub_i32 s0, 0, s22
	v_mul_lo_u32 v0, s0, v11
	v_mul_hi_u32 v0, v11, v0
	v_add_u32_e32 v0, v11, v0
	v_mul_hi_u32 v0, s2, v0
	v_mul_lo_u32 v13, v0, s22
	v_sub_u32_e32 v13, s2, v13
	v_add_u32_e32 v1, 1, v0
	v_subrev_u32_e32 v14, s22, v13
	v_cmp_le_u32_e32 vcc, s22, v13
	s_nop 1
	v_cndmask_b32_e32 v13, v13, v14, vcc
	v_cndmask_b32_e32 v0, v0, v1, vcc
	v_add_u32_e32 v1, 1, v0
	v_cmp_le_u32_e32 vcc, s22, v13
	s_nop 1
	v_cndmask_b32_e32 v0, v0, v1, vcc
.LBB36_11:
	v_cmp_ne_u32_e32 vcc, v8, v0
	s_cbranch_vccz .LBB36_14
; %bb.12:
	s_add_i32 s0, s12, s22
	s_lshl_b32 s0, s0, 6
	v_mul_hi_u32 v1, v0, s16
	s_add_i32 s0, s0, s21
	s_mov_b32 s1, s6
	v_add_u32_e32 v1, v1, v0
	s_lshl_b64 s[0:1], s[0:1], 3
	v_lshrrev_b32_e32 v1, s17, v1
	s_add_u32 s2, s10, s0
	v_mul_lo_u32 v13, v1, s18
	s_addc_u32 s3, s11, s1
	v_cmp_eq_u32_e32 vcc, v13, v0
	v_cmp_gt_u32_e64 s[0:1], s19, v1
	s_or_b64 s[0:1], s[0:1], vcc
	s_and_b64 vcc, exec, s[0:1]
	s_cbranch_vccnz .LBB36_16
; %bb.13:
	s_add_i32 s7, s12, -1
	s_mov_b64 s[0:1], 0
	s_branch .LBB36_17
.LBB36_14:
                                        ; implicit-def: $sgpr0_sgpr1
                                        ; implicit-def: $vgpr14
                                        ; implicit-def: $vgpr1
                                        ; implicit-def: $vgpr13
                                        ; implicit-def: $sgpr7
                                        ; implicit-def: $vgpr0
	s_branch .LBB36_18
.LBB36_15:
                                        ; implicit-def: $vgpr0_vgpr1
	s_branch .LBB36_10
.LBB36_16:
	s_mov_b64 s[0:1], -1
	s_mov_b32 s7, s12
	v_mov_b32_e32 v0, v8
.LBB36_17:
	s_mul_i32 s20, s12, 0x1c00
	v_add_u32_e32 v14, s20, v4
	v_ashrrev_i32_e32 v15, 31, v14
	v_lshl_add_u64 v[14:15], v[14:15], 2, s[4:5]
	global_load_dword v14, v[14:15], off
	s_load_dwordx2 s[2:3], s[2:3], 0x0
	v_max_f32_e32 v1, v7, v7
	s_waitcnt lgkmcnt(0)
	v_max_f32_e64 v13, s2, s2
	v_max_f32_e32 v1, v1, v13
	v_sub_f32_e32 v13, v7, v1
	v_sub_f32_e32 v15, s2, v1
	v_mul_f32_e32 v16, 0x3fb8aa3b, v13
	v_mul_f32_e32 v17, 0x3fb8aa3b, v15
	v_fma_f32 v18, v13, s8, -v16
	v_rndne_f32_e32 v19, v16
	v_fma_f32 v20, v15, s8, -v17
	v_rndne_f32_e32 v21, v17
	v_fmac_f32_e32 v18, 0x32a5705f, v13
	v_sub_f32_e32 v16, v16, v19
	v_fmac_f32_e32 v20, 0x32a5705f, v15
	v_sub_f32_e32 v17, v17, v21
	v_add_f32_e32 v16, v16, v18
	v_cvt_i32_f32_e32 v19, v19
	v_add_f32_e32 v17, v17, v20
	v_exp_f32_e32 v16, v16
	v_cvt_i32_f32_e32 v21, v21
	v_exp_f32_e32 v17, v17
	v_cmp_ngt_f32_e32 vcc, s9, v13
	v_ldexp_f32 v16, v16, v19
	v_ldexp_f32 v17, v17, v21
	v_cndmask_b32_e32 v16, 0, v16, vcc
	v_cmp_ngt_f32_e32 vcc, s9, v15
	s_nop 1
	v_cndmask_b32_e32 v17, 0, v17, vcc
	v_cmp_nlt_f32_e32 vcc, s13, v13
	s_nop 1
	v_cndmask_b32_e32 v16, v12, v16, vcc
	v_cmp_nlt_f32_e32 vcc, s13, v15
	s_nop 1
	v_cndmask_b32_e32 v17, v12, v17, vcc
	v_cmp_le_f32_e32 vcc, s14, v13
	s_nop 1
	v_cndmask_b32_e32 v16, 0, v16, vcc
	v_cmp_le_f32_e32 vcc, s14, v15
	s_nop 1
	v_cndmask_b32_e32 v15, 0, v17, vcc
	v_mul_f32_e32 v13, s3, v15
	v_fmac_f32_e32 v13, v6, v16
	s_waitcnt vmcnt(0)
	v_mul_f32_e32 v14, v14, v15
	v_fmac_f32_e32 v14, v5, v16
	s_cbranch_execnz .LBB36_19
.LBB36_18:
	s_add_i32 s7, s12, -1
	s_mov_b64 s[0:1], 0
	v_mov_b32_e32 v0, v8
	v_mov_b32_e32 v13, v6
	v_mov_b32_e32 v1, v7
	s_waitcnt vmcnt(0)
	v_mov_b32_e32 v14, v5
.LBB36_19:
	s_andn2_b64 vcc, exec, s[0:1]
	s_cbranch_vccz .LBB36_23
; %bb.20:
	v_mov_b32_e32 v8, v0
	s_mov_b32 s12, s7
	v_mov_b32_e32 v6, v13
	v_mov_b32_e32 v7, v1
	s_waitcnt vmcnt(0)
	v_mov_b32_e32 v5, v14
	s_mul_hi_i32 s7, s12, s15
	s_cmp_lg_u64 s[6:7], 0
	s_mul_i32 s2, s12, s15
	s_cbranch_scc1 .LBB36_9
	s_branch .LBB36_15
.LBB36_21:
                                        ; implicit-def: $sgpr20_sgpr21
	s_load_dwordx4 s[16:19], s[0:1], 0x44
	s_branch .LBB36_2
.LBB36_22:
                                        ; implicit-def: $vgpr2_vgpr3
	s_branch .LBB36_5
.LBB36_23:
	v_div_scale_f32 v0, s[0:1], v13, v13, v14
	v_rcp_f32_e32 v1, v0
	v_div_scale_f32 v4, vcc, v14, v13, v14
	s_waitcnt vmcnt(0)
	v_fma_f32 v5, -v0, v1, 1.0
	v_fmac_f32_e32 v1, v5, v1
	v_mul_f32_e32 v5, v4, v1
	v_fma_f32 v6, -v0, v5, v4
	v_fmac_f32_e32 v5, v6, v1
	v_fma_f32 v0, -v0, v5, v4
	v_div_fmas_f32 v0, v0, v1, v5
	v_div_fixup_f32 v0, v0, v13, v14
	global_store_dword v[2:3], v0, off
.LBB36_24:
	s_endpgm
	.section	.rodata,"a",@progbits
	.p2align	6, 0x0
	.amdhsa_kernel _ZL33flash_attn_stream_k_fixup_generalILi112ELi32ELi2EEvPfPK15HIP_vector_typeIfLj2EEiiiiS1_IjLj3EES5_S5_S5_
		.amdhsa_group_segment_fixed_size 0
		.amdhsa_private_segment_fixed_size 0
		.amdhsa_kernarg_size 336
		.amdhsa_user_sgpr_count 2
		.amdhsa_user_sgpr_dispatch_ptr 0
		.amdhsa_user_sgpr_queue_ptr 0
		.amdhsa_user_sgpr_kernarg_segment_ptr 1
		.amdhsa_user_sgpr_dispatch_id 0
		.amdhsa_user_sgpr_kernarg_preload_length 0
		.amdhsa_user_sgpr_kernarg_preload_offset 0
		.amdhsa_user_sgpr_private_segment_size 0
		.amdhsa_uses_dynamic_stack 0
		.amdhsa_enable_private_segment 0
		.amdhsa_system_sgpr_workgroup_id_x 1
		.amdhsa_system_sgpr_workgroup_id_y 1
		.amdhsa_system_sgpr_workgroup_id_z 1
		.amdhsa_system_sgpr_workgroup_info 0
		.amdhsa_system_vgpr_workitem_id 0
		.amdhsa_next_free_vgpr 22
		.amdhsa_next_free_sgpr 32
		.amdhsa_accum_offset 24
		.amdhsa_reserve_vcc 1
		.amdhsa_float_round_mode_32 0
		.amdhsa_float_round_mode_16_64 0
		.amdhsa_float_denorm_mode_32 3
		.amdhsa_float_denorm_mode_16_64 3
		.amdhsa_dx10_clamp 1
		.amdhsa_ieee_mode 1
		.amdhsa_fp16_overflow 0
		.amdhsa_tg_split 0
		.amdhsa_exception_fp_ieee_invalid_op 0
		.amdhsa_exception_fp_denorm_src 0
		.amdhsa_exception_fp_ieee_div_zero 0
		.amdhsa_exception_fp_ieee_overflow 0
		.amdhsa_exception_fp_ieee_underflow 0
		.amdhsa_exception_fp_ieee_inexact 0
		.amdhsa_exception_int_div_zero 0
	.end_amdhsa_kernel
	.section	.text._ZL33flash_attn_stream_k_fixup_generalILi112ELi32ELi2EEvPfPK15HIP_vector_typeIfLj2EEiiiiS1_IjLj3EES5_S5_S5_,"axG",@progbits,_ZL33flash_attn_stream_k_fixup_generalILi112ELi32ELi2EEvPfPK15HIP_vector_typeIfLj2EEiiiiS1_IjLj3EES5_S5_S5_,comdat
.Lfunc_end36:
	.size	_ZL33flash_attn_stream_k_fixup_generalILi112ELi32ELi2EEvPfPK15HIP_vector_typeIfLj2EEiiiiS1_IjLj3EES5_S5_S5_, .Lfunc_end36-_ZL33flash_attn_stream_k_fixup_generalILi112ELi32ELi2EEvPfPK15HIP_vector_typeIfLj2EEiiiiS1_IjLj3EES5_S5_S5_
                                        ; -- End function
	.section	.AMDGPU.csdata,"",@progbits
; Kernel info:
; codeLenInByte = 2868
; NumSgprs: 38
; NumVgprs: 22
; NumAgprs: 0
; TotalNumVgprs: 22
; ScratchSize: 0
; MemoryBound: 0
; FloatMode: 240
; IeeeMode: 1
; LDSByteSize: 0 bytes/workgroup (compile time only)
; SGPRBlocks: 4
; VGPRBlocks: 2
; NumSGPRsForWavesPerEU: 38
; NumVGPRsForWavesPerEU: 22
; AccumOffset: 24
; Occupancy: 8
; WaveLimiterHint : 0
; COMPUTE_PGM_RSRC2:SCRATCH_EN: 0
; COMPUTE_PGM_RSRC2:USER_SGPR: 2
; COMPUTE_PGM_RSRC2:TRAP_HANDLER: 0
; COMPUTE_PGM_RSRC2:TGID_X_EN: 1
; COMPUTE_PGM_RSRC2:TGID_Y_EN: 1
; COMPUTE_PGM_RSRC2:TGID_Z_EN: 1
; COMPUTE_PGM_RSRC2:TIDIG_COMP_CNT: 0
; COMPUTE_PGM_RSRC3_GFX90A:ACCUM_OFFSET: 5
; COMPUTE_PGM_RSRC3_GFX90A:TG_SPLIT: 0
	.section	.text._ZL15flash_attn_tileILi112ELi112ELi16ELi2ELb0EEvPKcS1_S1_S1_S1_PKiPfP15HIP_vector_typeIfLj2EEffffjfiS5_IjLj3EEiiiiiiiiiiiliiliiiiil,"axG",@progbits,_ZL15flash_attn_tileILi112ELi112ELi16ELi2ELb0EEvPKcS1_S1_S1_S1_PKiPfP15HIP_vector_typeIfLj2EEffffjfiS5_IjLj3EEiiiiiiiiiiiliiliiiiil,comdat
	.globl	_ZL15flash_attn_tileILi112ELi112ELi16ELi2ELb0EEvPKcS1_S1_S1_S1_PKiPfP15HIP_vector_typeIfLj2EEffffjfiS5_IjLj3EEiiiiiiiiiiiliiliiiiil ; -- Begin function _ZL15flash_attn_tileILi112ELi112ELi16ELi2ELb0EEvPKcS1_S1_S1_S1_PKiPfP15HIP_vector_typeIfLj2EEffffjfiS5_IjLj3EEiiiiiiiiiiiliiliiiiil
	.p2align	8
	.type	_ZL15flash_attn_tileILi112ELi112ELi16ELi2ELb0EEvPKcS1_S1_S1_S1_PKiPfP15HIP_vector_typeIfLj2EEffffjfiS5_IjLj3EEiiiiiiiiiiiliiliiiiil,@function
_ZL15flash_attn_tileILi112ELi112ELi16ELi2ELb0EEvPKcS1_S1_S1_S1_PKiPfP15HIP_vector_typeIfLj2EEffffjfiS5_IjLj3EEiiiiiiiiiiiliiliiiiil: ; @_ZL15flash_attn_tileILi112ELi112ELi16ELi2ELb0EEvPKcS1_S1_S1_S1_PKiPfP15HIP_vector_typeIfLj2EEffffjfiS5_IjLj3EEiiiiiiiiiiiliiliiiiil
; %bb.0:
	s_load_dwordx4 s[52:55], s[0:1], 0x5c
	s_load_dwordx2 s[56:57], s[0:1], 0x80
	s_load_dwordx16 s[36:51], s[0:1], 0x0
	s_mov_b64 s[58:59], 0
	s_waitcnt lgkmcnt(0)
	s_lshr_b32 s5, s55, 31
	s_add_i32 s5, s55, s5
	s_ashr_i32 s5, s5, 1
	v_cvt_f32_u32_e32 v1, s5
	s_sub_i32 s6, 0, s5
	v_rcp_iflag_f32_e32 v1, v1
	s_nop 0
	v_mul_f32_e32 v1, 0x4f7ffffe, v1
	v_cvt_u32_f32_e32 v1, v1
	s_nop 0
	v_readfirstlane_b32 s7, v1
	s_mul_i32 s6, s6, s7
	s_mul_hi_u32 s6, s7, s6
	s_add_i32 s7, s7, s6
	s_mul_hi_u32 s6, s4, s7
	s_mul_i32 s7, s6, s5
	s_sub_i32 s7, s4, s7
	s_add_i32 s8, s6, 1
	s_sub_i32 s9, s7, s5
	s_cmp_ge_u32 s7, s5
	s_cselect_b32 s6, s8, s6
	s_cselect_b32 s7, s9, s7
	s_add_i32 s8, s6, 1
	s_cmp_ge_u32 s7, s5
	s_cselect_b32 s60, s8, s6
	s_abs_i32 s5, s57
	v_cvt_f32_u32_e32 v1, s5
	s_lshl_b32 s4, s4, 1
	s_mul_i32 s8, s60, s55
	s_sub_i32 s9, 0, s5
	v_rcp_iflag_f32_e32 v1, v1
	s_sub_i32 s34, s4, s8
	s_abs_i32 s7, s55
	s_xor_b32 s6, s55, s57
	v_mul_f32_e32 v1, 0x4f7ffffe, v1
	v_cvt_u32_f32_e32 v1, v1
	s_ashr_i32 s6, s6, 31
	v_readfirstlane_b32 s4, v1
	s_mul_i32 s9, s9, s4
	s_mul_hi_u32 s8, s4, s9
	s_add_i32 s4, s4, s8
	s_mul_hi_u32 s4, s7, s4
	s_mul_i32 s8, s4, s5
	s_sub_i32 s7, s7, s8
	s_add_i32 s9, s4, 1
	s_sub_i32 s8, s7, s5
	s_cmp_ge_u32 s7, s5
	s_cselect_b32 s4, s9, s4
	s_cselect_b32 s7, s8, s7
	s_add_i32 s8, s4, 1
	s_cmp_ge_u32 s7, s5
	s_cselect_b32 s4, s8, s4
	s_xor_b32 s4, s4, s6
	s_sub_i32 s15, s4, s6
	s_abs_i32 s14, s15
	v_cvt_f32_u32_e32 v1, s14
	s_load_dwordx2 s[4:5], s[0:1], 0xb8
	s_cmp_eq_u64 s[42:43], 0
	v_rcp_iflag_f32_e32 v1, v1
	s_nop 0
	v_mul_f32_e32 v1, 0x4f7ffffe, v1
	v_cvt_u32_f32_e32 v1, v1
	s_nop 0
	v_readfirstlane_b32 s16, v1
	s_cbranch_scc1 .LBB37_2
; %bb.1:
	s_waitcnt lgkmcnt(0)
	s_abs_i32 s4, s4
	v_cvt_f32_u32_e32 v1, s4
	s_sub_i32 s10, 0, s4
	s_abs_i32 s9, s60
	s_ashr_i32 s8, s60, 31
	v_rcp_iflag_f32_e32 v1, v1
	s_load_dwordx2 s[6:7], s[0:1], 0xc8
	v_mul_f32_e32 v1, 0x4f7ffffe, v1
	v_cvt_u32_f32_e32 v1, v1
	s_nop 0
	v_readfirstlane_b32 s11, v1
	s_mul_i32 s10, s10, s11
	s_mul_hi_u32 s10, s11, s10
	s_add_i32 s11, s11, s10
	s_mul_hi_u32 s10, s9, s11
	s_mul_i32 s10, s10, s4
	s_sub_i32 s9, s9, s10
	s_sub_i32 s10, s9, s4
	s_cmp_ge_u32 s9, s4
	s_cselect_b32 s9, s10, s9
	s_sub_i32 s10, s9, s4
	s_cmp_ge_u32 s9, s4
	s_cselect_b32 s4, s10, s9
	s_xor_b32 s4, s4, s8
	s_sub_i32 s4, s4, s8
	s_ashr_i32 s8, s4, 31
	s_waitcnt lgkmcnt(0)
	s_mul_i32 s7, s4, s7
	s_mul_hi_u32 s9, s4, s6
	s_add_i32 s7, s9, s7
	s_mul_i32 s8, s8, s6
	s_add_i32 s7, s7, s8
	s_mul_i32 s4, s4, s6
	s_add_u32 s58, s42, s4
	s_addc_u32 s59, s43, s7
.LBB37_2:
	s_load_dwordx4 s[20:23], s[0:1], 0x70
	s_waitcnt lgkmcnt(0)
	s_load_dword s4, s[0:1], 0x40
	s_lshl_b32 s33, s2, 4
	v_and_b32_e32 v98, 0x3ff, v0
	v_bfe_u32 v99, v0, 10, 10
	s_mul_i32 s6, s60, s22
	s_ashr_i32 s8, s6, 31
	s_mul_i32 s7, s34, s21
	s_add_u32 s6, s36, s6
	s_addc_u32 s8, s37, s8
	s_ashr_i32 s9, s7, 31
	s_add_u32 s6, s6, s7
	s_addc_u32 s7, s8, s9
	s_ashr_i32 s9, s21, 31
	s_mov_b32 s8, s21
	s_ashr_i32 s21, s20, 31
	v_lshlrev_b32_e32 v68, 2, v98
	v_cmp_gt_u32_e64 s[30:31], 28, v98
	s_lshr_b64 s[8:9], s[8:9], 2
	s_lshr_b64 s[10:11], s[20:21], 2
	v_lshlrev_b32_e32 v2, 1, v98
	v_lshl_add_u32 v4, v99, 1, s33
	v_lshlrev_b32_e32 v0, 2, v68
	s_and_saveexec_b64 s[12:13], s[30:31]
	s_cbranch_execz .LBB37_4
; %bb.3:
	v_mul_hi_u32 v1, v4, s52
	v_add_u32_e32 v1, v4, v1
	v_lshrrev_b32_e32 v1, s53, v1
	v_mul_lo_u32 v1, v1, s54
	v_sub_u32_e32 v1, v4, v1
	v_mad_u64_u32 v[6:7], s[18:19], s10, v1, 0
	v_mov_b32_e32 v8, v7
	v_mad_u64_u32 v[8:9], s[18:19], s11, v1, v[8:9]
	s_lshl_b64 s[18:19], s[8:9], 2
	v_mov_b32_e32 v7, v8
	s_add_u32 s18, s6, s18
	v_lshlrev_b64 v[6:7], 2, v[6:7]
	s_addc_u32 s19, s7, s19
	v_lshl_add_u64 v[8:9], s[6:7], 0, v[6:7]
	v_mov_b32_e32 v1, 0
	v_lshl_add_u64 v[10:11], s[18:19], 0, v[6:7]
	v_lshl_add_u64 v[8:9], v[8:9], 0, v[0:1]
	v_lshl_add_u64 v[10:11], v[10:11], 0, v[0:1]
	global_load_dwordx4 v[6:9], v[8:9], off
	v_mul_u32_u24_e32 v1, 0xe0, v99
	global_load_dwordx4 v[10:13], v[10:11], off
	v_add_lshl_u32 v1, v1, v2, 2
	s_waitcnt vmcnt(1) lgkmcnt(0)
	v_pk_mul_f32 v[6:7], v[6:7], s[4:5] op_sel_hi:[1,0]
	v_pk_mul_f32 v[8:9], v[8:9], s[4:5] op_sel_hi:[1,0]
	s_waitcnt vmcnt(0)
	v_pk_mul_f32 v[10:11], v[10:11], s[4:5] op_sel_hi:[1,0]
	v_pk_mul_f32 v[12:13], v[12:13], s[4:5] op_sel_hi:[1,0]
	v_cvt_f16_f32_e32 v3, v7
	v_cvt_f16_f32_e32 v5, v6
	;; [unrolled: 1-line block ×8, first 2 shown]
	v_pack_b32_f16 v7, v7, v6
	v_pack_b32_f16 v6, v5, v3
	;; [unrolled: 1-line block ×4, first 2 shown]
	ds_write2_b64 v1, v[6:7], v[8:9] offset1:28
.LBB37_4:
	s_or_b64 exec, exec, s[12:13]
	v_lshlrev_b32_e32 v5, 2, v99
	v_or_b32_e32 v3, 2, v5
	v_lshrrev_b32_e32 v87, 1, v3
	s_and_saveexec_b64 s[12:13], s[30:31]
	s_cbranch_execz .LBB37_6
; %bb.5:
	v_add_u32_e32 v1, s33, v87
	v_mul_hi_u32 v6, v1, s52
	v_add_u32_e32 v6, v1, v6
	v_lshrrev_b32_e32 v6, s53, v6
	v_mul_lo_u32 v6, v6, s54
	v_sub_u32_e32 v1, v1, v6
	v_mad_u64_u32 v[6:7], s[18:19], s10, v1, 0
	v_mov_b32_e32 v8, v7
	v_mad_u64_u32 v[8:9], s[18:19], s11, v1, v[8:9]
	v_mov_b32_e32 v7, v8
	v_lshl_add_u64 v[6:7], v[6:7], 2, s[6:7]
	v_mov_b32_e32 v1, 0
	v_lshl_add_u64 v[6:7], v[6:7], 0, v[0:1]
	global_load_dwordx4 v[6:9], v[6:7], off
	v_mul_u32_u24_e32 v3, 56, v3
	v_add_lshl_u32 v3, v3, v2, 2
	s_waitcnt vmcnt(0) lgkmcnt(0)
	v_pk_mul_f32 v[6:7], v[6:7], s[4:5] op_sel_hi:[1,0]
	v_pk_mul_f32 v[8:9], v[8:9], s[4:5] op_sel_hi:[1,0]
	v_cvt_f16_f32_e32 v1, v7
	v_cvt_f16_f32_e32 v7, v9
	;; [unrolled: 1-line block ×4, first 2 shown]
	v_pack_b32_f16 v7, v8, v7
	v_pack_b32_f16 v6, v6, v1
	ds_write_b64 v3, v[6:7]
.LBB37_6:
	s_or_b64 exec, exec, s[12:13]
	v_or_b32_e32 v69, 3, v5
	s_and_saveexec_b64 s[12:13], s[30:31]
	s_cbranch_execz .LBB37_8
; %bb.7:
	v_lshrrev_b32_e32 v1, 1, v69
	v_add_u32_e32 v1, s33, v1
	v_mul_hi_u32 v3, v1, s52
	v_add_u32_e32 v3, v1, v3
	v_lshrrev_b32_e32 v3, s53, v3
	v_mul_lo_u32 v3, v3, s54
	v_sub_u32_e32 v1, v1, v3
	v_mad_u64_u32 v[6:7], s[18:19], s10, v1, 0
	v_mov_b32_e32 v8, v7
	s_lshl_b64 s[8:9], s[8:9], 2
	v_mad_u64_u32 v[8:9], s[10:11], s11, v1, v[8:9]
	s_add_u32 s6, s6, s8
	v_mov_b32_e32 v7, v8
	s_addc_u32 s7, s7, s9
	v_lshl_add_u64 v[6:7], v[6:7], 2, s[6:7]
	v_mov_b32_e32 v1, 0
	v_lshl_add_u64 v[0:1], v[6:7], 0, v[0:1]
	global_load_dwordx4 v[6:9], v[0:1], off
	s_waitcnt vmcnt(0) lgkmcnt(0)
	v_pk_mul_f32 v[0:1], v[6:7], s[4:5] op_sel_hi:[1,0]
	v_pk_mul_f32 v[6:7], v[8:9], s[4:5] op_sel_hi:[1,0]
	v_cvt_f16_f32_e32 v3, v1
	v_cvt_f16_f32_e32 v1, v7
	;; [unrolled: 1-line block ×4, first 2 shown]
	v_mul_u32_u24_e32 v7, 56, v69
	v_add_lshl_u32 v2, v7, v2, 2
	v_pack_b32_f16 v1, v6, v1
	v_pack_b32_f16 v0, v0, v3
	ds_write_b64 v2, v[0:1]
.LBB37_8:
	s_or_b64 exec, exec, s[12:13]
	s_cmp_eq_u64 s[46:47], 0
	s_waitcnt lgkmcnt(0)
	s_barrier
	s_cbranch_scc1 .LBB37_10
; %bb.9:
	s_load_dword s4, s[0:1], 0xd0
	s_mov_b32 s7, 0
	s_waitcnt lgkmcnt(0)
	s_mul_i32 s4, s4, s60
	s_add_i32 s6, s4, s2
	s_lshl_b64 s[6:7], s[6:7], 2
	s_add_u32 s6, s46, s6
	s_addc_u32 s7, s47, s7
	s_load_dword s56, s[6:7], 0x0
.LBB37_10:
	s_lshl_b32 s35, s3, 5
	s_waitcnt lgkmcnt(0)
	s_cmp_lt_i32 s35, s56
	v_mbcnt_lo_u32_b32 v6, -1, 0
	s_cbranch_scc1 .LBB37_12
; %bb.11:
	v_mbcnt_hi_u32_b32 v107, -1, v6
	v_and_b32_e32 v0, 0x60, v107
	s_mov_b32 s2, 0
	v_add_u32_e32 v123, 32, v0
	v_xor_b32_e32 v125, 16, v107
	v_xor_b32_e32 v126, 8, v107
	v_xor_b32_e32 v127, 4, v107
	v_xor_b32_e32 v124, 2, v107
	v_xor_b32_e32 v122, 1, v107
	s_mov_b64 s[6:7], 0
	s_mov_b32 s4, 0xfeffffff
	s_branch .LBB37_13
.LBB37_12:
	s_mov_b64 s[6:7], -1
                                        ; implicit-def: $sgpr4
                                        ; implicit-def: $sgpr2
                                        ; implicit-def: $vgpr107
                                        ; implicit-def: $vgpr123
                                        ; implicit-def: $vgpr125
                                        ; implicit-def: $vgpr126
                                        ; implicit-def: $vgpr127
                                        ; implicit-def: $vgpr124
                                        ; implicit-def: $vgpr122
.LBB37_13:
	s_andn2_b64 vcc, exec, s[6:7]
	v_mov_b32_e32 v3, s4
	v_mov_b32_e32 v71, s2
	;; [unrolled: 1-line block ×16, first 2 shown]
	s_cbranch_vccnz .LBB37_41
; %bb.14:
	s_load_dwordx2 s[6:7], s[0:1], 0x8c
	s_load_dwordx4 s[8:11], s[0:1], 0x98
	s_sub_i32 s2, 0, s14
	s_mul_i32 s2, s2, s16
	s_mul_hi_u32 s2, s16, s2
	s_waitcnt lgkmcnt(0)
	s_ashr_i32 s43, s6, 2
	s_ashr_i32 s42, s10, 2
	;; [unrolled: 1-line block ×4, first 2 shown]
	s_mul_i32 s6, s60, s9
	s_mul_hi_u32 s9, s60, s8
	s_abs_i32 s4, s34
	s_add_i32 s16, s16, s2
	s_add_i32 s6, s9, s6
	s_mul_i32 s9, s5, s8
	s_mul_hi_u32 s2, s4, s16
	s_ashr_i32 s16, s34, 31
	s_ashr_i32 s15, s15, 31
	s_add_i32 s6, s6, s9
	s_mul_i32 s8, s60, s8
	s_add_u32 s8, s38, s8
	s_addc_u32 s6, s39, s6
	s_xor_b32 s9, s16, s15
	s_mul_i32 s15, s2, s14
	v_lshl_add_u32 v0, v99, 5, v98
	s_sub_i32 s4, s4, s15
	v_cmp_gt_u32_e32 vcc, 32, v0
	v_lshrrev_b32_e32 v1, 1, v98
	v_lshrrev_b32_e32 v2, 2, v98
	v_mul_lo_u32 v74, s43, v0
	v_and_b32_e32 v0, 4, v68
	s_add_i32 s15, s2, 1
	s_sub_i32 s16, s4, s14
	v_lshl_add_u32 v1, v99, 4, v1
	v_lshl_add_u32 v3, v99, 3, v2
	v_lshlrev_b32_e32 v2, 7, v98
	v_lshlrev_b32_e32 v7, 2, v0
	s_cmp_ge_u32 s4, s14
	v_add_u32_e32 v109, 0x1c00, v2
	v_add_u32_e32 v111, 0x1c60, v2
	v_lshl_or_b32 v2, v1, 7, v7
	s_cselect_b32 s2, s15, s2
	v_add_u32_e32 v112, 0x1c40, v2
	v_and_b32_e32 v2, 12, v68
	s_cselect_b32 s4, s16, s4
	s_add_i32 s15, s2, 1
	v_lshlrev_b32_e32 v8, 2, v2
	s_cmp_ge_u32 s4, s14
	v_lshl_or_b32 v9, v3, 7, v8
	s_cselect_b32 s2, s15, s2
	v_add_u32_e32 v113, 0x1c00, v9
	v_mul_hi_u32 v9, s52, v4
	s_load_dwordx2 s[12:13], s[0:1], 0xa8
	s_xor_b32 s2, s2, s9
	v_add_u32_e32 v9, v4, v9
	s_sub_i32 s2, s2, s9
	v_lshrrev_b32_e32 v9, s53, v9
	s_mul_i32 s4, s2, s7
	v_mul_lo_u32 v9, v9, s54
	s_ashr_i32 s7, s4, 31
	v_sub_u32_e32 v9, v4, v9
	v_add_u32_e32 v4, 1, v4
	s_add_u32 s46, s8, s4
	v_mul_lo_u32 v114, v9, s10
	v_mul_hi_u32 v9, s52, v4
	s_addc_u32 s47, s6, s7
	s_waitcnt lgkmcnt(0)
	s_mul_i32 s4, s60, s13
	s_mul_hi_u32 s6, s60, s12
	v_add_u32_e32 v9, v4, v9
	s_add_i32 s4, s6, s4
	s_mul_i32 s5, s5, s12
	v_lshrrev_b32_e32 v9, s53, v9
	s_add_i32 s4, s4, s5
	s_mul_i32 s5, s60, s12
	v_mul_lo_u32 v9, v9, s54
	s_add_u32 s5, s40, s5
	s_mul_i32 s2, s2, s11
	v_sub_u32_e32 v4, v4, v9
	s_addc_u32 s4, s41, s4
	s_ashr_i32 s6, s2, 31
	v_mul_lo_u32 v115, v4, s10
	v_mov_b32_e32 v4, 0x2c40
	s_add_u32 s57, s5, s2
	v_lshl_add_u32 v116, v99, 8, v4
	v_lshrrev_b32_e32 v4, 3, v98
	s_addc_u32 s61, s4, s6
	v_cmp_gt_u32_e64 s[4:5], 32, v1
	v_mul_lo_u32 v76, s43, v1
	v_cmp_gt_u32_e64 s[8:9], 16, v1
	v_add_u32_e32 v4, v5, v4
	v_mul_u32_u24_e32 v5, 0xe0, v1
	v_mul_lo_u32 v82, s42, v1
	v_mul_u32_u24_e32 v1, 0xe0, v3
	s_movk_i32 s14, 0x1c80
	v_and_b32_e32 v86, 28, v68
	v_cmp_gt_u32_e64 s[6:7], 32, v3
	s_movk_i32 s2, 0x1c00
	v_mov_b32_e32 v79, 0
	v_mul_lo_u32 v80, s43, v3
	v_cmp_gt_u32_e64 s[10:11], 16, v3
	v_or_b32_e32 v5, v5, v7
	v_add3_u32 v119, v1, v8, s14
	v_mul_lo_u32 v84, s42, v3
	v_mul_u32_u24_e32 v1, 0xe0, v4
	v_lshlrev_b32_e32 v3, 2, v86
	v_mul_lo_u32 v88, s42, v4
	s_add_u32 s36, s0, 0xd0
	v_mul_u32_u24_e32 v110, 0x380, v99
	v_ashrrev_i32_e32 v75, 31, v74
	v_ashrrev_i32_e32 v77, 31, v76
	;; [unrolled: 1-line block ×3, first 2 shown]
	v_lshlrev_b32_e32 v117, 3, v98
	v_cmp_gt_u32_e64 s[12:13], 16, v4
	v_add_u32_e32 v118, 0x1cc0, v5
	v_ashrrev_i32_e32 v83, 31, v82
	v_ashrrev_i32_e32 v85, 31, v84
	v_add3_u32 v120, v1, v3, s2
	v_ashrrev_i32_e32 v89, 31, v88
	s_addc_u32 s37, s1, 0
	v_mov_b32_e32 v10, 0xfeffffff
	v_mbcnt_hi_u32_b32 v107, -1, v6
	s_mov_b32 s2, 0x40051340
	s_mov_b32 s52, 0x3fb8aa3b
	;; [unrolled: 1-line block ×4, first 2 shown]
	v_lshlrev_b32_e32 v78, 2, v0
	v_lshlrev_b32_e32 v90, 2, v2
	v_mov_b32_e32 v121, 0x7f800000
	v_mov_b32_e32 v100, v79
	;; [unrolled: 1-line block ×16, first 2 shown]
.LBB37_15:                              ; =>This Inner Loop Header: Depth=1
	s_mul_hi_i32 s15, s35, s43
	s_mul_i32 s14, s35, s43
	s_lshl_b64 s[14:15], s[14:15], 2
	s_add_u32 s14, s46, s14
	s_addc_u32 s15, s47, s15
	v_lshl_add_u64 v[8:9], v[74:75], 2, s[14:15]
	s_and_saveexec_b64 s[16:17], vcc
	s_cbranch_execnz .LBB37_33
; %bb.16:                               ;   in Loop: Header=BB37_15 Depth=1
	s_or_b64 exec, exec, s[16:17]
	v_lshl_add_u64 v[4:5], v[76:77], 2, s[14:15]
	s_and_saveexec_b64 s[16:17], s[4:5]
	s_cbranch_execnz .LBB37_34
.LBB37_17:                              ;   in Loop: Header=BB37_15 Depth=1
	s_or_b64 exec, exec, s[16:17]
	v_lshl_add_u64 v[6:7], v[80:81], 2, s[14:15]
	s_and_saveexec_b64 s[14:15], s[6:7]
	s_cbranch_execz .LBB37_19
.LBB37_18:                              ;   in Loop: Header=BB37_15 Depth=1
	v_mov_b32_e32 v91, v79
	v_lshl_add_u64 v[0:1], v[6:7], 0, v[90:91]
	global_load_dwordx4 v[0:3], v[0:1], off
	s_waitcnt vmcnt(0)
	ds_write_b128 v113, v[0:3]
.LBB37_19:                              ;   in Loop: Header=BB37_15 Depth=1
	s_or_b64 exec, exec, s[14:15]
	s_waitcnt lgkmcnt(0)
	s_barrier
	ds_read_b128 v[14:17], v109
	ds_read_b128 v[18:21], v110
	ds_read_b128 v[22:25], v110 offset:224
	ds_read_b128 v[26:29], v110 offset:448
	;; [unrolled: 1-line block ×3, first 2 shown]
	v_mov_b32_e32 v0, 0
	s_waitcnt lgkmcnt(3)
	;;#ASMSTART
	v_dot2_f32_f16 v0, v14, v18, v0
	;;#ASMEND
	v_mov_b32_e32 v1, 0
	;;#ASMSTART
	v_dot2_f32_f16 v0, v15, v19, v0
	;;#ASMEND
	v_mov_b32_e32 v2, 0
	;; [unrolled: 4-line block ×3, first 2 shown]
	;;#ASMSTART
	v_dot2_f32_f16 v0, v17, v21, v0
	;;#ASMEND
	s_waitcnt lgkmcnt(2)
	;;#ASMSTART
	v_dot2_f32_f16 v1, v14, v22, v1
	;;#ASMEND
	s_nop 0
	;;#ASMSTART
	v_dot2_f32_f16 v1, v15, v23, v1
	;;#ASMEND
	s_nop 0
	;;#ASMSTART
	v_dot2_f32_f16 v1, v16, v24, v1
	;;#ASMEND
	s_nop 0
	;;#ASMSTART
	v_dot2_f32_f16 v1, v17, v25, v1
	;;#ASMEND
	s_waitcnt lgkmcnt(1)
	;;#ASMSTART
	v_dot2_f32_f16 v2, v14, v26, v2
	;;#ASMEND
	s_nop 0
	;;#ASMSTART
	v_dot2_f32_f16 v2, v15, v27, v2
	;;#ASMEND
	s_nop 0
	;;#ASMSTART
	v_dot2_f32_f16 v2, v16, v28, v2
	;;#ASMEND
	s_nop 0
	;; [unrolled: 16-line block ×3, first 2 shown]
	;;#ASMSTART
	v_dot2_f32_f16 v3, v17, v33, v3
	;;#ASMEND
	ds_read_b128 v[14:17], v109 offset:16
	ds_read_b128 v[18:21], v110 offset:16
	;; [unrolled: 1-line block ×5, first 2 shown]
	s_waitcnt lgkmcnt(3)
	;;#ASMSTART
	v_dot2_f32_f16 v0, v14, v18, v0
	;;#ASMEND
	s_nop 0
	;;#ASMSTART
	v_dot2_f32_f16 v0, v15, v19, v0
	;;#ASMEND
	s_nop 0
	;;#ASMSTART
	v_dot2_f32_f16 v0, v16, v20, v0
	;;#ASMEND
	s_nop 0
	;;#ASMSTART
	v_dot2_f32_f16 v0, v17, v21, v0
	;;#ASMEND
	s_waitcnt lgkmcnt(2)
	;;#ASMSTART
	v_dot2_f32_f16 v1, v14, v22, v1
	;;#ASMEND
	s_nop 0
	;;#ASMSTART
	v_dot2_f32_f16 v1, v15, v23, v1
	;;#ASMEND
	s_nop 0
	;;#ASMSTART
	v_dot2_f32_f16 v1, v16, v24, v1
	;;#ASMEND
	s_nop 0
	;;#ASMSTART
	v_dot2_f32_f16 v1, v17, v25, v1
	;;#ASMEND
	;; [unrolled: 16-line block ×4, first 2 shown]
	ds_read_b128 v[14:17], v109 offset:32
	ds_read_b128 v[18:21], v110 offset:32
	;; [unrolled: 1-line block ×5, first 2 shown]
	s_waitcnt lgkmcnt(3)
	;;#ASMSTART
	v_dot2_f32_f16 v0, v14, v18, v0
	;;#ASMEND
	s_nop 0
	;;#ASMSTART
	v_dot2_f32_f16 v0, v15, v19, v0
	;;#ASMEND
	s_nop 0
	;;#ASMSTART
	v_dot2_f32_f16 v0, v16, v20, v0
	;;#ASMEND
	s_nop 0
	;;#ASMSTART
	v_dot2_f32_f16 v0, v17, v21, v0
	;;#ASMEND
	s_waitcnt lgkmcnt(2)
	;;#ASMSTART
	v_dot2_f32_f16 v1, v14, v22, v1
	;;#ASMEND
	s_nop 0
	;;#ASMSTART
	v_dot2_f32_f16 v1, v15, v23, v1
	;;#ASMEND
	s_nop 0
	;;#ASMSTART
	v_dot2_f32_f16 v1, v16, v24, v1
	;;#ASMEND
	s_nop 0
	;;#ASMSTART
	v_dot2_f32_f16 v1, v17, v25, v1
	;;#ASMEND
	;; [unrolled: 16-line block ×4, first 2 shown]
	ds_read_b128 v[14:17], v109 offset:48
	ds_read_b128 v[18:21], v110 offset:48
	;; [unrolled: 1-line block ×5, first 2 shown]
	s_waitcnt lgkmcnt(3)
	;;#ASMSTART
	v_dot2_f32_f16 v0, v14, v18, v0
	;;#ASMEND
	s_nop 0
	;;#ASMSTART
	v_dot2_f32_f16 v0, v15, v19, v0
	;;#ASMEND
	s_nop 0
	;;#ASMSTART
	v_dot2_f32_f16 v0, v16, v20, v0
	;;#ASMEND
	s_nop 0
	;;#ASMSTART
	v_dot2_f32_f16 v0, v17, v21, v0
	;;#ASMEND
	s_waitcnt lgkmcnt(2)
	;;#ASMSTART
	v_dot2_f32_f16 v1, v14, v22, v1
	;;#ASMEND
	s_nop 0
	;;#ASMSTART
	v_dot2_f32_f16 v1, v15, v23, v1
	;;#ASMEND
	s_nop 0
	;;#ASMSTART
	v_dot2_f32_f16 v1, v16, v24, v1
	;;#ASMEND
	s_nop 0
	;;#ASMSTART
	v_dot2_f32_f16 v1, v17, v25, v1
	;;#ASMEND
	;; [unrolled: 16-line block ×4, first 2 shown]
	ds_read_b128 v[14:17], v109 offset:64
	ds_read_b128 v[18:21], v110 offset:64
	;; [unrolled: 1-line block ×5, first 2 shown]
	s_waitcnt lgkmcnt(3)
	;;#ASMSTART
	v_dot2_f32_f16 v0, v14, v18, v0
	;;#ASMEND
	s_nop 0
	;;#ASMSTART
	v_dot2_f32_f16 v0, v15, v19, v0
	;;#ASMEND
	s_nop 0
	;;#ASMSTART
	v_dot2_f32_f16 v0, v16, v20, v0
	;;#ASMEND
	s_nop 0
	;;#ASMSTART
	v_dot2_f32_f16 v0, v17, v21, v0
	;;#ASMEND
	s_waitcnt lgkmcnt(2)
	;;#ASMSTART
	v_dot2_f32_f16 v1, v14, v22, v1
	;;#ASMEND
	s_nop 0
	;;#ASMSTART
	v_dot2_f32_f16 v1, v15, v23, v1
	;;#ASMEND
	s_nop 0
	;;#ASMSTART
	v_dot2_f32_f16 v1, v16, v24, v1
	;;#ASMEND
	s_nop 0
	;;#ASMSTART
	v_dot2_f32_f16 v1, v17, v25, v1
	;;#ASMEND
	;; [unrolled: 16-line block ×4, first 2 shown]
	ds_read_b128 v[14:17], v109 offset:80
	ds_read_b128 v[18:21], v110 offset:80
	;; [unrolled: 1-line block ×5, first 2 shown]
	s_waitcnt lgkmcnt(3)
	;;#ASMSTART
	v_dot2_f32_f16 v0, v14, v18, v0
	;;#ASMEND
	s_nop 0
	;;#ASMSTART
	v_dot2_f32_f16 v0, v15, v19, v0
	;;#ASMEND
	s_nop 0
	;;#ASMSTART
	v_dot2_f32_f16 v0, v16, v20, v0
	;;#ASMEND
	s_nop 0
	;;#ASMSTART
	v_dot2_f32_f16 v0, v17, v21, v0
	;;#ASMEND
	s_waitcnt lgkmcnt(2)
	;;#ASMSTART
	v_dot2_f32_f16 v1, v14, v22, v1
	;;#ASMEND
	s_nop 0
	;;#ASMSTART
	v_dot2_f32_f16 v1, v15, v23, v1
	;;#ASMEND
	s_nop 0
	;;#ASMSTART
	v_dot2_f32_f16 v1, v16, v24, v1
	;;#ASMEND
	s_nop 0
	;;#ASMSTART
	v_dot2_f32_f16 v1, v17, v25, v1
	;;#ASMEND
	;; [unrolled: 16-line block ×4, first 2 shown]
	ds_read_b128 v[14:17], v109 offset:96
	ds_read_b128 v[18:21], v110 offset:96
	;; [unrolled: 1-line block ×5, first 2 shown]
	s_waitcnt lgkmcnt(3)
	;;#ASMSTART
	v_dot2_f32_f16 v0, v14, v18, v0
	;;#ASMEND
	s_nop 0
	;;#ASMSTART
	v_dot2_f32_f16 v0, v15, v19, v0
	;;#ASMEND
	s_nop 0
	;;#ASMSTART
	v_dot2_f32_f16 v0, v16, v20, v0
	;;#ASMEND
	s_nop 0
	;;#ASMSTART
	v_dot2_f32_f16 v0, v17, v21, v0
	;;#ASMEND
	s_waitcnt lgkmcnt(2)
	;;#ASMSTART
	v_dot2_f32_f16 v1, v14, v22, v1
	;;#ASMEND
	s_nop 0
	;;#ASMSTART
	v_dot2_f32_f16 v1, v15, v23, v1
	;;#ASMEND
	s_nop 0
	;;#ASMSTART
	v_dot2_f32_f16 v1, v16, v24, v1
	;;#ASMEND
	s_nop 0
	;;#ASMSTART
	v_dot2_f32_f16 v1, v17, v25, v1
	;;#ASMEND
	;; [unrolled: 16-line block ×4, first 2 shown]
	s_barrier
	s_and_saveexec_b64 s[14:15], vcc
	s_cbranch_execnz .LBB37_35
; %bb.20:                               ;   in Loop: Header=BB37_15 Depth=1
	s_or_b64 exec, exec, s[14:15]
	s_and_saveexec_b64 s[14:15], s[4:5]
	s_cbranch_execnz .LBB37_36
.LBB37_21:                              ;   in Loop: Header=BB37_15 Depth=1
	s_or_b64 exec, exec, s[14:15]
	s_and_saveexec_b64 s[14:15], s[6:7]
	s_cbranch_execz .LBB37_23
.LBB37_22:                              ;   in Loop: Header=BB37_15 Depth=1
	v_mov_b32_e32 v91, v79
	v_lshl_add_u64 v[4:5], v[6:7], 0, v[90:91]
	global_load_dwordx4 v[4:7], v[4:5], off offset:112
	s_waitcnt vmcnt(0)
	ds_write_b128 v113, v[4:7]
.LBB37_23:                              ;   in Loop: Header=BB37_15 Depth=1
	s_or_b64 exec, exec, s[14:15]
	s_waitcnt lgkmcnt(0)
	s_barrier
	ds_read_b128 v[4:7], v109
	ds_read_b128 v[14:17], v110 offset:112
	ds_read_b128 v[18:21], v110 offset:336
	;; [unrolled: 1-line block ×4, first 2 shown]
	s_waitcnt lgkmcnt(3)
	;;#ASMSTART
	v_dot2_f32_f16 v0, v4, v14, v0
	;;#ASMEND
	s_nop 0
	;;#ASMSTART
	v_dot2_f32_f16 v0, v5, v15, v0
	;;#ASMEND
	v_xor_b32_e32 v125, 16, v107
	;;#ASMSTART
	v_dot2_f32_f16 v0, v6, v16, v0
	;;#ASMEND
	v_xor_b32_e32 v126, 8, v107
	;;#ASMSTART
	v_dot2_f32_f16 v0, v7, v17, v0
	;;#ASMEND
	s_waitcnt lgkmcnt(2)
	;;#ASMSTART
	v_dot2_f32_f16 v1, v4, v18, v1
	;;#ASMEND
	v_xor_b32_e32 v127, 4, v107
	;;#ASMSTART
	v_dot2_f32_f16 v1, v5, v19, v1
	;;#ASMEND
	v_xor_b32_e32 v124, 2, v107
	;; [unrolled: 4-line block ×3, first 2 shown]
	;;#ASMSTART
	v_dot2_f32_f16 v1, v7, v21, v1
	;;#ASMEND
	s_waitcnt lgkmcnt(1)
	;;#ASMSTART
	v_dot2_f32_f16 v2, v4, v22, v2
	;;#ASMEND
	s_nop 0
	;;#ASMSTART
	v_dot2_f32_f16 v2, v5, v23, v2
	;;#ASMEND
	s_nop 0
	;; [unrolled: 4-line block ×3, first 2 shown]
	;;#ASMSTART
	v_dot2_f32_f16 v2, v7, v25, v2
	;;#ASMEND
	s_waitcnt lgkmcnt(0)
	;;#ASMSTART
	v_dot2_f32_f16 v3, v4, v26, v3
	;;#ASMEND
	s_nop 0
	;;#ASMSTART
	v_dot2_f32_f16 v3, v5, v27, v3
	;;#ASMEND
	s_nop 0
	;; [unrolled: 4-line block ×3, first 2 shown]
	;;#ASMSTART
	v_dot2_f32_f16 v3, v7, v29, v3
	;;#ASMEND
	ds_read_b128 v[4:7], v109 offset:16
	ds_read_b128 v[14:17], v110 offset:128
	;; [unrolled: 1-line block ×5, first 2 shown]
	s_waitcnt lgkmcnt(3)
	;;#ASMSTART
	v_dot2_f32_f16 v0, v4, v14, v0
	;;#ASMEND
	s_nop 0
	;;#ASMSTART
	v_dot2_f32_f16 v0, v5, v15, v0
	;;#ASMEND
	s_nop 0
	;;#ASMSTART
	v_dot2_f32_f16 v0, v6, v16, v0
	;;#ASMEND
	s_nop 0
	;;#ASMSTART
	v_dot2_f32_f16 v0, v7, v17, v0
	;;#ASMEND
	s_waitcnt lgkmcnt(2)
	;;#ASMSTART
	v_dot2_f32_f16 v1, v4, v18, v1
	;;#ASMEND
	s_nop 0
	;;#ASMSTART
	v_dot2_f32_f16 v1, v5, v19, v1
	;;#ASMEND
	s_nop 0
	;;#ASMSTART
	v_dot2_f32_f16 v1, v6, v20, v1
	;;#ASMEND
	s_nop 0
	;;#ASMSTART
	v_dot2_f32_f16 v1, v7, v21, v1
	;;#ASMEND
	;; [unrolled: 16-line block ×4, first 2 shown]
	ds_read_b128 v[4:7], v109 offset:32
	ds_read_b128 v[14:17], v110 offset:144
	;; [unrolled: 1-line block ×5, first 2 shown]
	s_waitcnt lgkmcnt(3)
	;;#ASMSTART
	v_dot2_f32_f16 v0, v4, v14, v0
	;;#ASMEND
	s_nop 0
	;;#ASMSTART
	v_dot2_f32_f16 v0, v5, v15, v0
	;;#ASMEND
	s_nop 0
	;;#ASMSTART
	v_dot2_f32_f16 v0, v6, v16, v0
	;;#ASMEND
	s_nop 0
	;;#ASMSTART
	v_dot2_f32_f16 v0, v7, v17, v0
	;;#ASMEND
	s_waitcnt lgkmcnt(2)
	;;#ASMSTART
	v_dot2_f32_f16 v1, v4, v18, v1
	;;#ASMEND
	s_nop 0
	;;#ASMSTART
	v_dot2_f32_f16 v1, v5, v19, v1
	;;#ASMEND
	s_nop 0
	;;#ASMSTART
	v_dot2_f32_f16 v1, v6, v20, v1
	;;#ASMEND
	s_nop 0
	;;#ASMSTART
	v_dot2_f32_f16 v1, v7, v21, v1
	;;#ASMEND
	;; [unrolled: 16-line block ×4, first 2 shown]
	ds_read_b128 v[4:7], v109 offset:48
	ds_read_b128 v[14:17], v110 offset:160
	;; [unrolled: 1-line block ×5, first 2 shown]
	s_waitcnt lgkmcnt(3)
	;;#ASMSTART
	v_dot2_f32_f16 v0, v4, v14, v0
	;;#ASMEND
	s_nop 0
	;;#ASMSTART
	v_dot2_f32_f16 v0, v5, v15, v0
	;;#ASMEND
	s_nop 0
	;;#ASMSTART
	v_dot2_f32_f16 v0, v6, v16, v0
	;;#ASMEND
	s_nop 0
	;;#ASMSTART
	v_dot2_f32_f16 v0, v7, v17, v0
	;;#ASMEND
	s_waitcnt lgkmcnt(2)
	;;#ASMSTART
	v_dot2_f32_f16 v1, v4, v18, v1
	;;#ASMEND
	s_nop 0
	;;#ASMSTART
	v_dot2_f32_f16 v1, v5, v19, v1
	;;#ASMEND
	s_nop 0
	;;#ASMSTART
	v_dot2_f32_f16 v1, v6, v20, v1
	;;#ASMEND
	s_nop 0
	;;#ASMSTART
	v_dot2_f32_f16 v1, v7, v21, v1
	;;#ASMEND
	s_waitcnt lgkmcnt(1)
	;;#ASMSTART
	v_dot2_f32_f16 v2, v4, v22, v2
	;;#ASMEND
	s_nop 0
	;;#ASMSTART
	v_dot2_f32_f16 v2, v5, v23, v2
	;;#ASMEND
	s_nop 0
	;;#ASMSTART
	v_dot2_f32_f16 v2, v6, v24, v2
	;;#ASMEND
	s_nop 0
	;;#ASMSTART
	v_dot2_f32_f16 v2, v7, v25, v2
	;;#ASMEND
	s_waitcnt lgkmcnt(0)
	;;#ASMSTART
	v_dot2_f32_f16 v3, v4, v26, v3
	;;#ASMEND
	s_nop 0
	;;#ASMSTART
	v_dot2_f32_f16 v3, v5, v27, v3
	;;#ASMEND
	s_nop 0
	;;#ASMSTART
	v_dot2_f32_f16 v3, v6, v28, v3
	;;#ASMEND
	s_nop 0
	;;#ASMSTART
	v_dot2_f32_f16 v3, v7, v29, v3
	;;#ASMEND
	ds_read_b128 v[4:7], v109 offset:64
	ds_read_b128 v[14:17], v110 offset:176
	;; [unrolled: 1-line block ×5, first 2 shown]
	s_waitcnt lgkmcnt(3)
	;;#ASMSTART
	v_dot2_f32_f16 v0, v4, v14, v0
	;;#ASMEND
	s_nop 0
	;;#ASMSTART
	v_dot2_f32_f16 v0, v5, v15, v0
	;;#ASMEND
	s_nop 0
	;;#ASMSTART
	v_dot2_f32_f16 v0, v6, v16, v0
	;;#ASMEND
	s_nop 0
	;;#ASMSTART
	v_dot2_f32_f16 v0, v7, v17, v0
	;;#ASMEND
	s_waitcnt lgkmcnt(2)
	;;#ASMSTART
	v_dot2_f32_f16 v1, v4, v18, v1
	;;#ASMEND
	s_nop 0
	;;#ASMSTART
	v_dot2_f32_f16 v1, v5, v19, v1
	;;#ASMEND
	s_nop 0
	;;#ASMSTART
	v_dot2_f32_f16 v1, v6, v20, v1
	;;#ASMEND
	s_nop 0
	;;#ASMSTART
	v_dot2_f32_f16 v1, v7, v21, v1
	;;#ASMEND
	;; [unrolled: 16-line block ×4, first 2 shown]
	ds_read_b128 v[4:7], v109 offset:80
	ds_read_b128 v[14:17], v110 offset:192
	;; [unrolled: 1-line block ×5, first 2 shown]
	s_waitcnt lgkmcnt(3)
	;;#ASMSTART
	v_dot2_f32_f16 v0, v4, v14, v0
	;;#ASMEND
	s_nop 0
	;;#ASMSTART
	v_dot2_f32_f16 v0, v5, v15, v0
	;;#ASMEND
	s_nop 0
	;;#ASMSTART
	v_dot2_f32_f16 v0, v6, v16, v0
	;;#ASMEND
	s_nop 0
	;;#ASMSTART
	v_dot2_f32_f16 v0, v7, v17, v0
	;;#ASMEND
	s_waitcnt lgkmcnt(2)
	;;#ASMSTART
	v_dot2_f32_f16 v1, v4, v18, v1
	;;#ASMEND
	s_nop 0
	;;#ASMSTART
	v_dot2_f32_f16 v1, v5, v19, v1
	;;#ASMEND
	s_nop 0
	;;#ASMSTART
	v_dot2_f32_f16 v1, v6, v20, v1
	;;#ASMEND
	s_nop 0
	;;#ASMSTART
	v_dot2_f32_f16 v1, v7, v21, v1
	;;#ASMEND
	;; [unrolled: 16-line block ×4, first 2 shown]
	ds_read_b128 v[4:7], v109 offset:96
	ds_read_b128 v[14:17], v110 offset:208
	;; [unrolled: 1-line block ×5, first 2 shown]
	s_waitcnt lgkmcnt(3)
	;;#ASMSTART
	v_dot2_f32_f16 v0, v4, v14, v0
	;;#ASMEND
	s_nop 0
	;;#ASMSTART
	v_dot2_f32_f16 v0, v5, v15, v0
	;;#ASMEND
	v_max_f32_e32 v14, v13, v13
	;;#ASMSTART
	v_dot2_f32_f16 v0, v6, v16, v0
	;;#ASMEND
	v_max_f32_e32 v15, v12, v12
	;;#ASMSTART
	v_dot2_f32_f16 v0, v7, v17, v0
	;;#ASMEND
	s_waitcnt lgkmcnt(2)
	;;#ASMSTART
	v_dot2_f32_f16 v1, v4, v18, v1
	;;#ASMEND
	v_max_f32_e32 v16, v11, v11
	;;#ASMSTART
	v_dot2_f32_f16 v1, v5, v19, v1
	;;#ASMEND
	v_max_f32_e32 v17, v10, v10
	;;#ASMSTART
	v_dot2_f32_f16 v1, v6, v20, v1
	;;#ASMEND
	s_nop 0
	;;#ASMSTART
	v_dot2_f32_f16 v1, v7, v21, v1
	;;#ASMEND
	s_waitcnt lgkmcnt(1)
	;;#ASMSTART
	v_dot2_f32_f16 v2, v4, v22, v2
	;;#ASMEND
	s_nop 0
	;;#ASMSTART
	v_dot2_f32_f16 v2, v5, v23, v2
	;;#ASMEND
	s_nop 0
	;; [unrolled: 4-line block ×3, first 2 shown]
	;;#ASMSTART
	v_dot2_f32_f16 v2, v7, v25, v2
	;;#ASMEND
	s_waitcnt lgkmcnt(0)
	;;#ASMSTART
	v_dot2_f32_f16 v3, v4, v26, v3
	;;#ASMEND
	s_nop 0
	;;#ASMSTART
	v_dot2_f32_f16 v3, v5, v27, v3
	;;#ASMEND
	s_nop 0
	;;#ASMSTART
	v_dot2_f32_f16 v3, v6, v28, v3
	;;#ASMEND
	v_add_u32_e32 v6, s35, v98
	v_add_u32_e32 v4, v6, v114
	;; [unrolled: 1-line block ×3, first 2 shown]
	;;#ASMSTART
	v_dot2_f32_f16 v3, v7, v29, v3
	;;#ASMEND
	v_ashrrev_i32_e32 v7, 31, v6
	v_ashrrev_i32_e32 v5, 31, v4
	v_lshl_add_u64 v[6:7], v[6:7], 1, s[58:59]
	v_lshl_add_u64 v[4:5], v[4:5], 1, s[58:59]
	flat_load_ushort v8, v[6:7]
	flat_load_ushort v9, v[4:5]
	v_and_b32_e32 v4, 0x60, v107
	v_add_u32_e32 v123, 32, v4
	v_cmp_lt_i32_e64 s[14:15], v125, v123
	s_waitcnt lgkmcnt(0)
	s_barrier
	v_cndmask_b32_e64 v4, v107, v125, s[14:15]
	v_lshlrev_b32_e32 v20, 2, v4
	v_cmp_lt_i32_e64 s[14:15], v126, v123
	s_waitcnt vmcnt(0)
	v_cvt_f32_f16_e32 v4, v8
	v_cvt_f32_f16_e32 v6, v9
	v_cndmask_b32_e64 v5, v107, v126, s[14:15]
	v_cmp_lt_i32_e64 s[14:15], v127, v123
	v_lshlrev_b32_e32 v21, 2, v5
	v_pk_add_f32 v[4:5], v[2:3], v[4:5] op_sel_hi:[1,0]
	v_cndmask_b32_e64 v7, v107, v127, s[14:15]
	v_lshlrev_b32_e32 v8, 2, v7
	v_pk_add_f32 v[6:7], v[0:1], v[6:7] op_sel_hi:[1,0]
	v_pk_add_f32 v[2:3], v[4:5], s[2:3] op_sel_hi:[1,0]
	;; [unrolled: 1-line block ×3, first 2 shown]
	v_max_f32_e32 v3, v14, v3
	v_max_f32_e32 v2, v15, v2
	;; [unrolled: 1-line block ×4, first 2 shown]
	ds_bpermute_b32 v14, v20, v3
	ds_bpermute_b32 v15, v20, v2
	;; [unrolled: 1-line block ×4, first 2 shown]
	v_cmp_lt_i32_e64 s[14:15], v124, v123
	s_waitcnt lgkmcnt(3)
	v_max_f32_e32 v14, v14, v14
	s_waitcnt lgkmcnt(2)
	v_max_f32_e32 v15, v15, v15
	;; [unrolled: 2-line block ×4, first 2 shown]
	v_max_f32_e32 v3, v3, v14
	v_max_f32_e32 v2, v2, v15
	v_max_f32_e32 v1, v1, v16
	v_max_f32_e32 v0, v0, v17
	ds_bpermute_b32 v14, v21, v3
	ds_bpermute_b32 v15, v21, v2
	;; [unrolled: 1-line block ×4, first 2 shown]
	v_cndmask_b32_e64 v18, v107, v124, s[14:15]
	s_waitcnt lgkmcnt(3)
	v_max_f32_e32 v14, v14, v14
	s_waitcnt lgkmcnt(2)
	v_max_f32_e32 v15, v15, v15
	;; [unrolled: 2-line block ×4, first 2 shown]
	v_max_f32_e32 v3, v3, v14
	v_max_f32_e32 v2, v2, v15
	;; [unrolled: 1-line block ×4, first 2 shown]
	ds_bpermute_b32 v14, v8, v3
	ds_bpermute_b32 v15, v8, v2
	;; [unrolled: 1-line block ×4, first 2 shown]
	v_lshlrev_b32_e32 v9, 2, v18
	s_waitcnt lgkmcnt(3)
	v_max_f32_e32 v14, v14, v14
	s_waitcnt lgkmcnt(2)
	v_max_f32_e32 v15, v15, v15
	v_max_f32_e32 v2, v2, v15
	s_waitcnt lgkmcnt(0)
	v_max_f32_e32 v8, v8, v8
	v_max_f32_e32 v1, v1, v8
	;; [unrolled: 1-line block ×5, first 2 shown]
	ds_bpermute_b32 v8, v9, v2
	ds_bpermute_b32 v14, v9, v3
	;; [unrolled: 1-line block ×4, first 2 shown]
	v_cmp_lt_i32_e64 s[14:15], v122, v123
	s_waitcnt lgkmcnt(3)
	v_max_f32_e32 v8, v8, v8
	s_waitcnt lgkmcnt(2)
	v_max_f32_e32 v14, v14, v14
	v_cndmask_b32_e64 v19, v107, v122, s[14:15]
	v_max_f32_e32 v2, v2, v8
	s_waitcnt lgkmcnt(0)
	v_max_f32_e32 v8, v9, v9
	v_lshlrev_b32_e32 v18, 2, v19
	v_max_f32_e32 v3, v3, v14
	v_max_f32_e32 v1, v1, v8
	;; [unrolled: 1-line block ×3, first 2 shown]
	ds_bpermute_b32 v9, v18, v3
	v_max_f32_e32 v0, v0, v8
	ds_bpermute_b32 v8, v18, v2
	ds_bpermute_b32 v15, v18, v1
	;; [unrolled: 1-line block ×3, first 2 shown]
	s_waitcnt lgkmcnt(3)
	v_max_f32_e32 v9, v9, v9
	v_max_f32_e32 v3, v3, v9
	s_waitcnt lgkmcnt(2)
	v_max_f32_e32 v8, v8, v8
	v_max_f32_e32 v2, v2, v8
	;; [unrolled: 3-line block ×3, first 2 shown]
	s_waitcnt lgkmcnt(0)
	v_max_f32_e32 v8, v14, v14
	v_sub_f32_e32 v5, v5, v3
	v_max_f32_e32 v0, v0, v8
	v_mul_f32_e32 v8, 0x3fb8aa3b, v5
	v_fma_f32 v9, v5, s52, -v8
	v_rndne_f32_e32 v14, v8
	v_fmac_f32_e32 v9, 0x32a5705f, v5
	v_sub_f32_e32 v8, v8, v14
	v_add_f32_e32 v8, v8, v9
	v_exp_f32_e32 v8, v8
	v_cvt_i32_f32_e32 v9, v14
	v_sub_f32_e32 v4, v4, v2
	v_cmp_ngt_f32_e64 s[14:15], s53, v5
	v_sub_f32_e32 v7, v7, v1
	v_ldexp_f32 v8, v8, v9
	v_mul_f32_e32 v9, 0x3fb8aa3b, v4
	v_fma_f32 v14, v4, s52, -v9
	v_rndne_f32_e32 v15, v9
	v_fmac_f32_e32 v14, 0x32a5705f, v4
	v_sub_f32_e32 v9, v9, v15
	v_add_f32_e32 v9, v9, v14
	v_exp_f32_e32 v9, v9
	v_cvt_i32_f32_e32 v14, v15
	v_cndmask_b32_e64 v8, 0, v8, s[14:15]
	v_cmp_nlt_f32_e64 s[14:15], s62, v5
	v_sub_f32_e32 v6, v6, v0
	v_ldexp_f32 v5, v9, v14
	v_cndmask_b32_e64 v93, v121, v8, s[14:15]
	v_mul_f32_e32 v8, 0x3fb8aa3b, v7
	v_fma_f32 v9, v7, s52, -v8
	v_rndne_f32_e32 v14, v8
	v_fmac_f32_e32 v9, 0x32a5705f, v7
	v_sub_f32_e32 v8, v8, v14
	v_add_f32_e32 v8, v8, v9
	v_exp_f32_e32 v8, v8
	v_cvt_i32_f32_e32 v9, v14
	v_cmp_ngt_f32_e64 s[14:15], s53, v4
	s_nop 1
	v_cndmask_b32_e64 v5, 0, v5, s[14:15]
	v_cmp_nlt_f32_e64 s[14:15], s62, v4
	v_ldexp_f32 v4, v8, v9
	s_nop 0
	v_cndmask_b32_e64 v92, v121, v5, s[14:15]
	v_mul_f32_e32 v5, 0x3fb8aa3b, v6
	v_fma_f32 v8, v6, s52, -v5
	v_rndne_f32_e32 v9, v5
	v_fmac_f32_e32 v8, 0x32a5705f, v6
	v_sub_f32_e32 v5, v5, v9
	v_add_f32_e32 v5, v5, v8
	v_exp_f32_e32 v5, v5
	v_cvt_i32_f32_e32 v8, v9
	v_cmp_ngt_f32_e64 s[14:15], s53, v7
	s_nop 1
	v_cndmask_b32_e64 v4, 0, v4, s[14:15]
	v_cmp_nlt_f32_e64 s[14:15], s62, v7
	s_nop 1
	v_cndmask_b32_e64 v95, v121, v4, s[14:15]
	v_ldexp_f32 v4, v5, v8
	v_cmp_ngt_f32_e64 s[14:15], s53, v6
	v_cvt_f16_f32_e32 v5, v92
	s_nop 0
	v_cndmask_b32_e64 v4, 0, v4, s[14:15]
	v_cmp_nlt_f32_e64 s[14:15], s62, v6
	v_cvt_f16_f32_e32 v6, v95
	s_nop 0
	v_cndmask_b32_e64 v94, v121, v4, s[14:15]
	v_cvt_f16_f32_e32 v4, v93
	v_cvt_f16_f32_e32 v7, v94
	s_mul_hi_i32 s15, s35, s42
	s_mul_i32 s14, s35, s42
	s_lshl_b64 s[14:15], s[14:15], 2
	s_add_u32 s14, s57, s14
	v_pack_b32_f16 v5, v5, v4
	v_pack_b32_f16 v4, v7, v6
	v_add_u32_e32 v6, v116, v117
	s_addc_u32 s15, s61, s15
	ds_write_b64 v6, v[4:5]
	s_and_saveexec_b64 s[16:17], s[8:9]
	s_cbranch_execnz .LBB37_37
; %bb.24:                               ;   in Loop: Header=BB37_15 Depth=1
	s_or_b64 exec, exec, s[16:17]
	s_and_saveexec_b64 s[16:17], s[10:11]
	s_cbranch_execnz .LBB37_38
.LBB37_25:                              ;   in Loop: Header=BB37_15 Depth=1
	s_or_b64 exec, exec, s[16:17]
	v_lshlrev_b32_e32 v96, 2, v86
	s_and_saveexec_b64 s[16:17], s[12:13]
	s_cbranch_execz .LBB37_27
.LBB37_26:                              ;   in Loop: Header=BB37_15 Depth=1
	v_lshl_add_u64 v[4:5], v[88:89], 2, s[14:15]
	v_mov_b32_e32 v97, v79
	v_lshl_add_u64 v[4:5], v[4:5], 0, v[96:97]
	global_load_dwordx4 v[4:7], v[4:5], off
	s_waitcnt vmcnt(0)
	ds_write_b128 v120, v[4:7]
.LBB37_27:                              ;   in Loop: Header=BB37_15 Depth=1
	s_or_b64 exec, exec, s[16:17]
	v_add_u32_e32 v131, 0x1800, v117
	v_add_u32_e32 v130, 0x1c00, v117
	;; [unrolled: 1-line block ×3, first 2 shown]
	v_sub_f32_e32 v132, v12, v2
	v_sub_f32_e32 v133, v13, v3
	s_waitcnt lgkmcnt(0)
	s_barrier
	ds_read2_b64 v[60:63], v131 offset0:128 offset1:156
	ds_read_b128 v[64:67], v116
	ds_read_b128 v[52:55], v116 offset:16
	ds_read_b128 v[44:47], v116 offset:32
	;; [unrolled: 1-line block ×3, first 2 shown]
	ds_read2_b64 v[56:59], v131 offset0:184 offset1:212
	ds_read2_b64 v[48:51], v130 offset0:112 offset1:140
	;; [unrolled: 1-line block ×5, first 2 shown]
	ds_read_b128 v[36:39], v116 offset:64
	ds_read_b128 v[24:27], v116 offset:80
	ds_read2_b64 v[12:15], v129 offset0:208 offset1:236
	v_add_u32_e32 v128, 0x2800, v117
	v_sub_f32_e32 v134, v10, v0
	v_sub_f32_e32 v135, v11, v1
	ds_read2_b64 v[4:7], v128 offset0:8 offset1:36
	ds_read_b128 v[16:19], v116 offset:96
	ds_read_b128 v[8:11], v116 offset:112
	s_or_b32 s38, s35, 16
	s_mul_hi_i32 s39, s38, s42
	s_mul_i32 s38, s38, s42
	s_lshl_b64 s[38:39], s[38:39], 2
	s_add_u32 s38, s57, s38
	v_cmp_ngt_f32_e64 s[26:27], s53, v135
	v_cmp_nlt_f32_e64 s[28:29], s62, v135
	v_cmp_ngt_f32_e64 s[22:23], s53, v134
	v_cmp_nlt_f32_e64 s[24:25], s62, v134
	;; [unrolled: 2-line block ×4, first 2 shown]
	s_addc_u32 s39, s61, s39
	s_waitcnt lgkmcnt(0)
	s_barrier
	s_and_saveexec_b64 s[40:41], s[8:9]
	s_cbranch_execnz .LBB37_39
; %bb.28:                               ;   in Loop: Header=BB37_15 Depth=1
	s_or_b64 exec, exec, s[40:41]
	s_and_saveexec_b64 s[40:41], s[10:11]
	s_cbranch_execnz .LBB37_40
.LBB37_29:                              ;   in Loop: Header=BB37_15 Depth=1
	s_or_b64 exec, exec, s[40:41]
	s_and_saveexec_b64 s[40:41], s[12:13]
	s_cbranch_execz .LBB37_31
.LBB37_30:                              ;   in Loop: Header=BB37_15 Depth=1
	v_lshl_add_u64 v[136:137], v[88:89], 2, s[38:39]
	v_mov_b32_e32 v97, v79
	v_lshl_add_u64 v[96:97], v[136:137], 0, v[96:97]
	global_load_dwordx4 v[136:139], v[96:97], off
	s_waitcnt vmcnt(0)
	ds_write_b128 v120, v[136:139]
.LBB37_31:                              ;   in Loop: Header=BB37_15 Depth=1
	s_or_b64 exec, exec, s[40:41]
	v_mul_f32_e32 v91, 0x3fb8aa3b, v135
	v_fma_f32 v96, v135, s52, -v91
	v_rndne_f32_e32 v97, v91
	v_fmac_f32_e32 v96, 0x32a5705f, v135
	v_sub_f32_e32 v91, v91, v97
	v_add_f32_e32 v91, v91, v96
	v_cvt_i32_f32_e32 v96, v97
	v_mul_f32_e32 v97, 0x3fb8aa3b, v134
	v_fma_f32 v135, v134, s52, -v97
	v_fmac_f32_e32 v135, 0x32a5705f, v134
	v_rndne_f32_e32 v134, v97
	v_exp_f32_e32 v91, v91
	v_sub_f32_e32 v97, v97, v134
	v_add_f32_e32 v97, v97, v135
	v_exp_f32_e32 v135, v97
	v_cvt_i32_f32_e32 v134, v134
	v_ldexp_f32 v91, v91, v96
	v_cndmask_b32_e64 v91, 0, v91, s[26:27]
	v_cndmask_b32_e64 v97, v121, v91, s[28:29]
	v_ldexp_f32 v91, v135, v134
	v_cndmask_b32_e64 v91, 0, v91, s[22:23]
	v_cndmask_b32_e64 v96, v121, v91, s[24:25]
	v_mul_f32_e32 v91, 0x3fb8aa3b, v133
	v_fma_f32 v134, v133, s52, -v91
	v_fmac_f32_e32 v134, 0x32a5705f, v133
	v_rndne_f32_e32 v133, v91
	v_sub_f32_e32 v91, v91, v133
	v_add_f32_e32 v91, v91, v134
	v_mul_f32_e32 v134, 0x3fb8aa3b, v132
	v_fma_f32 v135, v132, s52, -v134
	v_fmac_f32_e32 v135, 0x32a5705f, v132
	v_rndne_f32_e32 v132, v134
	v_exp_f32_e32 v91, v91
	v_cvt_i32_f32_e32 v133, v133
	v_sub_f32_e32 v134, v134, v132
	v_add_f32_e32 v134, v134, v135
	v_exp_f32_e32 v134, v134
	v_cvt_i32_f32_e32 v132, v132
	v_ldexp_f32 v91, v91, v133
	v_cndmask_b32_e64 v91, 0, v91, s[18:19]
	v_cndmask_b32_e64 v133, v121, v91, s[20:21]
	v_ldexp_f32 v91, v134, v132
	v_cndmask_b32_e64 v91, 0, v91, s[14:15]
	v_cvt_f16_f32_e32 v136, v133
	v_cndmask_b32_e64 v132, v121, v91, s[16:17]
	v_cvt_f16_f32_e32 v91, v96
	v_cvt_f16_f32_e32 v134, v97
	;; [unrolled: 1-line block ×3, first 2 shown]
	v_pk_mul_f16 v101, v136, v101 op_sel_hi:[0,1]
	v_pk_mul_f16 v100, v136, v100 op_sel_hi:[0,1]
	v_pk_mul_f16 v136, v60, v64 op_sel_hi:[1,0]
	v_pk_mul_f16 v108, v91, v108 op_sel_hi:[0,1]
	v_pk_fma_f16 v91, v91, v106, v136 op_sel_hi:[0,1,1]
	v_pk_mul_f16 v106, v60, v64 op_sel:[0,1]
	v_pk_mul_f16 v105, v134, v105 op_sel_hi:[0,1]
	v_pk_mul_f16 v103, v135, v103 op_sel_hi:[0,1]
	v_pk_fma_f16 v104, v134, v104, v106 op_sel_hi:[0,1,1]
	v_pk_mul_f16 v106, v60, v65 op_sel_hi:[1,0]
	v_pk_fma_f16 v60, v60, v65, v101 op_sel:[0,1,0]
	v_pk_fma_f16 v102, v135, v102, v106 op_sel_hi:[0,1,1]
	v_pk_fma_f16 v101, v61, v64, v108 op_sel_hi:[1,0,1]
	v_pk_fma_f16 v64, v61, v64, v105 op_sel:[0,1,0]
	v_pk_fma_f16 v103, v61, v65, v103 op_sel_hi:[1,0,1]
	v_pk_fma_f16 v61, v61, v65, v100 op_sel:[0,1,0]
	;; [unrolled: 2-line block ×62, first 2 shown]
	s_waitcnt lgkmcnt(0)
	s_barrier
	ds_read2_b64 v[4:7], v131 offset0:128 offset1:156
	ds_read_b128 v[8:11], v116 offset:128
	ds_read_b128 v[12:15], v116 offset:144
	;; [unrolled: 1-line block ×4, first 2 shown]
	v_pk_fma_f32 v[70:71], v[70:71], v[132:133], v[92:93]
	v_pk_fma_f32 v[72:73], v[72:73], v[96:97], v[94:95]
	s_waitcnt lgkmcnt(3)
	v_pk_fma_f16 v24, v4, v8, v24 op_sel_hi:[1,0,1]
	v_pk_fma_f16 v25, v4, v8, v25 op_sel:[0,1,0]
	v_pk_fma_f16 v26, v4, v9, v26 op_sel_hi:[1,0,1]
	v_pk_fma_f16 v4, v4, v9, v27 op_sel:[0,1,0]
	;; [unrolled: 2-line block ×5, first 2 shown]
	v_pk_fma_f16 v31, v6, v11, v26 op_sel_hi:[1,0,1]
	ds_read2_b64 v[24:27], v131 offset0:184 offset1:212
	v_pk_fma_f16 v4, v6, v11, v4 op_sel:[0,1,0]
	v_pk_fma_f16 v6, v7, v10, v28 op_sel_hi:[1,0,1]
	v_pk_fma_f16 v8, v7, v10, v8 op_sel:[0,1,0]
	v_pk_fma_f16 v10, v7, v11, v29 op_sel_hi:[1,0,1]
	v_pk_fma_f16 v5, v7, v11, v5 op_sel:[0,1,0]
	s_waitcnt lgkmcnt(0)
	v_pk_fma_f16 v7, v24, v12, v9 op_sel_hi:[1,0,1]
	v_pk_fma_f16 v4, v24, v13, v4 op_sel:[0,1,0]
	v_pk_fma_f16 v9, v24, v12, v30 op_sel:[0,1,0]
	v_pk_fma_f16 v11, v24, v13, v31 op_sel_hi:[1,0,1]
	v_pk_fma_f16 v24, v25, v12, v6 op_sel_hi:[1,0,1]
	v_pk_fma_f16 v8, v25, v12, v8 op_sel:[0,1,0]
	v_pk_fma_f16 v10, v25, v13, v10 op_sel_hi:[1,0,1]
	v_pk_fma_f16 v12, v25, v13, v5 op_sel:[0,1,0]
	;; [unrolled: 2-line block ×3, first 2 shown]
	ds_read2_b64 v[4:7], v130 offset0:112 offset1:140
	v_pk_fma_f16 v9, v26, v14, v9 op_sel:[0,1,0]
	v_pk_fma_f16 v11, v26, v15, v11 op_sel_hi:[1,0,1]
	v_pk_fma_f16 v24, v27, v14, v24 op_sel_hi:[1,0,1]
	v_pk_fma_f16 v8, v27, v14, v8 op_sel:[0,1,0]
	v_pk_fma_f16 v10, v27, v15, v10 op_sel_hi:[1,0,1]
	v_pk_fma_f16 v12, v27, v15, v12 op_sel:[0,1,0]
	s_waitcnt lgkmcnt(0)
	v_pk_fma_f16 v13, v4, v16, v13 op_sel_hi:[1,0,1]
	v_pk_fma_f16 v9, v4, v16, v9 op_sel:[0,1,0]
	v_pk_fma_f16 v11, v4, v17, v11 op_sel_hi:[1,0,1]
	v_pk_fma_f16 v4, v4, v17, v25 op_sel:[0,1,0]
	v_pk_fma_f16 v14, v5, v16, v24 op_sel_hi:[1,0,1]
	v_pk_fma_f16 v15, v5, v16, v8 op_sel:[0,1,0]
	v_pk_fma_f16 v16, v5, v17, v10 op_sel_hi:[1,0,1]
	v_pk_fma_f16 v5, v5, v17, v12 op_sel:[0,1,0]
	v_pk_fma_f16 v12, v6, v18, v13 op_sel_hi:[1,0,1]
	v_pk_fma_f16 v13, v6, v18, v9 op_sel:[0,1,0]
	v_pk_fma_f16 v17, v6, v19, v11 op_sel_hi:[1,0,1]
	ds_read2_b64 v[8:11], v129 offset0:40 offset1:68
	v_pk_fma_f16 v4, v6, v19, v4 op_sel:[0,1,0]
	v_pk_fma_f16 v6, v7, v18, v14 op_sel_hi:[1,0,1]
	v_pk_fma_f16 v14, v7, v18, v15 op_sel:[0,1,0]
	v_pk_fma_f16 v15, v7, v19, v16 op_sel_hi:[1,0,1]
	v_pk_fma_f16 v5, v7, v19, v5 op_sel:[0,1,0]
	s_waitcnt lgkmcnt(0)
	v_pk_fma_f16 v7, v8, v20, v12 op_sel_hi:[1,0,1]
	v_pk_fma_f16 v12, v8, v20, v13 op_sel:[0,1,0]
	v_pk_fma_f16 v13, v8, v21, v17 op_sel_hi:[1,0,1]
	v_pk_fma_f16 v4, v8, v21, v4 op_sel:[0,1,0]
	;; [unrolled: 2-line block ×6, first 2 shown]
	v_pk_fma_f16 v21, v11, v22, v6 op_sel_hi:[1,0,1]
	ds_read2_b64 v[4:7], v129 offset0:96 offset1:124
	ds_read_b128 v[12:15], v116 offset:192
	v_pk_fma_f16 v22, v11, v22, v8 op_sel:[0,1,0]
	v_pk_fma_f16 v16, v11, v23, v16 op_sel_hi:[1,0,1]
	v_pk_fma_f16 v23, v11, v23, v9 op_sel:[0,1,0]
	ds_read_b128 v[8:11], v116 offset:208
	s_waitcnt lgkmcnt(1)
	v_pk_fma_f16 v17, v4, v12, v17 op_sel_hi:[1,0,1]
	v_pk_fma_f16 v18, v4, v12, v18 op_sel:[0,1,0]
	v_pk_fma_f16 v19, v4, v13, v19 op_sel_hi:[1,0,1]
	v_pk_fma_f16 v4, v4, v13, v20 op_sel:[0,1,0]
	;; [unrolled: 2-line block ×5, first 2 shown]
	v_pk_fma_f16 v23, v6, v15, v19 op_sel_hi:[1,0,1]
	ds_read2_b64 v[16:19], v129 offset0:152 offset1:180
	v_pk_fma_f16 v4, v6, v15, v4 op_sel:[0,1,0]
	v_pk_fma_f16 v6, v7, v14, v20 op_sel_hi:[1,0,1]
	v_pk_fma_f16 v12, v7, v14, v12 op_sel:[0,1,0]
	v_pk_fma_f16 v14, v7, v15, v21 op_sel_hi:[1,0,1]
	v_pk_fma_f16 v5, v7, v15, v5 op_sel:[0,1,0]
	s_waitcnt lgkmcnt(0)
	v_pk_fma_f16 v7, v16, v8, v13 op_sel_hi:[1,0,1]
	v_pk_fma_f16 v13, v16, v8, v22 op_sel:[0,1,0]
	v_pk_fma_f16 v15, v16, v9, v23 op_sel_hi:[1,0,1]
	v_pk_fma_f16 v4, v16, v9, v4 op_sel:[0,1,0]
	;; [unrolled: 2-line block ×6, first 2 shown]
	v_pk_fma_f16 v22, v19, v10, v6 op_sel_hi:[1,0,1]
	ds_read2_b64 v[4:7], v129 offset0:208 offset1:236
	ds_read_b128 v[12:15], v116 offset:224
	v_pk_fma_f16 v23, v19, v10, v8 op_sel:[0,1,0]
	v_pk_fma_f16 v16, v19, v11, v16 op_sel_hi:[1,0,1]
	v_pk_fma_f16 v19, v19, v11, v9 op_sel:[0,1,0]
	ds_read_b128 v[8:11], v116 offset:240
	s_waitcnt lgkmcnt(1)
	v_pk_fma_f16 v17, v4, v12, v17 op_sel_hi:[1,0,1]
	v_pk_fma_f16 v20, v4, v12, v20 op_sel:[0,1,0]
	v_pk_fma_f16 v21, v4, v13, v21 op_sel_hi:[1,0,1]
	v_pk_fma_f16 v4, v4, v13, v18 op_sel:[0,1,0]
	;; [unrolled: 2-line block ×4, first 2 shown]
	v_pk_fma_f16 v13, v6, v14, v17 op_sel_hi:[1,0,1]
	ds_read2_b64 v[16:19], v128 offset0:8 offset1:36
	s_waitcnt lgkmcnt(0)
	s_barrier
	s_load_dword s14, s[36:37], 0x4
	v_pk_fma_f16 v20, v6, v14, v20 op_sel:[0,1,0]
	v_pk_fma_f16 v21, v6, v15, v21 op_sel_hi:[1,0,1]
	v_pk_fma_f16 v4, v6, v15, v4 op_sel:[0,1,0]
	v_pk_fma_f16 v6, v7, v14, v22 op_sel_hi:[1,0,1]
	;; [unrolled: 2-line block ×3, first 2 shown]
	v_pk_fma_f16 v5, v7, v15, v5 op_sel:[0,1,0]
	s_waitcnt lgkmcnt(0)
	s_lshl_b32 s14, s14, 5
	v_pk_fma_f16 v7, v16, v8, v13 op_sel_hi:[1,0,1]
	v_pk_fma_f16 v13, v16, v8, v20 op_sel:[0,1,0]
	v_pk_fma_f16 v15, v16, v9, v21 op_sel_hi:[1,0,1]
	v_pk_fma_f16 v4, v16, v9, v4 op_sel:[0,1,0]
	;; [unrolled: 2-line block ×4, first 2 shown]
	s_add_i32 s35, s14, s35
	v_pk_fma_f16 v106, v18, v10, v7 op_sel_hi:[1,0,1]
	v_pk_fma_f16 v104, v18, v10, v13 op_sel:[0,1,0]
	v_pk_fma_f16 v102, v18, v11, v15 op_sel_hi:[1,0,1]
	v_pk_fma_f16 v101, v18, v11, v4 op_sel:[0,1,0]
	;; [unrolled: 2-line block ×3, first 2 shown]
	v_pk_fma_f16 v103, v19, v11, v12 op_sel_hi:[1,0,1]
	s_cmp_ge_i32 s35, s56
	v_pk_fma_f16 v100, v19, v11, v5 op_sel:[0,1,0]
	s_cbranch_scc1 .LBB37_41
; %bb.32:                               ;   in Loop: Header=BB37_15 Depth=1
	v_mov_b32_e32 v10, v0
	v_mov_b32_e32 v11, v1
	;; [unrolled: 1-line block ×4, first 2 shown]
	s_branch .LBB37_15
.LBB37_33:                              ;   in Loop: Header=BB37_15 Depth=1
	global_load_dwordx4 v[0:3], v[8:9], off offset:96
	s_waitcnt vmcnt(0)
	ds_write_b128 v111, v[0:3]
	s_or_b64 exec, exec, s[16:17]
	v_lshl_add_u64 v[4:5], v[76:77], 2, s[14:15]
	s_and_saveexec_b64 s[16:17], s[4:5]
	s_cbranch_execz .LBB37_17
.LBB37_34:                              ;   in Loop: Header=BB37_15 Depth=1
	v_lshl_add_u64 v[0:1], v[4:5], 0, v[78:79]
	global_load_dwordx4 v[0:3], v[0:1], off offset:64
	s_waitcnt vmcnt(0)
	ds_write_b128 v112, v[0:3]
	s_or_b64 exec, exec, s[16:17]
	v_lshl_add_u64 v[6:7], v[80:81], 2, s[14:15]
	s_and_saveexec_b64 s[14:15], s[6:7]
	s_cbranch_execnz .LBB37_18
	s_branch .LBB37_19
.LBB37_35:                              ;   in Loop: Header=BB37_15 Depth=1
	global_load_dwordx4 v[14:17], v[8:9], off offset:208
	s_waitcnt vmcnt(0)
	ds_write_b128 v111, v[14:17]
	s_or_b64 exec, exec, s[14:15]
	s_and_saveexec_b64 s[14:15], s[4:5]
	s_cbranch_execz .LBB37_21
.LBB37_36:                              ;   in Loop: Header=BB37_15 Depth=1
	v_lshl_add_u64 v[4:5], v[4:5], 0, v[78:79]
	global_load_dwordx4 v[14:17], v[4:5], off offset:176
	s_waitcnt vmcnt(0)
	ds_write_b128 v112, v[14:17]
	s_or_b64 exec, exec, s[14:15]
	s_and_saveexec_b64 s[14:15], s[6:7]
	s_cbranch_execnz .LBB37_22
	s_branch .LBB37_23
.LBB37_37:                              ;   in Loop: Header=BB37_15 Depth=1
	v_lshl_add_u64 v[4:5], v[82:83], 2, s[14:15]
	v_lshl_add_u64 v[4:5], v[4:5], 0, v[78:79]
	global_load_dwordx4 v[4:7], v[4:5], off offset:192
	s_waitcnt vmcnt(0)
	ds_write_b128 v118, v[4:7]
	s_or_b64 exec, exec, s[16:17]
	s_and_saveexec_b64 s[16:17], s[10:11]
	s_cbranch_execz .LBB37_25
.LBB37_38:                              ;   in Loop: Header=BB37_15 Depth=1
	v_lshl_add_u64 v[4:5], v[84:85], 2, s[14:15]
	v_mov_b32_e32 v91, v79
	v_lshl_add_u64 v[4:5], v[4:5], 0, v[90:91]
	global_load_dwordx4 v[4:7], v[4:5], off offset:128
	s_waitcnt vmcnt(0)
	ds_write_b128 v119, v[4:7]
	s_or_b64 exec, exec, s[16:17]
	v_lshlrev_b32_e32 v96, 2, v86
	s_and_saveexec_b64 s[16:17], s[12:13]
	s_cbranch_execnz .LBB37_26
	s_branch .LBB37_27
.LBB37_39:                              ;   in Loop: Header=BB37_15 Depth=1
	v_lshl_add_u64 v[136:137], v[82:83], 2, s[38:39]
	v_lshl_add_u64 v[136:137], v[136:137], 0, v[78:79]
	global_load_dwordx4 v[136:139], v[136:137], off offset:192
	s_waitcnt vmcnt(0)
	ds_write_b128 v118, v[136:139]
	s_or_b64 exec, exec, s[40:41]
	s_and_saveexec_b64 s[40:41], s[10:11]
	s_cbranch_execz .LBB37_29
.LBB37_40:                              ;   in Loop: Header=BB37_15 Depth=1
	v_lshl_add_u64 v[136:137], v[84:85], 2, s[38:39]
	v_mov_b32_e32 v91, v79
	v_lshl_add_u64 v[136:137], v[136:137], 0, v[90:91]
	global_load_dwordx4 v[136:139], v[136:137], off offset:128
	s_waitcnt vmcnt(0)
	ds_write_b128 v119, v[136:139]
	s_or_b64 exec, exec, s[40:41]
	s_and_saveexec_b64 s[40:41], s[12:13]
	s_cbranch_execnz .LBB37_30
	s_branch .LBB37_31
.LBB37_41:
	v_cmp_lt_i32_e32 vcc, v125, v123
	s_cmp_lg_u64 s[44:45], 0
	s_cselect_b64 s[4:5], -1, 0
	v_cndmask_b32_e32 v4, v107, v125, vcc
	v_cmp_lt_i32_e32 vcc, v126, v123
	v_lshlrev_b32_e32 v7, 2, v4
	ds_bpermute_b32 v5, v7, v73
	v_cndmask_b32_e32 v4, v107, v126, vcc
	v_cmp_lt_i32_e32 vcc, v127, v123
	v_lshlrev_b32_e32 v11, 2, v4
	ds_bpermute_b32 v6, v7, v70
	v_cndmask_b32_e32 v4, v107, v127, vcc
	v_lshlrev_b32_e32 v12, 2, v4
	ds_bpermute_b32 v4, v7, v72
	ds_bpermute_b32 v7, v7, v71
	v_cmp_lt_i32_e32 vcc, v124, v123
	s_cmp_eq_u32 s3, 0
	s_cselect_b64 s[6:7], -1, 0
	s_waitcnt lgkmcnt(1)
	v_pk_add_f32 v[4:5], v[72:73], v[4:5]
	s_waitcnt lgkmcnt(0)
	v_pk_add_f32 v[6:7], v[70:71], v[6:7]
	ds_bpermute_b32 v8, v11, v4
	ds_bpermute_b32 v9, v11, v5
	;; [unrolled: 1-line block ×4, first 2 shown]
	v_cndmask_b32_e32 v13, v107, v124, vcc
	v_lshlrev_b32_e32 v13, 2, v13
	s_waitcnt lgkmcnt(2)
	v_pk_add_f32 v[4:5], v[4:5], v[8:9]
	ds_bpermute_b32 v8, v12, v4
	s_waitcnt lgkmcnt(1)
	v_pk_add_f32 v[6:7], v[6:7], v[10:11]
	ds_bpermute_b32 v9, v12, v5
	ds_bpermute_b32 v10, v12, v6
	;; [unrolled: 1-line block ×3, first 2 shown]
	v_cmp_lt_i32_e32 vcc, v122, v123
	s_and_b64 s[4:5], s[6:7], s[4:5]
	s_waitcnt lgkmcnt(2)
	v_pk_add_f32 v[4:5], v[4:5], v[8:9]
	ds_bpermute_b32 v8, v13, v4
	s_waitcnt lgkmcnt(1)
	v_pk_add_f32 v[6:7], v[6:7], v[10:11]
	ds_bpermute_b32 v9, v13, v5
	ds_bpermute_b32 v10, v13, v6
	;; [unrolled: 1-line block ×3, first 2 shown]
	v_cndmask_b32_e32 v12, v107, v122, vcc
	v_lshlrev_b32_e32 v13, 2, v12
	s_waitcnt lgkmcnt(2)
	v_pk_add_f32 v[4:5], v[4:5], v[8:9]
	ds_bpermute_b32 v8, v13, v4
	s_waitcnt lgkmcnt(1)
	v_pk_add_f32 v[10:11], v[6:7], v[10:11]
	ds_bpermute_b32 v9, v13, v5
	ds_bpermute_b32 v12, v13, v10
	;; [unrolled: 1-line block ×3, first 2 shown]
	s_and_b64 vcc, exec, s[4:5]
	s_waitcnt lgkmcnt(2)
	v_pk_add_f32 v[6:7], v[4:5], v[8:9]
	s_waitcnt lgkmcnt(0)
	v_pk_add_f32 v[4:5], v[10:11], v[12:13]
	s_cbranch_vccz .LBB37_43
; %bb.42:
	s_ashr_i32 s35, s34, 31
	s_lshl_b64 s[4:5], s[34:35], 2
	s_add_u32 s4, s44, s4
	s_addc_u32 s5, s45, s5
	v_mov_b32_e32 v8, 0
	global_load_dwordx2 v[12:13], v8, s[4:5]
	v_max_f32_e32 v8, v1, v1
	v_max_f32_e32 v10, v0, v0
	;; [unrolled: 1-line block ×4, first 2 shown]
	s_mov_b32 s5, 0x3fb8aa3b
	s_mov_b32 s2, 0xc2ce8ed0
	;; [unrolled: 1-line block ×3, first 2 shown]
	v_mov_b32_e32 v14, 0x7f800000
	s_waitcnt vmcnt(0)
	v_max_f32_e32 v16, v13, v13
	v_max_f32_e32 v17, v12, v12
	;; [unrolled: 1-line block ×4, first 2 shown]
	v_pk_add_f32 v[0:1], v[0:1], v[8:9] neg_lo:[0,1] neg_hi:[0,1]
	v_max_f32_e32 v11, v11, v16
	v_max_f32_e32 v10, v15, v17
	v_mul_f32_e32 v17, 0x3fb8aa3b, v1
	v_pk_add_f32 v[2:3], v[2:3], v[10:11] neg_lo:[0,1] neg_hi:[0,1]
	v_mul_f32_e32 v18, 0x3fb8aa3b, v0
	v_fma_f32 v23, v1, s5, -v17
	v_rndne_f32_e32 v24, v17
	v_mul_f32_e32 v19, 0x3fb8aa3b, v3
	v_fma_f32 v25, v0, s5, -v18
	v_rndne_f32_e32 v26, v18
	v_fmac_f32_e32 v23, 0x32a5705f, v1
	v_sub_f32_e32 v17, v17, v24
	v_mul_f32_e32 v20, 0x3fb8aa3b, v2
	v_fma_f32 v27, v3, s5, -v19
	v_rndne_f32_e32 v28, v19
	v_fmac_f32_e32 v25, 0x32a5705f, v0
	v_sub_f32_e32 v18, v18, v26
	v_add_f32_e32 v17, v17, v23
	v_fma_f32 v29, v2, s5, -v20
	v_rndne_f32_e32 v30, v20
	v_cvt_i32_f32_e32 v24, v24
	v_fmac_f32_e32 v27, 0x32a5705f, v3
	v_sub_f32_e32 v19, v19, v28
	v_add_f32_e32 v18, v18, v25
	v_exp_f32_e32 v17, v17
	v_cvt_i32_f32_e32 v26, v26
	v_fmac_f32_e32 v29, 0x32a5705f, v2
	v_sub_f32_e32 v20, v20, v30
	v_add_f32_e32 v19, v19, v27
	v_exp_f32_e32 v18, v18
	v_cvt_i32_f32_e32 v28, v28
	v_add_f32_e32 v20, v20, v29
	v_exp_f32_e32 v19, v19
	v_cvt_i32_f32_e32 v30, v30
	v_exp_f32_e32 v20, v20
	v_ldexp_f32 v17, v17, v24
	v_cmp_ngt_f32_e32 vcc, s2, v1
	v_ldexp_f32 v18, v18, v26
	v_ldexp_f32 v19, v19, v28
	v_cndmask_b32_e32 v17, 0, v17, vcc
	v_cmp_ngt_f32_e32 vcc, s2, v0
	v_ldexp_f32 v20, v20, v30
	v_sub_f32_e32 v15, v13, v11
	v_cndmask_b32_e32 v18, 0, v18, vcc
	v_cmp_ngt_f32_e32 vcc, s2, v3
	v_sub_f32_e32 v13, v13, v9
	v_sub_f32_e32 v16, v12, v10
	v_cndmask_b32_e32 v19, 0, v19, vcc
	v_cmp_ngt_f32_e32 vcc, s2, v2
	v_sub_f32_e32 v12, v12, v8
	v_mul_f32_e32 v21, 0x3fb8aa3b, v13
	v_cndmask_b32_e32 v20, 0, v20, vcc
	v_cmp_nlt_f32_e32 vcc, s4, v1
	v_mul_f32_e32 v22, 0x3fb8aa3b, v12
	v_fma_f32 v31, v13, s5, -v21
	v_cndmask_b32_e32 v1, v14, v17, vcc
	v_cmp_nlt_f32_e32 vcc, s4, v0
	v_rndne_f32_e32 v32, v21
	v_fma_f32 v33, v12, s5, -v22
	v_cndmask_b32_e32 v0, v14, v18, vcc
	v_cvt_f16_f32_e32 v17, v0
	v_cvt_f16_f32_e32 v18, v1
	v_rndne_f32_e32 v34, v22
	v_fmac_f32_e32 v31, 0x32a5705f, v13
	v_sub_f32_e32 v21, v21, v32
	v_cmp_nlt_f32_e32 vcc, s4, v3
	v_fmac_f32_e32 v33, 0x32a5705f, v12
	v_add_f32_e32 v21, v21, v31
	v_cndmask_b32_e32 v3, v14, v19, vcc
	v_cmp_nlt_f32_e32 vcc, s4, v2
	v_pk_mul_f16 v106, v17, v106 op_sel_hi:[0,1]
	v_pk_mul_f16 v108, v17, v108 op_sel_hi:[0,1]
	v_sub_f32_e32 v17, v22, v34
	v_cvt_i32_f32_e32 v32, v32
	v_exp_f32_e32 v21, v21
	v_cndmask_b32_e32 v2, v14, v20, vcc
	v_add_f32_e32 v17, v17, v33
	v_cvt_f16_f32_e32 v19, v2
	v_pk_mul_f16 v104, v18, v104 op_sel_hi:[0,1]
	v_pk_mul_f16 v105, v18, v105 op_sel_hi:[0,1]
	v_exp_f32_e32 v17, v17
	v_cvt_i32_f32_e32 v18, v34
	v_cvt_f16_f32_e32 v20, v3
	v_ldexp_f32 v21, v21, v32
	v_cmp_ngt_f32_e32 vcc, s2, v13
	v_pk_mul_f16 v102, v19, v102 op_sel_hi:[0,1]
	v_pk_mul_f16 v103, v19, v103 op_sel_hi:[0,1]
	v_cndmask_b32_e32 v19, 0, v21, vcc
	v_cmp_nlt_f32_e32 vcc, s4, v13
	v_ldexp_f32 v17, v17, v18
	v_mul_f32_e32 v18, 0x3fb8aa3b, v15
	v_pk_mul_f16 v101, v20, v101 op_sel_hi:[0,1]
	v_pk_mul_f16 v100, v20, v100 op_sel_hi:[0,1]
	v_cndmask_b32_e32 v13, v14, v19, vcc
	v_fma_f32 v19, v15, s5, -v18
	v_rndne_f32_e32 v20, v18
	v_fmac_f32_e32 v19, 0x32a5705f, v15
	v_sub_f32_e32 v18, v18, v20
	v_add_f32_e32 v18, v18, v19
	v_exp_f32_e32 v18, v18
	v_cvt_i32_f32_e32 v19, v20
	v_cmp_ngt_f32_e32 vcc, s2, v12
	s_nop 1
	v_cndmask_b32_e32 v17, 0, v17, vcc
	v_cmp_nlt_f32_e32 vcc, s4, v12
	s_nop 1
	v_cndmask_b32_e32 v12, v14, v17, vcc
	v_ldexp_f32 v17, v18, v19
	v_mul_f32_e32 v18, 0x3fb8aa3b, v16
	v_fma_f32 v19, v16, s5, -v18
	v_rndne_f32_e32 v20, v18
	v_fmac_f32_e32 v19, 0x32a5705f, v16
	v_sub_f32_e32 v18, v18, v20
	v_add_f32_e32 v18, v18, v19
	v_exp_f32_e32 v18, v18
	v_cvt_i32_f32_e32 v19, v20
	v_cmp_ngt_f32_e32 vcc, s2, v15
	v_pk_fma_f32 v[6:7], v[6:7], v[0:1], v[12:13]
	s_nop 0
	v_cndmask_b32_e32 v17, 0, v17, vcc
	v_cmp_nlt_f32_e32 vcc, s4, v15
	s_nop 1
	v_cndmask_b32_e32 v15, v14, v17, vcc
	v_ldexp_f32 v17, v18, v19
	v_cmp_ngt_f32_e32 vcc, s2, v16
	s_nop 1
	v_cndmask_b32_e32 v17, 0, v17, vcc
	v_cmp_nlt_f32_e32 vcc, s4, v16
	s_nop 1
	v_cndmask_b32_e32 v14, v14, v17, vcc
	v_pk_fma_f32 v[4:5], v[4:5], v[2:3], v[14:15]
	v_mov_b64_e32 v[0:1], v[8:9]
	v_mov_b64_e32 v[2:3], v[10:11]
.LBB37_43:
	v_lshlrev_b32_e32 v8, 1, v99
	v_add_u32_e32 v9, s33, v8
	v_cmp_gt_i32_e32 vcc, s54, v9
	s_and_saveexec_b64 s[4:5], vcc
	s_cbranch_execz .LBB37_70
; %bb.44:
	s_load_dword s2, s[0:1], 0xd4
	v_mov_b32_e32 v10, 1.0
	s_waitcnt lgkmcnt(0)
	s_cmp_lg_u32 s2, 1
	s_cselect_b64 s[0:1], -1, 0
	s_cmp_eq_u32 s2, 1
	s_cselect_b64 s[6:7], -1, 0
	s_and_b64 vcc, exec, s[0:1]
	s_cbranch_vccnz .LBB37_46
; %bb.45:
	v_div_scale_f32 v9, s[4:5], v6, v6, 1.0
	v_rcp_f32_e32 v10, v9
	v_div_scale_f32 v11, vcc, 1.0, v6, 1.0
	v_fma_f32 v12, -v9, v10, 1.0
	v_fmac_f32_e32 v10, v12, v10
	v_mul_f32_e32 v12, v11, v10
	v_fma_f32 v13, -v9, v12, v11
	v_fmac_f32_e32 v12, v13, v10
	v_fma_f32 v9, -v9, v12, v11
	v_div_fmas_f32 v9, v9, v10, v12
	v_div_fixup_f32 v10, v9, v6, 1.0
.LBB37_46:
	s_mul_i32 s8, s60, s54
	s_add_i32 s8, s8, s33
	v_add_u32_e32 v8, s8, v8
	v_mul_lo_u32 v11, v8, s55
	v_add_u32_e32 v8, s34, v11
	v_mul_lo_u32 v8, s2, v8
	v_add_u32_e32 v8, s3, v8
	s_and_saveexec_b64 s[4:5], s[30:31]
	s_cbranch_execz .LBB37_48
; %bb.47:
	v_cvt_f32_f16_sdwa v15, v106 dst_sel:DWORD dst_unused:UNUSED_PAD src0_sel:WORD_1
	v_cvt_f32_f16_e32 v14, v106
	v_cvt_f32_f16_sdwa v17, v108 dst_sel:DWORD dst_unused:UNUSED_PAD src0_sel:WORD_1
	v_cvt_f32_f16_e32 v16, v108
	s_movk_i32 s9, 0x70
	v_mad_u64_u32 v[12:13], s[10:11], v8, s9, v[68:69]
	v_mov_b32_e32 v13, 0
	v_lshl_add_u64 v[18:19], v[12:13], 2, s[48:49]
	v_pk_mul_f32 v[12:13], v[10:11], v[14:15] op_sel_hi:[0,1]
	v_pk_mul_f32 v[14:15], v[10:11], v[16:17] op_sel_hi:[0,1]
	global_store_dwordx4 v[18:19], v[12:15], off
.LBB37_48:
	s_or_b64 exec, exec, s[4:5]
	v_cmp_eq_u32_e32 vcc, 0, v98
	s_and_b64 s[4:5], vcc, s[0:1]
	s_and_saveexec_b64 s[0:1], s[4:5]
	s_cbranch_execz .LBB37_50
; %bb.49:
	v_ashrrev_i32_e32 v9, 31, v8
	v_lshl_add_u64 v[8:9], v[8:9], 3, s[50:51]
	v_mov_b32_e32 v12, v0
	v_mov_b32_e32 v13, v6
	global_store_dwordx2 v[8:9], v[12:13], off
.LBB37_50:
	s_or_b64 exec, exec, s[0:1]
	v_cndmask_b32_e64 v0, 0, 1, s[6:7]
	v_cmp_ne_u32_e64 s[0:1], 1, v0
	s_andn2_b64 vcc, exec, s[6:7]
	v_mov_b32_e32 v0, 1.0
	s_cbranch_vccnz .LBB37_52
; %bb.51:
	v_div_scale_f32 v0, s[6:7], v7, v7, 1.0
	v_rcp_f32_e32 v6, v0
	v_div_scale_f32 v8, vcc, 1.0, v7, 1.0
	v_fma_f32 v9, -v0, v6, 1.0
	v_fmac_f32_e32 v6, v9, v6
	v_mul_f32_e32 v9, v8, v6
	v_fma_f32 v10, -v0, v9, v8
	v_fmac_f32_e32 v9, v10, v6
	v_fma_f32 v0, -v0, v9, v8
	v_div_fmas_f32 v0, v0, v6, v9
	v_div_fixup_f32 v0, v0, v7, 1.0
.LBB37_52:
	s_add_i32 s9, s34, 1
	v_add_u32_e32 v6, s9, v11
	v_mul_lo_u32 v6, s2, v6
	v_add_u32_e32 v8, s3, v6
	s_and_saveexec_b64 s[6:7], s[30:31]
	s_cbranch_execz .LBB37_54
; %bb.53:
	v_cvt_f32_f16_sdwa v13, v104 dst_sel:DWORD dst_unused:UNUSED_PAD src0_sel:WORD_1
	v_cvt_f32_f16_e32 v12, v104
	v_cvt_f32_f16_sdwa v15, v105 dst_sel:DWORD dst_unused:UNUSED_PAD src0_sel:WORD_1
	v_cvt_f32_f16_e32 v14, v105
	s_movk_i32 s10, 0x70
	v_mad_u64_u32 v[10:11], s[10:11], v8, s10, v[68:69]
	v_mov_b32_e32 v11, 0
	v_lshl_add_u64 v[16:17], v[10:11], 2, s[48:49]
	v_pk_mul_f32 v[10:11], v[0:1], v[12:13] op_sel_hi:[0,1]
	v_pk_mul_f32 v[12:13], v[0:1], v[14:15] op_sel_hi:[0,1]
	global_store_dwordx4 v[16:17], v[10:13], off
.LBB37_54:
	s_or_b64 exec, exec, s[6:7]
	s_and_saveexec_b64 s[6:7], s[4:5]
	s_cbranch_execz .LBB37_56
; %bb.55:
	v_ashrrev_i32_e32 v9, 31, v8
	v_lshl_add_u64 v[8:9], v[8:9], 3, s[50:51]
	v_mov_b32_e32 v6, v1
	global_store_dwordx2 v[8:9], v[6:7], off
.LBB37_56:
	s_or_b64 exec, exec, s[6:7]
	v_add_u32_e32 v0, s33, v87
	v_cmp_gt_i32_e32 vcc, s54, v0
	s_and_b64 exec, exec, vcc
	s_cbranch_execz .LBB37_70
; %bb.57:
	s_and_b64 vcc, exec, s[0:1]
	v_mov_b32_e32 v6, 1.0
	s_cbranch_vccnz .LBB37_59
; %bb.58:
	v_div_scale_f32 v0, s[6:7], v4, v4, 1.0
	v_rcp_f32_e32 v1, v0
	v_div_scale_f32 v6, vcc, 1.0, v4, 1.0
	v_fma_f32 v7, -v0, v1, 1.0
	v_fmac_f32_e32 v1, v7, v1
	v_mul_f32_e32 v7, v6, v1
	v_fma_f32 v8, -v0, v7, v6
	v_fmac_f32_e32 v7, v8, v1
	v_fma_f32 v0, -v0, v7, v6
	v_div_fmas_f32 v0, v0, v1, v7
	v_div_fixup_f32 v6, v0, v4, 1.0
.LBB37_59:
	v_add_u32_e32 v0, s8, v87
	v_mul_lo_u32 v0, v0, s55
	v_add_u32_e32 v0, s34, v0
	v_mul_lo_u32 v0, s2, v0
	v_add_u32_e32 v0, s3, v0
	s_and_saveexec_b64 s[6:7], s[30:31]
	s_cbranch_execz .LBB37_61
; %bb.60:
	v_cvt_f32_f16_sdwa v11, v102 dst_sel:DWORD dst_unused:UNUSED_PAD src0_sel:WORD_1
	v_cvt_f32_f16_e32 v10, v102
	v_cvt_f32_f16_sdwa v13, v103 dst_sel:DWORD dst_unused:UNUSED_PAD src0_sel:WORD_1
	v_cvt_f32_f16_e32 v12, v103
	s_movk_i32 s10, 0x70
	v_mad_u64_u32 v[8:9], s[10:11], v0, s10, v[68:69]
	v_mov_b32_e32 v9, 0
	v_lshl_add_u64 v[14:15], v[8:9], 2, s[48:49]
	v_pk_mul_f32 v[8:9], v[6:7], v[10:11] op_sel_hi:[0,1]
	v_pk_mul_f32 v[10:11], v[6:7], v[12:13] op_sel_hi:[0,1]
	global_store_dwordx4 v[14:15], v[8:11], off
.LBB37_61:
	s_or_b64 exec, exec, s[6:7]
	s_and_saveexec_b64 s[6:7], s[4:5]
	s_cbranch_execz .LBB37_63
; %bb.62:
	v_ashrrev_i32_e32 v1, 31, v0
	v_lshl_add_u64 v[0:1], v[0:1], 3, s[50:51]
	v_mov_b32_e32 v6, v2
	v_mov_b32_e32 v7, v4
	global_store_dwordx2 v[0:1], v[6:7], off
.LBB37_63:
	s_or_b64 exec, exec, s[6:7]
	v_lshrrev_b32_e32 v0, 1, v69
	v_add_u32_e32 v1, s33, v0
	v_cmp_gt_i32_e32 vcc, s54, v1
	s_and_b64 exec, exec, vcc
	s_cbranch_execz .LBB37_70
; %bb.64:
	s_and_b64 vcc, exec, s[0:1]
	v_mov_b32_e32 v2, 1.0
	s_cbranch_vccnz .LBB37_66
; %bb.65:
	v_div_scale_f32 v1, s[0:1], v5, v5, 1.0
	v_rcp_f32_e32 v2, v1
	v_div_scale_f32 v4, vcc, 1.0, v5, 1.0
	v_fma_f32 v6, -v1, v2, 1.0
	v_fmac_f32_e32 v2, v6, v2
	v_mul_f32_e32 v6, v4, v2
	v_fma_f32 v7, -v1, v6, v4
	v_fmac_f32_e32 v6, v7, v2
	v_fma_f32 v1, -v1, v6, v4
	v_div_fmas_f32 v1, v1, v2, v6
	v_div_fixup_f32 v2, v1, v5, 1.0
.LBB37_66:
	v_add_u32_e32 v0, s8, v0
	v_mul_lo_u32 v0, v0, s55
	v_add_u32_e32 v0, s9, v0
	v_mul_lo_u32 v0, s2, v0
	v_add_u32_e32 v0, s3, v0
	s_and_saveexec_b64 s[0:1], s[30:31]
	s_cbranch_execz .LBB37_68
; %bb.67:
	v_cvt_f32_f16_sdwa v9, v101 dst_sel:DWORD dst_unused:UNUSED_PAD src0_sel:WORD_1
	v_cvt_f32_f16_e32 v8, v101
	v_cvt_f32_f16_sdwa v11, v100 dst_sel:DWORD dst_unused:UNUSED_PAD src0_sel:WORD_1
	v_cvt_f32_f16_e32 v10, v100
	s_movk_i32 s2, 0x70
	v_mad_u64_u32 v[6:7], s[2:3], v0, s2, v[68:69]
	v_mov_b32_e32 v7, 0
	v_lshl_add_u64 v[12:13], v[6:7], 2, s[48:49]
	v_pk_mul_f32 v[6:7], v[2:3], v[8:9] op_sel_hi:[0,1]
	v_pk_mul_f32 v[8:9], v[2:3], v[10:11] op_sel_hi:[0,1]
	global_store_dwordx4 v[12:13], v[6:9], off
.LBB37_68:
	s_or_b64 exec, exec, s[0:1]
	s_and_b64 exec, exec, s[4:5]
	s_cbranch_execz .LBB37_70
; %bb.69:
	v_ashrrev_i32_e32 v1, 31, v0
	v_lshl_add_u64 v[0:1], v[0:1], 3, s[50:51]
	v_mov_b32_e32 v4, v3
	global_store_dwordx2 v[0:1], v[4:5], off
.LBB37_70:
	s_endpgm
	.section	.rodata,"a",@progbits
	.p2align	6, 0x0
	.amdhsa_kernel _ZL15flash_attn_tileILi112ELi112ELi16ELi2ELb0EEvPKcS1_S1_S1_S1_PKiPfP15HIP_vector_typeIfLj2EEffffjfiS5_IjLj3EEiiiiiiiiiiiliiliiiiil
		.amdhsa_group_segment_fixed_size 13376
		.amdhsa_private_segment_fixed_size 0
		.amdhsa_kernarg_size 464
		.amdhsa_user_sgpr_count 2
		.amdhsa_user_sgpr_dispatch_ptr 0
		.amdhsa_user_sgpr_queue_ptr 0
		.amdhsa_user_sgpr_kernarg_segment_ptr 1
		.amdhsa_user_sgpr_dispatch_id 0
		.amdhsa_user_sgpr_kernarg_preload_length 0
		.amdhsa_user_sgpr_kernarg_preload_offset 0
		.amdhsa_user_sgpr_private_segment_size 0
		.amdhsa_uses_dynamic_stack 0
		.amdhsa_enable_private_segment 0
		.amdhsa_system_sgpr_workgroup_id_x 1
		.amdhsa_system_sgpr_workgroup_id_y 1
		.amdhsa_system_sgpr_workgroup_id_z 1
		.amdhsa_system_sgpr_workgroup_info 0
		.amdhsa_system_vgpr_workitem_id 1
		.amdhsa_next_free_vgpr 140
		.amdhsa_next_free_sgpr 63
		.amdhsa_accum_offset 140
		.amdhsa_reserve_vcc 1
		.amdhsa_float_round_mode_32 0
		.amdhsa_float_round_mode_16_64 0
		.amdhsa_float_denorm_mode_32 3
		.amdhsa_float_denorm_mode_16_64 3
		.amdhsa_dx10_clamp 1
		.amdhsa_ieee_mode 1
		.amdhsa_fp16_overflow 0
		.amdhsa_tg_split 0
		.amdhsa_exception_fp_ieee_invalid_op 0
		.amdhsa_exception_fp_denorm_src 0
		.amdhsa_exception_fp_ieee_div_zero 0
		.amdhsa_exception_fp_ieee_overflow 0
		.amdhsa_exception_fp_ieee_underflow 0
		.amdhsa_exception_fp_ieee_inexact 0
		.amdhsa_exception_int_div_zero 0
	.end_amdhsa_kernel
	.section	.text._ZL15flash_attn_tileILi112ELi112ELi16ELi2ELb0EEvPKcS1_S1_S1_S1_PKiPfP15HIP_vector_typeIfLj2EEffffjfiS5_IjLj3EEiiiiiiiiiiiliiliiiiil,"axG",@progbits,_ZL15flash_attn_tileILi112ELi112ELi16ELi2ELb0EEvPKcS1_S1_S1_S1_PKiPfP15HIP_vector_typeIfLj2EEffffjfiS5_IjLj3EEiiiiiiiiiiiliiliiiiil,comdat
.Lfunc_end37:
	.size	_ZL15flash_attn_tileILi112ELi112ELi16ELi2ELb0EEvPKcS1_S1_S1_S1_PKiPfP15HIP_vector_typeIfLj2EEffffjfiS5_IjLj3EEiiiiiiiiiiiliiliiiiil, .Lfunc_end37-_ZL15flash_attn_tileILi112ELi112ELi16ELi2ELb0EEvPKcS1_S1_S1_S1_PKiPfP15HIP_vector_typeIfLj2EEffffjfiS5_IjLj3EEiiiiiiiiiiiliiliiiiil
                                        ; -- End function
	.section	.AMDGPU.csdata,"",@progbits
; Kernel info:
; codeLenInByte = 12392
; NumSgprs: 69
; NumVgprs: 140
; NumAgprs: 0
; TotalNumVgprs: 140
; ScratchSize: 0
; MemoryBound: 0
; FloatMode: 240
; IeeeMode: 1
; LDSByteSize: 13376 bytes/workgroup (compile time only)
; SGPRBlocks: 8
; VGPRBlocks: 17
; NumSGPRsForWavesPerEU: 69
; NumVGPRsForWavesPerEU: 140
; AccumOffset: 140
; Occupancy: 3
; WaveLimiterHint : 1
; COMPUTE_PGM_RSRC2:SCRATCH_EN: 0
; COMPUTE_PGM_RSRC2:USER_SGPR: 2
; COMPUTE_PGM_RSRC2:TRAP_HANDLER: 0
; COMPUTE_PGM_RSRC2:TGID_X_EN: 1
; COMPUTE_PGM_RSRC2:TGID_Y_EN: 1
; COMPUTE_PGM_RSRC2:TGID_Z_EN: 1
; COMPUTE_PGM_RSRC2:TIDIG_COMP_CNT: 1
; COMPUTE_PGM_RSRC3_GFX90A:ACCUM_OFFSET: 34
; COMPUTE_PGM_RSRC3_GFX90A:TG_SPLIT: 0
	.section	.text._ZL33flash_attn_stream_k_fixup_uniformILi112ELi16ELi2EEvPfPK15HIP_vector_typeIfLj2EEiiiiiiS1_IjLj3EES5_S5_,"axG",@progbits,_ZL33flash_attn_stream_k_fixup_uniformILi112ELi16ELi2EEvPfPK15HIP_vector_typeIfLj2EEiiiiiiS1_IjLj3EES5_S5_,comdat
	.globl	_ZL33flash_attn_stream_k_fixup_uniformILi112ELi16ELi2EEvPfPK15HIP_vector_typeIfLj2EEiiiiiiS1_IjLj3EES5_S5_ ; -- Begin function _ZL33flash_attn_stream_k_fixup_uniformILi112ELi16ELi2EEvPfPK15HIP_vector_typeIfLj2EEiiiiiiS1_IjLj3EES5_S5_
	.p2align	8
	.type	_ZL33flash_attn_stream_k_fixup_uniformILi112ELi16ELi2EEvPfPK15HIP_vector_typeIfLj2EEiiiiiiS1_IjLj3EES5_S5_,@function
_ZL33flash_attn_stream_k_fixup_uniformILi112ELi16ELi2EEvPfPK15HIP_vector_typeIfLj2EEiiiiiiS1_IjLj3EES5_S5_: ; @_ZL33flash_attn_stream_k_fixup_uniformILi112ELi16ELi2EEvPfPK15HIP_vector_typeIfLj2EEiiiiiiS1_IjLj3EES5_S5_
; %bb.0:
	s_load_dwordx8 s[8:15], s[0:1], 0x1c
	s_load_dwordx2 s[6:7], s[0:1], 0x10
	s_load_dwordx4 s[16:19], s[0:1], 0x3c
	s_waitcnt lgkmcnt(0)
	s_mul_hi_u32 s5, s11, s2
	s_add_i32 s5, s2, s5
	s_lshr_b32 s5, s5, s12
	s_mul_i32 s11, s5, s13
	s_sub_i32 s12, s2, s11
	s_mul_hi_u32 s11, s12, s14
	s_add_i32 s11, s12, s11
	s_lshr_b32 s11, s11, s15
	s_mul_i32 s13, s11, s16
	s_sub_i32 s12, s12, s13
	;; [unrolled: 5-line block ×3, first 2 shown]
	s_lshl_b32 s12, s16, 4
	s_lshl_b32 s17, s13, 1
	s_add_i32 s12, s12, s3
	s_cmp_lt_i32 s12, s6
	s_cselect_b64 s[12:13], -1, 0
	s_add_i32 s17, s17, s4
	s_cmp_lt_i32 s17, s9
	s_cselect_b64 s[14:15], -1, 0
	s_and_b64 s[12:13], s[12:13], s[14:15]
	s_andn2_b64 vcc, exec, s[12:13]
	s_cbranch_vccnz .LBB38_6
; %bb.1:
	s_load_dwordx4 s[12:15], s[0:1], 0x0
	s_mul_i32 s0, s5, s6
	s_mul_i32 s11, s11, s9
	s_add_i32 s0, s0, s3
	s_mul_i32 s0, s0, s7
	s_add_i32 s5, s17, s11
	;; [unrolled: 2-line block ×3, first 2 shown]
	s_mulk_i32 s1, 0x700
	s_mulk_i32 s0, 0x70
	s_add_i32 s0, s0, s1
	v_add_u32_e32 v4, s0, v0
	s_waitcnt lgkmcnt(0)
	v_mov_b32_e32 v2, s12
	v_mov_b32_e32 v3, s13
	v_ashrrev_i32_e32 v5, 31, v4
	v_lshl_add_u64 v[2:3], v[4:5], 2, v[2:3]
	global_load_dword v7, v[2:3], off
	s_mul_i32 s5, s2, s10
	s_lshl_b32 s11, s3, 1
	s_add_i32 s9, s5, s10
	s_add_i32 s0, s11, s4
	s_lshl_b32 s1, s9, 5
	s_add_i32 s0, s0, s1
	s_sub_i32 s0, s0, 32
	s_ashr_i32 s1, s0, 31
	s_lshl_b64 s[0:1], s[0:1], 3
	s_add_u32 s0, s14, s0
	s_addc_u32 s1, s15, s1
	s_load_dword s12, s[0:1], 0x4
	s_add_i32 s6, s9, -2
	s_cmp_lt_i32 s6, s5
	s_cbranch_scc1 .LBB38_4
; %bb.2:
	s_lshl_b32 s6, s8, 7
	s_ashr_i32 s7, s6, 31
	s_lshl_b64 s[6:7], s[6:7], 2
	s_add_u32 s6, s14, s6
	s_addc_u32 s7, s15, s7
	s_add_i32 s2, s2, 1
	s_load_dword s0, s[0:1], 0x0
	s_mul_i32 s1, s10, s2
	s_lshl_b32 s2, s1, 5
	s_add_i32 s2, s4, s2
	s_mulk_i32 s3, 0xe0
	s_mulk_i32 s4, 0x70
	s_lshl_b32 s8, s8, 5
	s_mulk_i32 s1, 0xe00
	s_add_i32 s3, s4, s3
	s_add_i32 s2, s2, s8
	;; [unrolled: 1-line block ×4, first 2 shown]
	v_add_u32_e32 v0, s3, v0
	s_add_i32 s9, s9, -1
	s_sub_i32 s2, s2, 64
	v_add_u32_e32 v0, 0xffffe400, v0
	s_waitcnt lgkmcnt(0)
	v_mov_b32_e32 v6, s12
	v_mov_b32_e32 v5, s0
	s_mov_b32 s4, 0x3fb8aa3b
	s_mov_b32 s8, 0xc2ce8ed0
	s_mov_b32 s10, 0x42b17218
	v_mov_b32_e32 v4, 0x7f800000
	s_mov_b32 s11, 0xc1a00000
.LBB38_3:                               ; =>This Inner Loop Header: Depth=1
	v_ashrrev_i32_e32 v1, 31, v0
	v_lshl_add_u64 v[8:9], v[0:1], 2, s[6:7]
	global_load_dword v1, v[8:9], off
	s_ashr_i32 s3, s2, 31
	s_lshl_b64 s[0:1], s[2:3], 3
	s_add_u32 s0, s14, s0
	s_addc_u32 s1, s15, s1
	s_load_dwordx2 s[12:13], s[0:1], 0x0
	s_waitcnt vmcnt(1)
	v_mov_b32_e32 v8, v7
	v_max_f32_e32 v7, v5, v5
	v_mov_b32_e32 v9, v6
	s_add_i32 s9, s9, -1
	s_waitcnt lgkmcnt(0)
	v_max_f32_e64 v6, s12, s12
	v_max_f32_e32 v6, v7, v6
	v_sub_f32_e32 v10, s12, v6
	v_sub_f32_e32 v7, v5, v6
	v_mul_f32_e32 v11, 0x3fb8aa3b, v10
	v_mov_b32_e32 v5, v6
	v_mul_f32_e32 v6, 0x3fb8aa3b, v7
	v_fma_f32 v14, v10, s4, -v11
	v_rndne_f32_e32 v15, v11
	v_fma_f32 v12, v7, s4, -v6
	v_rndne_f32_e32 v13, v6
	v_fmac_f32_e32 v14, 0x32a5705f, v10
	v_sub_f32_e32 v11, v11, v15
	v_fmac_f32_e32 v12, 0x32a5705f, v7
	v_sub_f32_e32 v6, v6, v13
	v_add_f32_e32 v11, v11, v14
	v_cvt_i32_f32_e32 v15, v15
	v_add_f32_e32 v6, v6, v12
	v_exp_f32_e32 v11, v11
	v_cvt_i32_f32_e32 v13, v13
	v_exp_f32_e32 v6, v6
	v_cmp_ngt_f32_e32 vcc, s8, v10
	v_ldexp_f32 v11, v11, v15
	v_cmp_ngt_f32_e64 s[0:1], s8, v7
	v_ldexp_f32 v6, v6, v13
	v_cndmask_b32_e32 v11, 0, v11, vcc
	v_cmp_nlt_f32_e32 vcc, s10, v10
	v_cndmask_b32_e64 v6, 0, v6, s[0:1]
	v_cmp_nlt_f32_e64 s[0:1], s10, v7
	v_cndmask_b32_e32 v11, v4, v11, vcc
	v_cmp_le_f32_e32 vcc, s11, v10
	v_cndmask_b32_e64 v6, v4, v6, s[0:1]
	v_cmp_le_f32_e64 s[0:1], s11, v7
	v_cndmask_b32_e32 v7, 0, v11, vcc
	s_sub_i32 s2, s2, 32
	v_cndmask_b32_e64 v10, 0, v6, s[0:1]
	v_mul_f32_e32 v6, s13, v7
	v_add_u32_e32 v0, 0xfffff200, v0
	s_cmp_le_i32 s9, s5
	v_fmac_f32_e32 v6, v9, v10
	s_waitcnt vmcnt(0)
	v_mul_f32_e32 v7, v1, v7
	v_fmac_f32_e32 v7, v8, v10
	s_cbranch_scc0 .LBB38_3
	s_branch .LBB38_5
.LBB38_4:
	s_waitcnt lgkmcnt(0)
	v_mov_b32_e32 v6, s12
.LBB38_5:
	s_waitcnt vmcnt(0)
	v_div_scale_f32 v0, s[0:1], v6, v6, v7
	v_rcp_f32_e32 v1, v0
	v_div_scale_f32 v4, vcc, v7, v6, v7
	v_fma_f32 v5, -v0, v1, 1.0
	v_fmac_f32_e32 v1, v5, v1
	v_mul_f32_e32 v5, v4, v1
	v_fma_f32 v8, -v0, v5, v4
	v_fmac_f32_e32 v5, v8, v1
	v_fma_f32 v0, -v0, v5, v4
	v_div_fmas_f32 v0, v0, v1, v5
	v_div_fixup_f32 v0, v0, v6, v7
	global_store_dword v[2:3], v0, off
.LBB38_6:
	s_endpgm
	.section	.rodata,"a",@progbits
	.p2align	6, 0x0
	.amdhsa_kernel _ZL33flash_attn_stream_k_fixup_uniformILi112ELi16ELi2EEvPfPK15HIP_vector_typeIfLj2EEiiiiiiS1_IjLj3EES5_S5_
		.amdhsa_group_segment_fixed_size 0
		.amdhsa_private_segment_fixed_size 0
		.amdhsa_kernarg_size 76
		.amdhsa_user_sgpr_count 2
		.amdhsa_user_sgpr_dispatch_ptr 0
		.amdhsa_user_sgpr_queue_ptr 0
		.amdhsa_user_sgpr_kernarg_segment_ptr 1
		.amdhsa_user_sgpr_dispatch_id 0
		.amdhsa_user_sgpr_kernarg_preload_length 0
		.amdhsa_user_sgpr_kernarg_preload_offset 0
		.amdhsa_user_sgpr_private_segment_size 0
		.amdhsa_uses_dynamic_stack 0
		.amdhsa_enable_private_segment 0
		.amdhsa_system_sgpr_workgroup_id_x 1
		.amdhsa_system_sgpr_workgroup_id_y 1
		.amdhsa_system_sgpr_workgroup_id_z 1
		.amdhsa_system_sgpr_workgroup_info 0
		.amdhsa_system_vgpr_workitem_id 0
		.amdhsa_next_free_vgpr 16
		.amdhsa_next_free_sgpr 20
		.amdhsa_accum_offset 16
		.amdhsa_reserve_vcc 1
		.amdhsa_float_round_mode_32 0
		.amdhsa_float_round_mode_16_64 0
		.amdhsa_float_denorm_mode_32 3
		.amdhsa_float_denorm_mode_16_64 3
		.amdhsa_dx10_clamp 1
		.amdhsa_ieee_mode 1
		.amdhsa_fp16_overflow 0
		.amdhsa_tg_split 0
		.amdhsa_exception_fp_ieee_invalid_op 0
		.amdhsa_exception_fp_denorm_src 0
		.amdhsa_exception_fp_ieee_div_zero 0
		.amdhsa_exception_fp_ieee_overflow 0
		.amdhsa_exception_fp_ieee_underflow 0
		.amdhsa_exception_fp_ieee_inexact 0
		.amdhsa_exception_int_div_zero 0
	.end_amdhsa_kernel
	.section	.text._ZL33flash_attn_stream_k_fixup_uniformILi112ELi16ELi2EEvPfPK15HIP_vector_typeIfLj2EEiiiiiiS1_IjLj3EES5_S5_,"axG",@progbits,_ZL33flash_attn_stream_k_fixup_uniformILi112ELi16ELi2EEvPfPK15HIP_vector_typeIfLj2EEiiiiiiS1_IjLj3EES5_S5_,comdat
.Lfunc_end38:
	.size	_ZL33flash_attn_stream_k_fixup_uniformILi112ELi16ELi2EEvPfPK15HIP_vector_typeIfLj2EEiiiiiiS1_IjLj3EES5_S5_, .Lfunc_end38-_ZL33flash_attn_stream_k_fixup_uniformILi112ELi16ELi2EEvPfPK15HIP_vector_typeIfLj2EEiiiiiiS1_IjLj3EES5_S5_
                                        ; -- End function
	.section	.AMDGPU.csdata,"",@progbits
; Kernel info:
; codeLenInByte = 836
; NumSgprs: 26
; NumVgprs: 16
; NumAgprs: 0
; TotalNumVgprs: 16
; ScratchSize: 0
; MemoryBound: 0
; FloatMode: 240
; IeeeMode: 1
; LDSByteSize: 0 bytes/workgroup (compile time only)
; SGPRBlocks: 3
; VGPRBlocks: 1
; NumSGPRsForWavesPerEU: 26
; NumVGPRsForWavesPerEU: 16
; AccumOffset: 16
; Occupancy: 8
; WaveLimiterHint : 0
; COMPUTE_PGM_RSRC2:SCRATCH_EN: 0
; COMPUTE_PGM_RSRC2:USER_SGPR: 2
; COMPUTE_PGM_RSRC2:TRAP_HANDLER: 0
; COMPUTE_PGM_RSRC2:TGID_X_EN: 1
; COMPUTE_PGM_RSRC2:TGID_Y_EN: 1
; COMPUTE_PGM_RSRC2:TGID_Z_EN: 1
; COMPUTE_PGM_RSRC2:TIDIG_COMP_CNT: 0
; COMPUTE_PGM_RSRC3_GFX90A:ACCUM_OFFSET: 3
; COMPUTE_PGM_RSRC3_GFX90A:TG_SPLIT: 0
	.section	.text._ZL33flash_attn_stream_k_fixup_generalILi112ELi16ELi2EEvPfPK15HIP_vector_typeIfLj2EEiiiiS1_IjLj3EES5_S5_S5_,"axG",@progbits,_ZL33flash_attn_stream_k_fixup_generalILi112ELi16ELi2EEvPfPK15HIP_vector_typeIfLj2EEiiiiS1_IjLj3EES5_S5_S5_,comdat
	.globl	_ZL33flash_attn_stream_k_fixup_generalILi112ELi16ELi2EEvPfPK15HIP_vector_typeIfLj2EEiiiiS1_IjLj3EES5_S5_S5_ ; -- Begin function _ZL33flash_attn_stream_k_fixup_generalILi112ELi16ELi2EEvPfPK15HIP_vector_typeIfLj2EEiiiiS1_IjLj3EES5_S5_S5_
	.p2align	8
	.type	_ZL33flash_attn_stream_k_fixup_generalILi112ELi16ELi2EEvPfPK15HIP_vector_typeIfLj2EEiiiiS1_IjLj3EES5_S5_S5_,@function
_ZL33flash_attn_stream_k_fixup_generalILi112ELi16ELi2EEvPfPK15HIP_vector_typeIfLj2EEiiiiS1_IjLj3EES5_S5_S5_: ; @_ZL33flash_attn_stream_k_fixup_generalILi112ELi16ELi2EEvPfPK15HIP_vector_typeIfLj2EEiiiiS1_IjLj3EES5_S5_S5_
; %bb.0:
	s_load_dwordx4 s[12:15], s[0:1], 0x10
	s_load_dword s22, s[0:1], 0x50
	s_mov_b32 s8, 0
	s_waitcnt lgkmcnt(0)
	s_mul_hi_i32 s9, s15, s2
	s_cmp_lg_u64 s[8:9], 0
	s_mul_i32 s5, s15, s2
	s_cbranch_scc0 .LBB39_21
; %bb.1:
	v_cvt_f32_u32_e32 v1, s22
	v_cvt_f32_ubyte0_e32 v2, 0
	s_sub_u32 s8, 0, s22
	s_subb_u32 s10, 0, 0
	v_fmamk_f32 v1, v2, 0x4f800000, v1
	v_rcp_f32_e32 v1, v1
	s_nop 0
	v_mul_f32_e32 v1, 0x5f7ffffc, v1
	v_mul_f32_e32 v2, 0x2f800000, v1
	v_trunc_f32_e32 v2, v2
	v_fmamk_f32 v1, v2, 0xcf800000, v1
	v_cvt_u32_f32_e32 v2, v2
	v_cvt_u32_f32_e32 v1, v1
	v_readfirstlane_b32 s11, v2
	v_readfirstlane_b32 s16, v1
	s_mul_i32 s17, s8, s11
	s_mul_hi_u32 s19, s8, s16
	s_mul_i32 s18, s10, s16
	s_add_i32 s17, s19, s17
	s_add_i32 s17, s17, s18
	s_mul_i32 s20, s8, s16
	s_mul_hi_u32 s18, s16, s17
	s_mul_i32 s19, s16, s17
	s_mul_hi_u32 s16, s16, s20
	s_add_u32 s16, s16, s19
	s_addc_u32 s18, 0, s18
	s_mul_hi_u32 s21, s11, s20
	s_mul_i32 s20, s11, s20
	s_add_u32 s16, s16, s20
	s_mul_hi_u32 s19, s11, s17
	s_addc_u32 s16, s18, s21
	s_addc_u32 s18, s19, 0
	s_mul_i32 s17, s11, s17
	s_add_u32 s16, s16, s17
	s_addc_u32 s17, 0, s18
	v_add_co_u32_e32 v1, vcc, s16, v1
	s_cmp_lg_u64 vcc, 0
	s_addc_u32 s11, s11, s17
	v_readfirstlane_b32 s17, v1
	s_mul_i32 s16, s8, s11
	s_mul_hi_u32 s18, s8, s17
	s_add_i32 s16, s18, s16
	s_mul_i32 s10, s10, s17
	s_add_i32 s16, s16, s10
	s_mul_i32 s8, s8, s17
	s_mul_hi_u32 s18, s11, s8
	s_mul_i32 s19, s11, s8
	s_mul_i32 s21, s17, s16
	s_mul_hi_u32 s8, s17, s8
	s_mul_hi_u32 s20, s17, s16
	s_add_u32 s8, s8, s21
	s_addc_u32 s17, 0, s20
	s_add_u32 s8, s8, s19
	s_mul_hi_u32 s10, s11, s16
	s_addc_u32 s8, s17, s18
	s_addc_u32 s10, s10, 0
	s_mul_i32 s16, s11, s16
	s_add_u32 s8, s8, s16
	s_addc_u32 s10, 0, s10
	v_add_co_u32_e32 v1, vcc, s8, v1
	s_cmp_lg_u64 vcc, 0
	s_addc_u32 s16, s11, s10
	s_ashr_i32 s10, s9, 31
	s_add_u32 s8, s5, s10
	s_mov_b32 s11, s10
	s_addc_u32 s9, s9, s10
	s_xor_b64 s[8:9], s[8:9], s[10:11]
	v_readfirstlane_b32 s19, v1
	s_mul_i32 s18, s8, s16
	s_mul_hi_u32 s20, s8, s19
	s_mul_hi_u32 s17, s8, s16
	s_add_u32 s18, s20, s18
	s_addc_u32 s17, 0, s17
	s_mul_hi_u32 s21, s9, s19
	s_mul_i32 s19, s9, s19
	s_add_u32 s18, s18, s19
	s_mul_hi_u32 s20, s9, s16
	s_addc_u32 s17, s17, s21
	s_addc_u32 s18, s20, 0
	s_mul_i32 s16, s9, s16
	s_add_u32 s16, s17, s16
	s_addc_u32 s17, 0, s18
	s_add_u32 s18, s16, 1
	s_addc_u32 s19, s17, 0
	s_add_u32 s20, s16, 2
	s_mul_i32 s23, s22, s17
	s_mul_hi_u32 s24, s22, s16
	s_addc_u32 s21, s17, 0
	s_add_i32 s24, s24, s23
	s_mul_i32 s23, s22, s16
	v_mov_b32_e32 v1, s23
	v_sub_co_u32_e32 v1, vcc, s8, v1
	s_cmp_lg_u64 vcc, 0
	s_subb_u32 s8, s9, s24
	v_subrev_co_u32_e32 v2, vcc, s22, v1
	s_cmp_lg_u64 vcc, 0
	s_subb_u32 s9, s8, 0
	v_readfirstlane_b32 s23, v2
	s_cmp_ge_u32 s23, s22
	s_cselect_b32 s23, -1, 0
	s_cmp_eq_u32 s9, 0
	s_cselect_b32 s9, s23, -1
	s_cmp_lg_u32 s9, 0
	s_cselect_b32 s9, s21, s19
	v_readfirstlane_b32 s19, v1
	s_cselect_b32 s18, s20, s18
	s_cmp_ge_u32 s19, s22
	s_cselect_b32 s19, -1, 0
	s_cmp_eq_u32 s8, 0
	s_cselect_b32 s8, s19, -1
	s_cmp_lg_u32 s8, 0
	s_cselect_b32 s9, s9, s17
	s_cselect_b32 s8, s18, s16
	s_xor_b64 s[8:9], s[8:9], s[10:11]
	s_sub_u32 s20, s8, s10
	s_load_dwordx4 s[16:19], s[0:1], 0x44
	s_cbranch_execnz .LBB39_3
.LBB39_2:
	v_cvt_f32_u32_e32 v1, s22
	s_sub_i32 s6, 0, s22
	v_rcp_iflag_f32_e32 v1, v1
	s_nop 0
	v_mul_f32_e32 v1, 0x4f7ffffe, v1
	v_cvt_u32_f32_e32 v1, v1
	s_nop 0
	v_readfirstlane_b32 s7, v1
	s_mul_i32 s6, s6, s7
	s_mul_hi_u32 s6, s7, s6
	s_add_i32 s7, s7, s6
	s_mul_hi_u32 s6, s5, s7
	s_mul_i32 s8, s6, s22
	s_sub_i32 s5, s5, s8
	s_add_i32 s7, s6, 1
	s_sub_i32 s8, s5, s22
	s_cmp_ge_u32 s5, s22
	s_cselect_b32 s6, s7, s6
	s_cselect_b32 s5, s8, s5
	s_add_i32 s7, s6, 1
	s_cmp_ge_u32 s5, s22
	s_cselect_b32 s20, s7, s6
.LBB39_3:
	s_add_i32 s5, s2, 1
	s_mul_hi_i32 s9, s15, s5
	s_mov_b32 s8, 0
	s_cmp_lg_u64 s[8:9], 0
	s_mul_i32 s5, s15, s5
	s_cbranch_scc0 .LBB39_22
; %bb.4:
	v_cvt_f32_u32_e32 v1, s22
	v_cvt_f32_ubyte0_e32 v2, 0
	s_sub_u32 s8, 0, s22
	s_subb_u32 s10, 0, 0
	v_fmamk_f32 v1, v2, 0x4f800000, v1
	v_rcp_f32_e32 v1, v1
	s_nop 0
	v_mul_f32_e32 v1, 0x5f7ffffc, v1
	v_mul_f32_e32 v2, 0x2f800000, v1
	v_trunc_f32_e32 v2, v2
	v_fmamk_f32 v1, v2, 0xcf800000, v1
	v_cvt_u32_f32_e32 v2, v2
	v_cvt_u32_f32_e32 v1, v1
	v_readfirstlane_b32 s11, v2
	s_waitcnt lgkmcnt(0)
	v_readfirstlane_b32 s19, v1
	s_mul_i32 s21, s8, s11
	s_mul_hi_u32 s24, s8, s19
	s_mul_i32 s23, s10, s19
	s_add_i32 s21, s24, s21
	s_add_i32 s21, s21, s23
	s_mul_i32 s25, s8, s19
	s_mul_hi_u32 s23, s19, s21
	s_mul_i32 s24, s19, s21
	s_mul_hi_u32 s19, s19, s25
	s_add_u32 s19, s19, s24
	s_addc_u32 s23, 0, s23
	s_mul_hi_u32 s26, s11, s25
	s_mul_i32 s25, s11, s25
	s_add_u32 s19, s19, s25
	s_mul_hi_u32 s24, s11, s21
	s_addc_u32 s19, s23, s26
	s_addc_u32 s23, s24, 0
	s_mul_i32 s21, s11, s21
	s_add_u32 s19, s19, s21
	s_addc_u32 s21, 0, s23
	v_add_co_u32_e32 v1, vcc, s19, v1
	s_cmp_lg_u64 vcc, 0
	s_addc_u32 s11, s11, s21
	v_readfirstlane_b32 s21, v1
	s_mul_i32 s19, s8, s11
	s_mul_hi_u32 s23, s8, s21
	s_add_i32 s19, s23, s19
	s_mul_i32 s10, s10, s21
	s_add_i32 s19, s19, s10
	s_mul_i32 s8, s8, s21
	s_mul_hi_u32 s23, s11, s8
	s_mul_i32 s24, s11, s8
	s_mul_i32 s26, s21, s19
	s_mul_hi_u32 s8, s21, s8
	s_mul_hi_u32 s25, s21, s19
	s_add_u32 s8, s8, s26
	s_addc_u32 s21, 0, s25
	s_add_u32 s8, s8, s24
	s_mul_hi_u32 s10, s11, s19
	s_addc_u32 s8, s21, s23
	s_addc_u32 s10, s10, 0
	s_mul_i32 s19, s11, s19
	s_add_u32 s8, s8, s19
	s_addc_u32 s10, 0, s10
	v_add_co_u32_e32 v1, vcc, s8, v1
	s_cmp_lg_u64 vcc, 0
	s_addc_u32 s19, s11, s10
	s_ashr_i32 s10, s9, 31
	s_add_u32 s8, s5, s10
	s_mov_b32 s11, s10
	s_addc_u32 s9, s9, s10
	s_xor_b64 s[8:9], s[8:9], s[10:11]
	v_readfirstlane_b32 s23, v1
	s_mul_i32 s21, s8, s19
	s_mul_hi_u32 s24, s8, s23
	s_mul_hi_u32 s11, s8, s19
	s_add_u32 s21, s24, s21
	s_addc_u32 s11, 0, s11
	s_mul_hi_u32 s25, s9, s23
	s_mul_i32 s23, s9, s23
	s_add_u32 s21, s21, s23
	s_mul_hi_u32 s24, s9, s19
	s_addc_u32 s11, s11, s25
	s_addc_u32 s21, s24, 0
	s_mul_i32 s19, s9, s19
	s_add_u32 s11, s11, s19
	s_addc_u32 s19, 0, s21
	s_mul_i32 s19, s22, s19
	s_mul_hi_u32 s24, s22, s11
	s_add_i32 s24, s24, s19
	s_mul_i32 s19, s22, s11
	v_mov_b32_e32 v1, s19
	s_add_u32 s21, s11, 1
	s_add_u32 s23, s11, 2
	v_sub_co_u32_e32 v1, vcc, s8, v1
	s_cmp_lg_u64 vcc, 0
	s_subb_u32 s8, s9, s24
	v_subrev_co_u32_e32 v2, vcc, s22, v1
	s_cmp_lg_u64 vcc, 0
	s_subb_u32 s9, s8, 0
	v_cmp_le_u32_e32 vcc, s22, v2
	s_cmp_eq_u32 s9, 0
	v_mov_b32_e32 v3, s21
	v_cndmask_b32_e64 v2, 0, -1, vcc
	s_cselect_b64 vcc, -1, 0
	v_cndmask_b32_e32 v2, -1, v2, vcc
	v_mov_b32_e32 v4, s23
	v_cmp_ne_u32_e32 vcc, 0, v2
	s_cmp_eq_u32 s8, 0
	s_nop 0
	v_cndmask_b32_e32 v2, v3, v4, vcc
	v_cmp_le_u32_e32 vcc, s22, v1
	v_mov_b32_e32 v3, s11
	s_nop 0
	v_cndmask_b32_e64 v1, 0, -1, vcc
	s_cselect_b64 vcc, -1, 0
	v_cndmask_b32_e32 v1, -1, v1, vcc
	v_cmp_ne_u32_e32 vcc, 0, v1
	s_nop 1
	v_cndmask_b32_e32 v1, v3, v2, vcc
	v_xor_b32_e32 v1, s10, v1
	v_subrev_co_u32_e32 v2, vcc, s10, v1
	s_cbranch_execnz .LBB39_6
.LBB39_5:
	v_cvt_f32_u32_e32 v1, s22
	s_sub_i32 s6, 0, s22
	s_mov_b32 s7, 0
	v_rcp_iflag_f32_e32 v1, v1
	s_nop 0
	v_mul_f32_e32 v1, 0x4f7ffffe, v1
	v_cvt_u32_f32_e32 v1, v1
	s_nop 0
	v_readfirstlane_b32 s8, v1
	s_mul_i32 s6, s6, s8
	s_mul_hi_u32 s6, s8, s6
	s_add_i32 s8, s8, s6
	s_mul_hi_u32 s6, s5, s8
	s_mul_i32 s9, s6, s22
	s_sub_i32 s5, s5, s9
	s_add_i32 s8, s6, 1
	s_sub_i32 s9, s5, s22
	s_cmp_ge_u32 s5, s22
	s_cselect_b32 s6, s8, s6
	s_cselect_b32 s5, s9, s5
	s_add_i32 s8, s6, 1
	s_cmp_ge_u32 s5, s22
	s_cselect_b32 s6, s8, s6
	v_mov_b64_e32 v[2:3], s[6:7]
.LBB39_6:
	s_waitcnt lgkmcnt(0)
	s_mul_hi_u32 s5, s20, s16
	s_add_i32 s5, s5, s20
	v_mul_hi_u32 v1, v2, s16
	s_lshr_b32 s19, s5, s17
	v_add_u32_e32 v1, v1, v2
	s_mul_i32 s5, s19, s18
	v_lshrrev_b32_e32 v1, s17, v1
	s_cmp_eq_u32 s5, s20
	v_cmp_eq_u32_e64 s[6:7], s19, v1
	v_mul_lo_u32 v1, v1, s18
	v_cmp_eq_u32_e32 vcc, s20, v2
	s_cselect_b64 s[10:11], -1, 0
	v_cmp_ne_u32_e64 s[8:9], v1, v2
	s_and_b64 s[6:7], s[6:7], s[8:9]
	s_or_b64 s[8:9], vcc, s[10:11]
	s_or_b64 s[6:7], s[8:9], s[6:7]
	s_and_b64 vcc, exec, s[6:7]
	s_cbranch_vccnz .LBB39_24
; %bb.7:
	s_load_dwordx8 s[24:31], s[0:1], 0x20
	s_load_dword s5, s[0:1], 0x40
	s_waitcnt lgkmcnt(0)
	s_mul_hi_u32 s6, s20, s24
	s_add_i32 s6, s6, s20
	s_lshr_b32 s7, s6, s25
	s_mul_i32 s6, s7, s26
	s_sub_i32 s6, s20, s6
	s_mul_hi_u32 s8, s6, s27
	s_add_i32 s8, s6, s8
	s_lshr_b32 s23, s8, s28
	s_mul_i32 s8, s23, s29
	s_sub_i32 s6, s6, s8
	;; [unrolled: 5-line block ×3, first 2 shown]
	s_mul_hi_u32 s6, s5, s16
	s_add_i32 s5, s5, s6
	s_lshr_b32 s24, s5, s17
	s_lshl_b32 s5, s24, 4
	s_lshl_b32 s25, s8, 1
	s_add_i32 s5, s5, s3
	s_cmp_lt_i32 s5, s12
	s_cselect_b64 s[8:9], -1, 0
	s_add_i32 s25, s25, s4
	s_cmp_lt_i32 s25, s14
	s_cselect_b64 s[10:11], -1, 0
	s_and_b64 s[8:9], s[8:9], s[10:11]
	s_andn2_b64 vcc, exec, s[8:9]
	s_mov_b32 s6, 0
	s_cbranch_vccnz .LBB39_24
; %bb.8:
	s_load_dwordx4 s[8:11], s[0:1], 0x0
	s_lshl_b32 s21, s3, 1
	s_lshl_b32 s0, s22, 7
	s_mov_b32 s1, s6
	s_add_i32 s21, s21, s4
	s_lshl_b64 s[0:1], s[0:1], 2
	s_waitcnt lgkmcnt(0)
	s_add_u32 s4, s10, s0
	s_mul_i32 s0, s7, s12
	s_addc_u32 s5, s11, s1
	s_mul_i32 s23, s23, s14
	s_add_i32 s0, s0, s3
	s_mul_i32 s0, s0, s13
	s_add_i32 s3, s25, s23
	;; [unrolled: 2-line block ×3, first 2 shown]
	s_mulk_i32 s1, 0x700
	s_mulk_i32 s0, 0x70
	s_add_i32 s1, s1, s0
	v_add_u32_e32 v4, s1, v0
	v_mov_b32_e32 v2, s8
	v_mov_b32_e32 v3, s9
	v_ashrrev_i32_e32 v5, 31, v4
	v_lshl_add_u64 v[2:3], v[4:5], 2, v[2:3]
	global_load_dword v5, v[2:3], off
	s_lshl_b32 s0, s2, 5
	s_add_i32 s0, s21, s0
	s_ashr_i32 s1, s0, 31
	s_lshl_b64 s[0:1], s[0:1], 3
	s_add_u32 s0, s10, s0
	s_addc_u32 s1, s11, s1
	s_add_i32 s12, s2, -1
	s_mul_i32 s2, s21, 0x70
	v_add_u32_e32 v4, s2, v0
	v_cvt_f32_u32_e32 v0, s22
	v_cvt_f32_ubyte0_e32 v1, 0
	s_load_dwordx2 s[0:1], s[0:1], 0x0
	v_mov_b32_e32 v8, s20
	v_fmac_f32_e32 v0, 0x4f800000, v1
	v_rcp_f32_e32 v0, v0
	v_cvt_f32_u32_e32 v1, s22
	s_waitcnt lgkmcnt(0)
	v_mov_b32_e32 v6, s1
	v_mov_b32_e32 v7, s0
	v_mul_f32_e32 v0, 0x5f7ffffc, v0
	v_rcp_iflag_f32_e32 v1, v1
	v_mul_f32_e32 v9, 0x2f800000, v0
	v_trunc_f32_e32 v10, v9
	v_fmac_f32_e32 v0, 0xcf800000, v10
	v_cvt_u32_f32_e32 v9, v0
	v_mul_f32_e32 v0, 0x4f7ffffe, v1
	v_cvt_u32_f32_e32 v10, v10
	v_cvt_u32_f32_e32 v11, v0
	s_mov_b32 s8, 0x3fb8aa3b
	s_mov_b32 s9, 0xc2ce8ed0
	;; [unrolled: 1-line block ×4, first 2 shown]
	v_mov_b32_e32 v12, 0x7f800000
	s_mul_hi_i32 s7, s12, s15
	s_cmp_lg_u64 s[6:7], 0
	s_mul_i32 s2, s12, s15
	s_cbranch_scc0 .LBB39_15
.LBB39_9:
	s_sub_u32 s0, 0, s22
	v_readfirstlane_b32 s3, v9
	v_readfirstlane_b32 s24, v10
	s_subb_u32 s1, 0, 0
	s_mul_hi_u32 s23, s0, s3
	s_mul_i32 s25, s0, s24
	s_mul_i32 s20, s1, s3
	s_add_i32 s23, s23, s25
	s_add_i32 s23, s23, s20
	s_mul_i32 s26, s0, s3
	s_mul_hi_u32 s20, s3, s23
	s_mul_i32 s25, s3, s23
	s_mul_hi_u32 s3, s3, s26
	s_add_u32 s3, s3, s25
	s_addc_u32 s20, 0, s20
	s_mul_hi_u32 s27, s24, s26
	s_mul_i32 s26, s24, s26
	s_add_u32 s3, s3, s26
	s_mul_hi_u32 s25, s24, s23
	s_addc_u32 s3, s20, s27
	s_addc_u32 s20, s25, 0
	s_mul_i32 s23, s24, s23
	s_add_u32 s3, s3, s23
	s_addc_u32 s20, 0, s20
	v_add_co_u32_e32 v0, vcc, s3, v9
	s_cmp_lg_u64 vcc, 0
	s_addc_u32 s3, s24, s20
	v_readfirstlane_b32 s23, v0
	s_mul_i32 s20, s0, s3
	s_mul_hi_u32 s24, s0, s23
	s_add_i32 s20, s24, s20
	s_mul_i32 s1, s1, s23
	s_add_i32 s20, s20, s1
	s_mul_i32 s0, s0, s23
	s_mul_hi_u32 s24, s3, s0
	s_mul_i32 s25, s3, s0
	s_mul_i32 s27, s23, s20
	s_mul_hi_u32 s0, s23, s0
	s_mul_hi_u32 s26, s23, s20
	s_add_u32 s0, s0, s27
	s_addc_u32 s23, 0, s26
	s_add_u32 s0, s0, s25
	s_mul_hi_u32 s1, s3, s20
	s_addc_u32 s0, s23, s24
	s_addc_u32 s1, s1, 0
	s_mul_i32 s20, s3, s20
	s_add_u32 s0, s0, s20
	s_addc_u32 s1, 0, s1
	v_add_co_u32_e32 v0, vcc, s0, v0
	s_cmp_lg_u64 vcc, 0
	s_addc_u32 s3, s3, s1
	s_ashr_i32 s0, s7, 31
	s_add_u32 s24, s2, s0
	s_mov_b32 s1, s0
	s_addc_u32 s25, s7, s0
	s_xor_b64 s[24:25], s[24:25], s[0:1]
	v_readfirstlane_b32 s20, v0
	s_mul_i32 s7, s24, s3
	s_mul_hi_u32 s23, s24, s20
	s_mul_hi_u32 s1, s24, s3
	s_add_u32 s7, s23, s7
	s_addc_u32 s1, 0, s1
	s_mul_hi_u32 s26, s25, s20
	s_mul_i32 s20, s25, s20
	s_add_u32 s7, s7, s20
	s_mul_hi_u32 s23, s25, s3
	s_addc_u32 s1, s1, s26
	s_addc_u32 s7, s23, 0
	s_mul_i32 s3, s25, s3
	s_add_u32 s1, s1, s3
	s_addc_u32 s3, 0, s7
	s_mul_i32 s3, s22, s3
	s_mul_hi_u32 s23, s22, s1
	s_add_i32 s23, s23, s3
	s_mul_i32 s3, s22, s1
	v_mov_b32_e32 v0, s3
	s_add_u32 s7, s1, 1
	s_add_u32 s20, s1, 2
	v_sub_co_u32_e32 v0, vcc, s24, v0
	s_cmp_lg_u64 vcc, 0
	s_subb_u32 s3, s25, s23
	v_subrev_co_u32_e32 v1, vcc, s22, v0
	s_cmp_lg_u64 vcc, 0
	s_subb_u32 s23, s3, 0
	v_cmp_le_u32_e32 vcc, s22, v1
	s_cmp_eq_u32 s23, 0
	v_mov_b32_e32 v13, s7
	v_cndmask_b32_e64 v1, 0, -1, vcc
	s_cselect_b64 vcc, -1, 0
	v_cndmask_b32_e32 v1, -1, v1, vcc
	v_mov_b32_e32 v14, s20
	v_cmp_ne_u32_e32 vcc, 0, v1
	s_cmp_eq_u32 s3, 0
	s_nop 0
	v_cndmask_b32_e32 v1, v13, v14, vcc
	v_cmp_le_u32_e32 vcc, s22, v0
	v_mov_b32_e32 v13, s1
	s_nop 0
	v_cndmask_b32_e64 v0, 0, -1, vcc
	s_cselect_b64 vcc, -1, 0
	v_cndmask_b32_e32 v0, -1, v0, vcc
	v_cmp_ne_u32_e32 vcc, 0, v0
	s_nop 1
	v_cndmask_b32_e32 v0, v13, v1, vcc
	v_xor_b32_e32 v0, s0, v0
	v_subrev_co_u32_e32 v0, vcc, s0, v0
	s_cbranch_execnz .LBB39_11
.LBB39_10:
	s_sub_i32 s0, 0, s22
	v_mul_lo_u32 v0, s0, v11
	v_mul_hi_u32 v0, v11, v0
	v_add_u32_e32 v0, v11, v0
	v_mul_hi_u32 v0, s2, v0
	v_mul_lo_u32 v13, v0, s22
	v_sub_u32_e32 v13, s2, v13
	v_add_u32_e32 v1, 1, v0
	v_subrev_u32_e32 v14, s22, v13
	v_cmp_le_u32_e32 vcc, s22, v13
	s_nop 1
	v_cndmask_b32_e32 v13, v13, v14, vcc
	v_cndmask_b32_e32 v0, v0, v1, vcc
	v_add_u32_e32 v1, 1, v0
	v_cmp_le_u32_e32 vcc, s22, v13
	s_nop 1
	v_cndmask_b32_e32 v0, v0, v1, vcc
.LBB39_11:
	v_cmp_ne_u32_e32 vcc, v8, v0
	s_cbranch_vccz .LBB39_14
; %bb.12:
	s_add_i32 s0, s12, s22
	s_lshl_b32 s0, s0, 5
	v_mul_hi_u32 v1, v0, s16
	s_add_i32 s0, s0, s21
	s_mov_b32 s1, s6
	v_add_u32_e32 v1, v1, v0
	s_lshl_b64 s[0:1], s[0:1], 3
	v_lshrrev_b32_e32 v1, s17, v1
	s_add_u32 s2, s10, s0
	v_mul_lo_u32 v13, v1, s18
	s_addc_u32 s3, s11, s1
	v_cmp_eq_u32_e32 vcc, v13, v0
	v_cmp_gt_u32_e64 s[0:1], s19, v1
	s_or_b64 s[0:1], s[0:1], vcc
	s_and_b64 vcc, exec, s[0:1]
	s_cbranch_vccnz .LBB39_16
; %bb.13:
	s_add_i32 s7, s12, -1
	s_mov_b64 s[0:1], 0
	s_branch .LBB39_17
.LBB39_14:
                                        ; implicit-def: $sgpr0_sgpr1
                                        ; implicit-def: $vgpr14
                                        ; implicit-def: $vgpr1
                                        ; implicit-def: $vgpr13
                                        ; implicit-def: $sgpr7
                                        ; implicit-def: $vgpr0
	s_branch .LBB39_18
.LBB39_15:
                                        ; implicit-def: $vgpr0_vgpr1
	s_branch .LBB39_10
.LBB39_16:
	s_mov_b64 s[0:1], -1
	s_mov_b32 s7, s12
	v_mov_b32_e32 v0, v8
.LBB39_17:
	s_mul_i32 s20, s12, 0xe00
	v_add_u32_e32 v14, s20, v4
	v_ashrrev_i32_e32 v15, 31, v14
	v_lshl_add_u64 v[14:15], v[14:15], 2, s[4:5]
	global_load_dword v14, v[14:15], off
	s_load_dwordx2 s[2:3], s[2:3], 0x0
	v_max_f32_e32 v1, v7, v7
	s_waitcnt lgkmcnt(0)
	v_max_f32_e64 v13, s2, s2
	v_max_f32_e32 v1, v1, v13
	v_sub_f32_e32 v13, v7, v1
	v_sub_f32_e32 v15, s2, v1
	v_mul_f32_e32 v16, 0x3fb8aa3b, v13
	v_mul_f32_e32 v17, 0x3fb8aa3b, v15
	v_fma_f32 v18, v13, s8, -v16
	v_rndne_f32_e32 v19, v16
	v_fma_f32 v20, v15, s8, -v17
	v_rndne_f32_e32 v21, v17
	v_fmac_f32_e32 v18, 0x32a5705f, v13
	v_sub_f32_e32 v16, v16, v19
	v_fmac_f32_e32 v20, 0x32a5705f, v15
	v_sub_f32_e32 v17, v17, v21
	v_add_f32_e32 v16, v16, v18
	v_cvt_i32_f32_e32 v19, v19
	v_add_f32_e32 v17, v17, v20
	v_exp_f32_e32 v16, v16
	v_cvt_i32_f32_e32 v21, v21
	v_exp_f32_e32 v17, v17
	v_cmp_ngt_f32_e32 vcc, s9, v13
	v_ldexp_f32 v16, v16, v19
	v_ldexp_f32 v17, v17, v21
	v_cndmask_b32_e32 v16, 0, v16, vcc
	v_cmp_ngt_f32_e32 vcc, s9, v15
	s_nop 1
	v_cndmask_b32_e32 v17, 0, v17, vcc
	v_cmp_nlt_f32_e32 vcc, s13, v13
	s_nop 1
	v_cndmask_b32_e32 v16, v12, v16, vcc
	v_cmp_nlt_f32_e32 vcc, s13, v15
	s_nop 1
	v_cndmask_b32_e32 v17, v12, v17, vcc
	v_cmp_le_f32_e32 vcc, s14, v13
	s_nop 1
	v_cndmask_b32_e32 v16, 0, v16, vcc
	v_cmp_le_f32_e32 vcc, s14, v15
	s_nop 1
	v_cndmask_b32_e32 v15, 0, v17, vcc
	v_mul_f32_e32 v13, s3, v15
	v_fmac_f32_e32 v13, v6, v16
	s_waitcnt vmcnt(0)
	v_mul_f32_e32 v14, v14, v15
	v_fmac_f32_e32 v14, v5, v16
	s_cbranch_execnz .LBB39_19
.LBB39_18:
	s_add_i32 s7, s12, -1
	s_mov_b64 s[0:1], 0
	v_mov_b32_e32 v0, v8
	v_mov_b32_e32 v13, v6
	;; [unrolled: 1-line block ×3, first 2 shown]
	s_waitcnt vmcnt(0)
	v_mov_b32_e32 v14, v5
.LBB39_19:
	s_andn2_b64 vcc, exec, s[0:1]
	s_cbranch_vccz .LBB39_23
; %bb.20:
	v_mov_b32_e32 v8, v0
	s_mov_b32 s12, s7
	v_mov_b32_e32 v6, v13
	v_mov_b32_e32 v7, v1
	s_waitcnt vmcnt(0)
	v_mov_b32_e32 v5, v14
	s_mul_hi_i32 s7, s12, s15
	s_cmp_lg_u64 s[6:7], 0
	s_mul_i32 s2, s12, s15
	s_cbranch_scc1 .LBB39_9
	s_branch .LBB39_15
.LBB39_21:
                                        ; implicit-def: $sgpr20_sgpr21
	s_load_dwordx4 s[16:19], s[0:1], 0x44
	s_branch .LBB39_2
.LBB39_22:
                                        ; implicit-def: $vgpr2_vgpr3
	s_branch .LBB39_5
.LBB39_23:
	v_div_scale_f32 v0, s[0:1], v13, v13, v14
	v_rcp_f32_e32 v1, v0
	v_div_scale_f32 v4, vcc, v14, v13, v14
	s_waitcnt vmcnt(0)
	v_fma_f32 v5, -v0, v1, 1.0
	v_fmac_f32_e32 v1, v5, v1
	v_mul_f32_e32 v5, v4, v1
	v_fma_f32 v6, -v0, v5, v4
	v_fmac_f32_e32 v5, v6, v1
	v_fma_f32 v0, -v0, v5, v4
	v_div_fmas_f32 v0, v0, v1, v5
	v_div_fixup_f32 v0, v0, v13, v14
	global_store_dword v[2:3], v0, off
.LBB39_24:
	s_endpgm
	.section	.rodata,"a",@progbits
	.p2align	6, 0x0
	.amdhsa_kernel _ZL33flash_attn_stream_k_fixup_generalILi112ELi16ELi2EEvPfPK15HIP_vector_typeIfLj2EEiiiiS1_IjLj3EES5_S5_S5_
		.amdhsa_group_segment_fixed_size 0
		.amdhsa_private_segment_fixed_size 0
		.amdhsa_kernarg_size 336
		.amdhsa_user_sgpr_count 2
		.amdhsa_user_sgpr_dispatch_ptr 0
		.amdhsa_user_sgpr_queue_ptr 0
		.amdhsa_user_sgpr_kernarg_segment_ptr 1
		.amdhsa_user_sgpr_dispatch_id 0
		.amdhsa_user_sgpr_kernarg_preload_length 0
		.amdhsa_user_sgpr_kernarg_preload_offset 0
		.amdhsa_user_sgpr_private_segment_size 0
		.amdhsa_uses_dynamic_stack 0
		.amdhsa_enable_private_segment 0
		.amdhsa_system_sgpr_workgroup_id_x 1
		.amdhsa_system_sgpr_workgroup_id_y 1
		.amdhsa_system_sgpr_workgroup_id_z 1
		.amdhsa_system_sgpr_workgroup_info 0
		.amdhsa_system_vgpr_workitem_id 0
		.amdhsa_next_free_vgpr 22
		.amdhsa_next_free_sgpr 32
		.amdhsa_accum_offset 24
		.amdhsa_reserve_vcc 1
		.amdhsa_float_round_mode_32 0
		.amdhsa_float_round_mode_16_64 0
		.amdhsa_float_denorm_mode_32 3
		.amdhsa_float_denorm_mode_16_64 3
		.amdhsa_dx10_clamp 1
		.amdhsa_ieee_mode 1
		.amdhsa_fp16_overflow 0
		.amdhsa_tg_split 0
		.amdhsa_exception_fp_ieee_invalid_op 0
		.amdhsa_exception_fp_denorm_src 0
		.amdhsa_exception_fp_ieee_div_zero 0
		.amdhsa_exception_fp_ieee_overflow 0
		.amdhsa_exception_fp_ieee_underflow 0
		.amdhsa_exception_fp_ieee_inexact 0
		.amdhsa_exception_int_div_zero 0
	.end_amdhsa_kernel
	.section	.text._ZL33flash_attn_stream_k_fixup_generalILi112ELi16ELi2EEvPfPK15HIP_vector_typeIfLj2EEiiiiS1_IjLj3EES5_S5_S5_,"axG",@progbits,_ZL33flash_attn_stream_k_fixup_generalILi112ELi16ELi2EEvPfPK15HIP_vector_typeIfLj2EEiiiiS1_IjLj3EES5_S5_S5_,comdat
.Lfunc_end39:
	.size	_ZL33flash_attn_stream_k_fixup_generalILi112ELi16ELi2EEvPfPK15HIP_vector_typeIfLj2EEiiiiS1_IjLj3EES5_S5_S5_, .Lfunc_end39-_ZL33flash_attn_stream_k_fixup_generalILi112ELi16ELi2EEvPfPK15HIP_vector_typeIfLj2EEiiiiS1_IjLj3EES5_S5_S5_
                                        ; -- End function
	.section	.AMDGPU.csdata,"",@progbits
; Kernel info:
; codeLenInByte = 2868
; NumSgprs: 38
; NumVgprs: 22
; NumAgprs: 0
; TotalNumVgprs: 22
; ScratchSize: 0
; MemoryBound: 0
; FloatMode: 240
; IeeeMode: 1
; LDSByteSize: 0 bytes/workgroup (compile time only)
; SGPRBlocks: 4
; VGPRBlocks: 2
; NumSGPRsForWavesPerEU: 38
; NumVGPRsForWavesPerEU: 22
; AccumOffset: 24
; Occupancy: 8
; WaveLimiterHint : 0
; COMPUTE_PGM_RSRC2:SCRATCH_EN: 0
; COMPUTE_PGM_RSRC2:USER_SGPR: 2
; COMPUTE_PGM_RSRC2:TRAP_HANDLER: 0
; COMPUTE_PGM_RSRC2:TGID_X_EN: 1
; COMPUTE_PGM_RSRC2:TGID_Y_EN: 1
; COMPUTE_PGM_RSRC2:TGID_Z_EN: 1
; COMPUTE_PGM_RSRC2:TIDIG_COMP_CNT: 0
; COMPUTE_PGM_RSRC3_GFX90A:ACCUM_OFFSET: 5
; COMPUTE_PGM_RSRC3_GFX90A:TG_SPLIT: 0
	.section	.text._ZL15flash_attn_tileILi112ELi112ELi8ELi2ELb0EEvPKcS1_S1_S1_S1_PKiPfP15HIP_vector_typeIfLj2EEffffjfiS5_IjLj3EEiiiiiiiiiiiliiliiiiil,"axG",@progbits,_ZL15flash_attn_tileILi112ELi112ELi8ELi2ELb0EEvPKcS1_S1_S1_S1_PKiPfP15HIP_vector_typeIfLj2EEffffjfiS5_IjLj3EEiiiiiiiiiiiliiliiiiil,comdat
	.globl	_ZL15flash_attn_tileILi112ELi112ELi8ELi2ELb0EEvPKcS1_S1_S1_S1_PKiPfP15HIP_vector_typeIfLj2EEffffjfiS5_IjLj3EEiiiiiiiiiiiliiliiiiil ; -- Begin function _ZL15flash_attn_tileILi112ELi112ELi8ELi2ELb0EEvPKcS1_S1_S1_S1_PKiPfP15HIP_vector_typeIfLj2EEffffjfiS5_IjLj3EEiiiiiiiiiiiliiliiiiil
	.p2align	8
	.type	_ZL15flash_attn_tileILi112ELi112ELi8ELi2ELb0EEvPKcS1_S1_S1_S1_PKiPfP15HIP_vector_typeIfLj2EEffffjfiS5_IjLj3EEiiiiiiiiiiiliiliiiiil,@function
_ZL15flash_attn_tileILi112ELi112ELi8ELi2ELb0EEvPKcS1_S1_S1_S1_PKiPfP15HIP_vector_typeIfLj2EEffffjfiS5_IjLj3EEiiiiiiiiiiiliiliiiiil: ; @_ZL15flash_attn_tileILi112ELi112ELi8ELi2ELb0EEvPKcS1_S1_S1_S1_PKiPfP15HIP_vector_typeIfLj2EEffffjfiS5_IjLj3EEiiiiiiiiiiiliiliiiiil
; %bb.0:
	s_load_dwordx4 s[36:39], s[0:1], 0x5c
	s_load_dwordx2 s[40:41], s[0:1], 0x80
	s_load_dwordx16 s[16:31], s[0:1], 0x0
	s_mov_b64 s[42:43], 0
	s_waitcnt lgkmcnt(0)
	s_lshr_b32 s5, s39, 31
	s_add_i32 s5, s39, s5
	s_ashr_i32 s5, s5, 1
	v_cvt_f32_u32_e32 v1, s5
	s_sub_i32 s6, 0, s5
	v_rcp_iflag_f32_e32 v1, v1
	s_nop 0
	v_mul_f32_e32 v1, 0x4f7ffffe, v1
	v_cvt_u32_f32_e32 v1, v1
	s_nop 0
	v_readfirstlane_b32 s7, v1
	s_mul_i32 s6, s6, s7
	s_mul_hi_u32 s6, s7, s6
	s_add_i32 s7, s7, s6
	s_mul_hi_u32 s6, s4, s7
	s_mul_i32 s7, s6, s5
	s_sub_i32 s7, s4, s7
	s_add_i32 s8, s6, 1
	s_sub_i32 s9, s7, s5
	s_cmp_ge_u32 s7, s5
	s_cselect_b32 s6, s8, s6
	s_cselect_b32 s7, s9, s7
	s_add_i32 s8, s6, 1
	s_cmp_ge_u32 s7, s5
	s_cselect_b32 s33, s8, s6
	s_abs_i32 s5, s41
	v_cvt_f32_u32_e32 v1, s5
	s_sub_i32 s8, 0, s5
	s_abs_i32 s7, s39
	s_xor_b32 s6, s39, s41
	v_rcp_iflag_f32_e32 v1, v1
	s_lshl_b32 s4, s4, 1
	s_ashr_i32 s6, s6, 31
	v_mul_f32_e32 v1, 0x4f7ffffe, v1
	v_cvt_u32_f32_e32 v1, v1
	s_nop 0
	v_readfirstlane_b32 s9, v1
	s_mul_i32 s8, s8, s9
	s_mul_hi_u32 s8, s9, s8
	s_add_i32 s9, s9, s8
	s_mul_hi_u32 s8, s7, s9
	s_mul_i32 s9, s8, s5
	s_sub_i32 s7, s7, s9
	s_add_i32 s10, s8, 1
	s_sub_i32 s9, s7, s5
	s_cmp_ge_u32 s7, s5
	s_cselect_b32 s8, s10, s8
	s_cselect_b32 s7, s9, s7
	s_add_i32 s9, s8, 1
	s_cmp_ge_u32 s7, s5
	s_cselect_b32 s5, s9, s8
	s_xor_b32 s5, s5, s6
	s_sub_i32 s13, s5, s6
	s_abs_i32 s12, s13
	v_cvt_f32_u32_e32 v1, s12
	s_load_dwordx2 s[8:9], s[0:1], 0xb8
	s_mul_i32 s5, s33, s39
	s_cmp_eq_u64 s[22:23], 0
	v_rcp_iflag_f32_e32 v1, v1
	s_nop 0
	v_mul_f32_e32 v1, 0x4f7ffffe, v1
	v_cvt_u32_f32_e32 v1, v1
	s_nop 0
	v_readfirstlane_b32 s14, v1
	s_cbranch_scc1 .LBB40_2
; %bb.1:
	s_waitcnt lgkmcnt(0)
	s_abs_i32 s8, s8
	v_cvt_f32_u32_e32 v1, s8
	s_sub_i32 s15, 0, s8
	s_abs_i32 s11, s33
	s_ashr_i32 s10, s33, 31
	v_rcp_iflag_f32_e32 v1, v1
	s_load_dwordx2 s[6:7], s[0:1], 0xc8
	v_mul_f32_e32 v1, 0x4f7ffffe, v1
	v_cvt_u32_f32_e32 v1, v1
	s_nop 0
	v_readfirstlane_b32 s34, v1
	s_mul_i32 s15, s15, s34
	s_mul_hi_u32 s15, s34, s15
	s_add_i32 s34, s34, s15
	s_mul_hi_u32 s15, s11, s34
	s_mul_i32 s15, s15, s8
	s_sub_i32 s11, s11, s15
	s_sub_i32 s15, s11, s8
	s_cmp_ge_u32 s11, s8
	s_cselect_b32 s11, s15, s11
	s_sub_i32 s15, s11, s8
	s_cmp_ge_u32 s11, s8
	s_cselect_b32 s8, s15, s11
	s_xor_b32 s8, s8, s10
	s_sub_i32 s8, s8, s10
	s_ashr_i32 s10, s8, 31
	s_waitcnt lgkmcnt(0)
	s_mul_i32 s7, s8, s7
	s_mul_hi_u32 s11, s8, s6
	s_add_i32 s7, s11, s7
	s_mul_i32 s10, s10, s6
	s_add_i32 s7, s7, s10
	s_mul_i32 s8, s8, s6
	s_add_u32 s42, s22, s8
	s_addc_u32 s43, s23, s7
.LBB40_2:
	v_bfe_u32 v1, v0, 10, 10
	v_lshl_add_u32 v49, s2, 3, v1
	v_and_b32_e32 v50, 0x3ff, v0
	v_mul_hi_u32 v0, s36, v49
	v_add_u32_e32 v0, v49, v0
	v_lshrrev_b32_e32 v0, s37, v0
	v_mul_lo_u32 v0, v0, s38
	s_sub_i32 s34, s4, s5
	v_cmp_gt_u32_e64 s[22:23], 28, v50
	v_sub_u32_e32 v2, v49, v0
	v_lshlrev_b32_e32 v48, 2, v50
	v_lshlrev_b32_e32 v0, 1, v50
	s_and_saveexec_b64 s[10:11], s[22:23]
	s_cbranch_execz .LBB40_4
; %bb.3:
	s_load_dwordx4 s[4:7], s[0:1], 0x70
	s_waitcnt lgkmcnt(0)
	s_mul_i32 s6, s33, s6
	s_ashr_i32 s8, s6, 31
	s_mul_i32 s7, s34, s5
	s_add_u32 s6, s16, s6
	s_addc_u32 s8, s17, s8
	s_ashr_i32 s15, s7, 31
	s_add_u32 s6, s6, s7
	v_mov_b32_e32 v3, s4
	s_addc_u32 s7, s8, s15
	s_ashr_i32 s4, s4, 31
	v_alignbit_b32 v3, s4, v3, 2
	v_mad_u64_u32 v[4:5], s[16:17], v3, v2, 0
	v_mov_b32_e32 v6, v5
	s_lshr_b32 s4, s4, 2
	v_mad_u64_u32 v[6:7], s[16:17], s4, v2, v[6:7]
	v_mov_b32_e32 v5, v6
	v_lshl_add_u64 v[4:5], v[4:5], 2, s[6:7]
	v_lshlrev_b32_e32 v6, 2, v48
	v_mov_b32_e32 v7, 0
	v_lshl_add_u64 v[8:9], v[4:5], 0, v[6:7]
	s_ashr_i32 s7, s5, 31
	s_and_b32 s6, s5, -4
	global_load_dwordx4 v[4:7], v[8:9], off
	v_lshl_add_u64 v[8:9], v[8:9], 0, s[6:7]
	global_load_dwordx4 v[8:11], v[8:9], off
	s_load_dword s4, s[0:1], 0x40
	v_mul_u32_u24_e32 v3, 0x70, v1
	v_add_lshl_u32 v3, v3, v0, 2
	v_add_u32_e32 v3, 0x1000, v3
	s_waitcnt vmcnt(1) lgkmcnt(0)
	v_pk_mul_f32 v[4:5], v[4:5], s[4:5] op_sel_hi:[1,0]
	v_pk_mul_f32 v[6:7], v[6:7], s[4:5] op_sel_hi:[1,0]
	v_cvt_f16_f32_e32 v12, v5
	v_cvt_f16_f32_e32 v13, v4
	;; [unrolled: 1-line block ×4, first 2 shown]
	s_waitcnt vmcnt(0)
	v_pk_mul_f32 v[4:5], v[8:9], s[4:5] op_sel_hi:[1,0]
	v_pk_mul_f32 v[6:7], v[10:11], s[4:5] op_sel_hi:[1,0]
	v_cvt_f16_f32_e32 v8, v5
	v_cvt_f16_f32_e32 v7, v7
	;; [unrolled: 1-line block ×4, first 2 shown]
	v_pack_b32_f16 v5, v15, v14
	v_pack_b32_f16 v4, v13, v12
	;; [unrolled: 1-line block ×4, first 2 shown]
	ds_write2_b64 v3, v[4:5], v[6:7] offset0:8 offset1:36
.LBB40_4:
	s_or_b64 exec, exec, s[10:11]
	s_cmp_eq_u64 s[26:27], 0
	s_waitcnt lgkmcnt(0)
	s_barrier
	s_cbranch_scc1 .LBB40_6
; %bb.5:
	s_load_dword s4, s[0:1], 0xd0
	s_mov_b32 s5, 0
	s_waitcnt lgkmcnt(0)
	s_mul_i32 s4, s4, s33
	s_add_i32 s4, s4, s2
	s_lshl_b64 s[4:5], s[4:5], 2
	s_add_u32 s4, s26, s4
	s_addc_u32 s5, s27, s5
	s_load_dword s40, s[4:5], 0x0
.LBB40_6:
	s_lshl_b32 s35, s3, 5
	s_waitcnt lgkmcnt(0)
	s_cmp_lt_i32 s35, s40
	v_mbcnt_lo_u32_b32 v3, -1, 0
	s_cbranch_scc1 .LBB40_8
; %bb.7:
	v_mbcnt_hi_u32_b32 v59, -1, v3
	v_and_b32_e32 v4, 0x60, v59
	s_mov_b32 s4, 0xfeffffff
	s_mov_b32 s2, 0
	v_add_u32_e32 v101, 32, v4
	v_xor_b32_e32 v103, 16, v59
	v_xor_b32_e32 v102, 8, v59
	;; [unrolled: 1-line block ×5, first 2 shown]
	s_mov_b32 s5, s4
	s_mov_b64 s[6:7], 0
	s_branch .LBB40_9
.LBB40_8:
	s_mov_b64 s[6:7], -1
                                        ; implicit-def: $sgpr2
                                        ; implicit-def: $sgpr4_sgpr5
                                        ; implicit-def: $vgpr59
                                        ; implicit-def: $vgpr101
                                        ; implicit-def: $vgpr103
                                        ; implicit-def: $vgpr102
                                        ; implicit-def: $vgpr100
                                        ; implicit-def: $vgpr99
                                        ; implicit-def: $vgpr98
.LBB40_9:
	s_andn2_b64 vcc, exec, s[6:7]
	v_mov_b32_e32 v55, s2
	v_mov_b32_e32 v51, s2
	v_mov_b64_e32 v[80:81], s[4:5]
	v_mov_b32_e32 v63, s2
	v_mov_b32_e32 v54, s2
	;; [unrolled: 1-line block ×4, first 2 shown]
	s_cbranch_vccnz .LBB40_37
; %bb.10:
	s_load_dwordx2 s[10:11], s[0:1], 0x8c
	s_load_dwordx4 s[4:7], s[0:1], 0x98
	s_sub_i32 s2, 0, s12
	s_mul_i32 s2, s2, s14
	s_mul_hi_u32 s2, s14, s2
	s_waitcnt lgkmcnt(0)
	s_ashr_i32 s46, s10, 2
	s_ashr_i32 s41, s6, 2
	;; [unrolled: 1-line block ×3, first 2 shown]
	s_mul_i32 s5, s33, s5
	s_mul_hi_u32 s10, s33, s4
	s_add_i32 s5, s10, s5
	s_mul_i32 s10, s6, s4
	s_abs_i32 s8, s34
	s_add_i32 s14, s14, s2
	s_ashr_i32 s16, s34, 31
	s_ashr_i32 s13, s13, 31
	;; [unrolled: 1-line block ×3, first 2 shown]
	s_add_i32 s5, s5, s10
	s_mul_i32 s4, s33, s4
	s_mul_hi_u32 s2, s8, s14
	s_add_u32 s4, s18, s4
	s_addc_u32 s5, s19, s5
	s_xor_b32 s10, s16, s13
	s_mul_i32 s13, s2, s12
	s_sub_i32 s8, s8, s13
	s_add_i32 s13, s2, 1
	s_sub_i32 s16, s8, s12
	s_cmp_ge_u32 s8, s12
	s_cselect_b32 s2, s13, s2
	s_cselect_b32 s8, s16, s8
	s_add_i32 s13, s2, 1
	s_cmp_ge_u32 s8, s12
	s_cselect_b32 s2, s13, s2
	s_load_dwordx2 s[14:15], s[0:1], 0xa8
	s_xor_b32 s2, s2, s10
	s_sub_i32 s2, s2, s10
	s_mul_i32 s8, s2, s11
	s_ashr_i32 s10, s8, 31
	s_add_u32 s47, s4, s8
	s_addc_u32 s48, s5, s10
	s_waitcnt lgkmcnt(0)
	s_mul_i32 s4, s33, s15
	s_mul_hi_u32 s5, s33, s14
	s_add_i32 s4, s5, s4
	s_mul_i32 s6, s6, s14
	v_lshrrev_b32_e32 v5, 1, v50
	v_mad_u64_u32 v[68:69], s[8:9], v2, s9, v[50:51]
	v_mov_b32_e32 v2, 0x1e40
	s_add_i32 s4, s4, s6
	s_mul_i32 s5, s33, s14
	v_lshl_add_u32 v5, v1, 4, v5
	v_and_b32_e32 v58, 4, v48
	v_lshl_add_u32 v69, v1, 7, v2
	s_add_u32 s5, s20, s5
	s_mul_i32 s2, s2, s7
	v_lshl_add_u32 v4, v1, 5, v50
	v_lshrrev_b32_e32 v6, 2, v50
	v_lshlrev_b32_e32 v7, 2, v58
	v_lshl_add_u32 v92, v0, 1, v69
	v_lshlrev_b32_e32 v93, 2, v0
	v_mul_u32_u24_e32 v0, 0xe0, v5
	s_addc_u32 s4, s21, s4
	s_ashr_i32 s6, s2, 31
	v_cmp_gt_u32_e32 vcc, 32, v4
	v_lshl_add_u32 v6, v1, 3, v6
	v_mul_lo_u32 v56, s46, v4
	v_lshlrev_b32_e32 v4, 7, v5
	v_and_b32_e32 v62, 12, v48
	v_or_b32_e32 v0, v0, v7
	s_add_u32 s49, s5, s2
	v_or3_b32 v90, v4, v7, 64
	v_lshlrev_b32_e32 v4, 2, v62
	v_lshrrev_b32_e32 v2, 3, v50
	v_add_u32_e32 v94, 0xc0, v0
	v_mul_u32_u24_e32 v0, 0xe0, v6
	s_movk_i32 s14, 0x80
	v_and_b32_e32 v74, 28, v48
	s_addc_u32 s50, s4, s6
	v_mul_u32_u24_e32 v88, 0x1c0, v1
	v_lshl_add_u32 v1, v1, 2, v2
	s_movk_i32 s2, 0xe0
	v_add3_u32 v95, v0, v4, s14
	v_lshlrev_b32_e32 v0, 2, v74
	v_lshlrev_b32_e32 v75, 7, v50
	v_mul_lo_u32 v60, s46, v5
	v_mov_b32_e32 v65, 0
	v_mul_lo_u32 v66, s46, v6
	v_mul_lo_u32 v70, s41, v5
	;; [unrolled: 1-line block ×3, first 2 shown]
	v_mad_u32_u24 v96, v1, s2, v0
	v_mul_lo_u32 v76, s41, v1
	s_add_u32 s26, s0, 0xd0
	v_mov_b32_e32 v0, 0xfeffffff
	v_cmp_gt_u32_e64 s[4:5], 32, v5
	v_cmp_gt_u32_e64 s[6:7], 32, v6
	v_or_b32_e32 v89, 0x60, v75
	v_ashrrev_i32_e32 v57, 31, v56
	v_ashrrev_i32_e32 v61, 31, v60
	v_lshl_or_b32 v91, v6, 7, v4
	v_ashrrev_i32_e32 v67, 31, v66
	v_cmp_gt_u32_e64 s[8:9], 16, v5
	v_cmp_gt_u32_e64 s[10:11], 16, v6
	;; [unrolled: 1-line block ×3, first 2 shown]
	v_ashrrev_i32_e32 v71, 31, v70
	v_ashrrev_i32_e32 v73, 31, v72
	;; [unrolled: 1-line block ×3, first 2 shown]
	s_addc_u32 s27, s1, 0
	v_mbcnt_hi_u32_b32 v59, -1, v3
	s_mov_b32 s2, 0x40051340
	s_mov_b32 s51, 0x3fb8aa3b
	;; [unrolled: 1-line block ×4, first 2 shown]
	v_mov_b32_e32 v97, 0x7f800000
	v_mov_b32_e32 v53, 0
	;; [unrolled: 1-line block ×8, first 2 shown]
.LBB40_11:                              ; =>This Inner Loop Header: Depth=1
	s_mul_hi_i32 s15, s35, s46
	s_mul_i32 s14, s35, s46
	s_lshl_b64 s[14:15], s[14:15], 2
	s_add_u32 s14, s47, s14
	s_addc_u32 s15, s48, s15
	v_lshl_add_u64 v[6:7], v[56:57], 2, s[14:15]
	s_and_saveexec_b64 s[16:17], vcc
	s_cbranch_execz .LBB40_13
; %bb.12:                               ;   in Loop: Header=BB40_11 Depth=1
	global_load_dwordx4 v[2:5], v[6:7], off offset:96
	s_waitcnt vmcnt(0)
	ds_write_b128 v89, v[2:5]
.LBB40_13:                              ;   in Loop: Header=BB40_11 Depth=1
	s_or_b64 exec, exec, s[16:17]
	v_lshl_add_u64 v[4:5], v[60:61], 2, s[14:15]
	v_lshlrev_b32_e32 v64, 2, v58
	s_and_saveexec_b64 s[16:17], s[4:5]
	s_cbranch_execz .LBB40_15
; %bb.14:                               ;   in Loop: Header=BB40_11 Depth=1
	v_lshl_add_u64 v[2:3], v[4:5], 0, v[64:65]
	global_load_dwordx4 v[8:11], v[2:3], off offset:64
	s_waitcnt vmcnt(0)
	ds_write_b128 v90, v[8:11]
.LBB40_15:                              ;   in Loop: Header=BB40_11 Depth=1
	s_or_b64 exec, exec, s[16:17]
	v_lshl_add_u64 v[8:9], v[66:67], 2, s[14:15]
	v_lshlrev_b32_e32 v78, 2, v62
	s_and_saveexec_b64 s[14:15], s[6:7]
	s_cbranch_execz .LBB40_17
; %bb.16:                               ;   in Loop: Header=BB40_11 Depth=1
	v_mov_b32_e32 v79, v65
	v_lshl_add_u64 v[2:3], v[8:9], 0, v[78:79]
	global_load_dwordx4 v[10:13], v[2:3], off
	s_waitcnt vmcnt(0)
	ds_write_b128 v91, v[10:13]
.LBB40_17:                              ;   in Loop: Header=BB40_11 Depth=1
	s_or_b64 exec, exec, s[14:15]
	s_waitcnt lgkmcnt(0)
	s_barrier
	ds_read_b128 v[10:13], v75
	ds_read_b128 v[14:17], v88 offset:4160
	ds_read_b128 v[18:21], v88 offset:4384
	v_mov_b32_e32 v2, 0
	s_waitcnt lgkmcnt(1)
	;;#ASMSTART
	v_dot2_f32_f16 v2, v10, v14, v2
	;;#ASMEND
	s_nop 0
	;;#ASMSTART
	v_dot2_f32_f16 v2, v11, v15, v2
	;;#ASMEND
	v_mov_b32_e32 v3, 0
	;;#ASMSTART
	v_dot2_f32_f16 v2, v12, v16, v2
	;;#ASMEND
	s_nop 0
	;;#ASMSTART
	v_dot2_f32_f16 v2, v13, v17, v2
	;;#ASMEND
	s_waitcnt lgkmcnt(0)
	;;#ASMSTART
	v_dot2_f32_f16 v3, v10, v18, v3
	;;#ASMEND
	s_nop 0
	;;#ASMSTART
	v_dot2_f32_f16 v3, v11, v19, v3
	;;#ASMEND
	s_nop 0
	;;#ASMSTART
	v_dot2_f32_f16 v3, v12, v20, v3
	;;#ASMEND
	s_nop 0
	;;#ASMSTART
	v_dot2_f32_f16 v3, v13, v21, v3
	;;#ASMEND
	ds_read_b128 v[10:13], v75 offset:16
	ds_read_b128 v[14:17], v88 offset:4176
	ds_read_b128 v[18:21], v88 offset:4400
	s_waitcnt lgkmcnt(1)
	;;#ASMSTART
	v_dot2_f32_f16 v2, v10, v14, v2
	;;#ASMEND
	s_nop 0
	;;#ASMSTART
	v_dot2_f32_f16 v2, v11, v15, v2
	;;#ASMEND
	s_nop 0
	;;#ASMSTART
	v_dot2_f32_f16 v2, v12, v16, v2
	;;#ASMEND
	s_nop 0
	;;#ASMSTART
	v_dot2_f32_f16 v2, v13, v17, v2
	;;#ASMEND
	s_waitcnt lgkmcnt(0)
	;;#ASMSTART
	v_dot2_f32_f16 v3, v10, v18, v3
	;;#ASMEND
	s_nop 0
	;;#ASMSTART
	v_dot2_f32_f16 v3, v11, v19, v3
	;;#ASMEND
	s_nop 0
	;;#ASMSTART
	v_dot2_f32_f16 v3, v12, v20, v3
	;;#ASMEND
	s_nop 0
	;;#ASMSTART
	v_dot2_f32_f16 v3, v13, v21, v3
	;;#ASMEND
	ds_read_b128 v[10:13], v75 offset:32
	ds_read_b128 v[14:17], v88 offset:4192
	ds_read_b128 v[18:21], v88 offset:4416
	s_waitcnt lgkmcnt(1)
	;;#ASMSTART
	v_dot2_f32_f16 v2, v10, v14, v2
	;;#ASMEND
	s_nop 0
	;;#ASMSTART
	v_dot2_f32_f16 v2, v11, v15, v2
	;;#ASMEND
	s_nop 0
	;; [unrolled: 35-line block ×6, first 2 shown]
	;;#ASMSTART
	v_dot2_f32_f16 v2, v12, v16, v2
	;;#ASMEND
	s_nop 0
	;;#ASMSTART
	v_dot2_f32_f16 v2, v13, v17, v2
	;;#ASMEND
	s_waitcnt lgkmcnt(0)
	;;#ASMSTART
	v_dot2_f32_f16 v3, v10, v18, v3
	;;#ASMEND
	s_nop 0
	;;#ASMSTART
	v_dot2_f32_f16 v3, v11, v19, v3
	;;#ASMEND
	s_nop 0
	;; [unrolled: 4-line block ×3, first 2 shown]
	;;#ASMSTART
	v_dot2_f32_f16 v3, v13, v21, v3
	;;#ASMEND
	s_barrier
	s_and_saveexec_b64 s[14:15], vcc
	s_cbranch_execnz .LBB40_31
; %bb.18:                               ;   in Loop: Header=BB40_11 Depth=1
	s_or_b64 exec, exec, s[14:15]
	s_and_saveexec_b64 s[14:15], s[4:5]
	s_cbranch_execnz .LBB40_32
.LBB40_19:                              ;   in Loop: Header=BB40_11 Depth=1
	s_or_b64 exec, exec, s[14:15]
	s_and_saveexec_b64 s[14:15], s[6:7]
	s_cbranch_execz .LBB40_21
.LBB40_20:                              ;   in Loop: Header=BB40_11 Depth=1
	v_mov_b32_e32 v79, v65
	v_lshl_add_u64 v[4:5], v[8:9], 0, v[78:79]
	global_load_dwordx4 v[4:7], v[4:5], off offset:112
	s_waitcnt vmcnt(0)
	ds_write_b128 v91, v[4:7]
.LBB40_21:                              ;   in Loop: Header=BB40_11 Depth=1
	s_or_b64 exec, exec, s[14:15]
	s_waitcnt lgkmcnt(0)
	s_barrier
	ds_read_b128 v[4:7], v75
	ds_read_b128 v[8:11], v88 offset:4272
	ds_read_b128 v[12:15], v88 offset:4496
	s_waitcnt lgkmcnt(1)
	;;#ASMSTART
	v_dot2_f32_f16 v2, v4, v8, v2
	;;#ASMEND
	s_nop 0
	;;#ASMSTART
	v_dot2_f32_f16 v2, v5, v9, v2
	;;#ASMEND
	v_xor_b32_e32 v103, 16, v59
	;;#ASMSTART
	v_dot2_f32_f16 v2, v6, v10, v2
	;;#ASMEND
	v_xor_b32_e32 v102, 8, v59
	;;#ASMSTART
	v_dot2_f32_f16 v2, v7, v11, v2
	;;#ASMEND
	s_waitcnt lgkmcnt(0)
	;;#ASMSTART
	v_dot2_f32_f16 v3, v4, v12, v3
	;;#ASMEND
	v_xor_b32_e32 v100, 4, v59
	;;#ASMSTART
	v_dot2_f32_f16 v3, v5, v13, v3
	;;#ASMEND
	v_xor_b32_e32 v99, 2, v59
	;; [unrolled: 4-line block ×3, first 2 shown]
	;;#ASMSTART
	v_dot2_f32_f16 v3, v7, v15, v3
	;;#ASMEND
	ds_read_b128 v[4:7], v75 offset:16
	ds_read_b128 v[8:11], v88 offset:4288
	ds_read_b128 v[12:15], v88 offset:4512
	s_waitcnt lgkmcnt(1)
	;;#ASMSTART
	v_dot2_f32_f16 v2, v4, v8, v2
	;;#ASMEND
	s_nop 0
	;;#ASMSTART
	v_dot2_f32_f16 v2, v5, v9, v2
	;;#ASMEND
	s_nop 0
	;;#ASMSTART
	v_dot2_f32_f16 v2, v6, v10, v2
	;;#ASMEND
	s_nop 0
	;;#ASMSTART
	v_dot2_f32_f16 v2, v7, v11, v2
	;;#ASMEND
	s_waitcnt lgkmcnt(0)
	;;#ASMSTART
	v_dot2_f32_f16 v3, v4, v12, v3
	;;#ASMEND
	s_nop 0
	;;#ASMSTART
	v_dot2_f32_f16 v3, v5, v13, v3
	;;#ASMEND
	s_nop 0
	;;#ASMSTART
	v_dot2_f32_f16 v3, v6, v14, v3
	;;#ASMEND
	s_nop 0
	;;#ASMSTART
	v_dot2_f32_f16 v3, v7, v15, v3
	;;#ASMEND
	ds_read_b128 v[4:7], v75 offset:32
	ds_read_b128 v[8:11], v88 offset:4304
	ds_read_b128 v[12:15], v88 offset:4528
	s_waitcnt lgkmcnt(1)
	;;#ASMSTART
	v_dot2_f32_f16 v2, v4, v8, v2
	;;#ASMEND
	s_nop 0
	;;#ASMSTART
	v_dot2_f32_f16 v2, v5, v9, v2
	;;#ASMEND
	s_nop 0
	;;#ASMSTART
	v_dot2_f32_f16 v2, v6, v10, v2
	;;#ASMEND
	s_nop 0
	;;#ASMSTART
	v_dot2_f32_f16 v2, v7, v11, v2
	;;#ASMEND
	s_waitcnt lgkmcnt(0)
	;;#ASMSTART
	v_dot2_f32_f16 v3, v4, v12, v3
	;;#ASMEND
	s_nop 0
	;;#ASMSTART
	v_dot2_f32_f16 v3, v5, v13, v3
	;;#ASMEND
	s_nop 0
	;;#ASMSTART
	v_dot2_f32_f16 v3, v6, v14, v3
	;;#ASMEND
	s_nop 0
	;; [unrolled: 35-line block ×5, first 2 shown]
	;;#ASMSTART
	v_dot2_f32_f16 v3, v7, v15, v3
	;;#ASMEND
	ds_read_b128 v[4:7], v75 offset:96
	ds_read_b128 v[8:11], v88 offset:4368
	;; [unrolled: 1-line block ×3, first 2 shown]
	s_waitcnt lgkmcnt(1)
	;;#ASMSTART
	v_dot2_f32_f16 v2, v4, v8, v2
	;;#ASMEND
	s_nop 0
	;;#ASMSTART
	v_dot2_f32_f16 v2, v5, v9, v2
	;;#ASMEND
	s_nop 0
	;; [unrolled: 4-line block ×3, first 2 shown]
	;;#ASMSTART
	v_dot2_f32_f16 v2, v7, v11, v2
	;;#ASMEND
	s_waitcnt lgkmcnt(0)
	;;#ASMSTART
	v_dot2_f32_f16 v3, v4, v12, v3
	;;#ASMEND
	v_add_u32_e32 v4, s35, v68
	;;#ASMSTART
	v_dot2_f32_f16 v3, v5, v13, v3
	;;#ASMEND
	v_ashrrev_i32_e32 v5, 31, v4
	;;#ASMSTART
	v_dot2_f32_f16 v3, v6, v14, v3
	;;#ASMEND
	v_lshl_add_u64 v[4:5], v[4:5], 1, s[42:43]
	;;#ASMSTART
	v_dot2_f32_f16 v3, v7, v15, v3
	;;#ASMEND
	flat_load_ushort v4, v[4:5]
	v_and_b32_e32 v5, 0x60, v59
	v_add_u32_e32 v101, 32, v5
	v_cmp_lt_i32_e64 s[14:15], v103, v101
	v_max_f32_e32 v6, v1, v1
	v_max_f32_e32 v7, v0, v0
	v_cndmask_b32_e64 v5, v59, v103, s[14:15]
	v_lshlrev_b32_e32 v8, 2, v5
	v_cmp_lt_i32_e64 s[14:15], v102, v101
	s_waitcnt lgkmcnt(0)
	s_barrier
	s_waitcnt vmcnt(0)
	v_cvt_f32_f16_e32 v4, v4
	v_pk_add_f32 v[2:3], v[2:3], v[4:5] op_sel_hi:[1,0]
	s_nop 0
	v_pk_add_f32 v[4:5], v[2:3], s[2:3] op_sel_hi:[1,0]
	s_nop 0
	v_max_f32_e32 v5, v6, v5
	v_max_f32_e32 v4, v7, v4
	ds_bpermute_b32 v6, v8, v5
	ds_bpermute_b32 v7, v8, v4
	v_cndmask_b32_e64 v8, v59, v102, s[14:15]
	v_lshlrev_b32_e32 v8, 2, v8
	v_cmp_lt_i32_e64 s[14:15], v100, v101
	s_waitcnt lgkmcnt(1)
	v_max_f32_e32 v6, v6, v6
	s_waitcnt lgkmcnt(0)
	v_max_f32_e32 v7, v7, v7
	v_max_f32_e32 v5, v5, v6
	v_max_f32_e32 v4, v4, v7
	ds_bpermute_b32 v6, v8, v5
	ds_bpermute_b32 v7, v8, v4
	v_cndmask_b32_e64 v8, v59, v100, s[14:15]
	v_lshlrev_b32_e32 v8, 2, v8
	v_cmp_lt_i32_e64 s[14:15], v99, v101
	s_waitcnt lgkmcnt(1)
	v_max_f32_e32 v6, v6, v6
	s_waitcnt lgkmcnt(0)
	v_max_f32_e32 v7, v7, v7
	;; [unrolled: 11-line block ×3, first 2 shown]
	v_max_f32_e32 v5, v5, v6
	v_max_f32_e32 v4, v4, v7
	ds_bpermute_b32 v6, v8, v5
	ds_bpermute_b32 v7, v8, v4
	v_cndmask_b32_e64 v8, v59, v98, s[14:15]
	v_lshlrev_b32_e32 v8, 2, v8
	s_mul_hi_i32 s15, s35, s41
	s_waitcnt lgkmcnt(1)
	v_max_f32_e32 v6, v6, v6
	s_waitcnt lgkmcnt(0)
	v_max_f32_e32 v7, v7, v7
	v_max_f32_e32 v5, v5, v6
	;; [unrolled: 1-line block ×3, first 2 shown]
	ds_bpermute_b32 v6, v8, v5
	ds_bpermute_b32 v7, v8, v4
	s_mul_i32 s14, s35, s41
	s_lshl_b64 s[16:17], s[14:15], 2
	s_add_u32 s16, s49, s16
	s_waitcnt lgkmcnt(1)
	v_max_f32_e32 v6, v6, v6
	s_waitcnt lgkmcnt(0)
	v_max_f32_e32 v7, v7, v7
	v_max_f32_e32 v81, v5, v6
	;; [unrolled: 1-line block ×3, first 2 shown]
	v_pk_add_f32 v[2:3], v[2:3], v[80:81] neg_lo:[0,1] neg_hi:[0,1]
	s_addc_u32 s17, s50, s17
	v_mul_f32_e32 v4, 0x3fb8aa3b, v3
	v_mul_f32_e32 v5, 0x3fb8aa3b, v2
	v_fma_f32 v6, v3, s51, -v4
	v_rndne_f32_e32 v7, v4
	v_fma_f32 v8, v2, s51, -v5
	v_rndne_f32_e32 v9, v5
	v_fmac_f32_e32 v6, 0x32a5705f, v3
	v_sub_f32_e32 v4, v4, v7
	v_fmac_f32_e32 v8, 0x32a5705f, v2
	v_sub_f32_e32 v5, v5, v9
	v_add_f32_e32 v4, v4, v6
	v_cvt_i32_f32_e32 v7, v7
	v_add_f32_e32 v5, v5, v8
	v_exp_f32_e32 v4, v4
	v_cvt_i32_f32_e32 v9, v9
	v_exp_f32_e32 v5, v5
	v_cmp_ngt_f32_e64 s[14:15], s52, v3
	v_ldexp_f32 v4, v4, v7
	v_ldexp_f32 v5, v5, v9
	v_cndmask_b32_e64 v4, 0, v4, s[14:15]
	v_cmp_ngt_f32_e64 s[14:15], s52, v2
	s_nop 1
	v_cndmask_b32_e64 v5, 0, v5, s[14:15]
	v_cmp_nlt_f32_e64 s[14:15], s53, v3
	s_nop 1
	v_cndmask_b32_e64 v83, v97, v4, s[14:15]
	v_cmp_nlt_f32_e64 s[14:15], s53, v2
	v_cvt_f16_f32_e32 v2, v83
	s_nop 0
	v_cndmask_b32_e64 v82, v97, v5, s[14:15]
	v_cvt_f16_f32_e32 v3, v82
	v_pack_b32_f16 v2, v3, v2
	ds_write_b32 v92, v2
	s_and_saveexec_b64 s[14:15], s[8:9]
	s_cbranch_execnz .LBB40_33
; %bb.22:                               ;   in Loop: Header=BB40_11 Depth=1
	s_or_b64 exec, exec, s[14:15]
	s_and_saveexec_b64 s[14:15], s[10:11]
	s_cbranch_execnz .LBB40_34
.LBB40_23:                              ;   in Loop: Header=BB40_11 Depth=1
	s_or_b64 exec, exec, s[14:15]
	v_lshlrev_b32_e32 v86, 2, v74
	s_and_saveexec_b64 s[14:15], s[12:13]
	s_cbranch_execz .LBB40_25
.LBB40_24:                              ;   in Loop: Header=BB40_11 Depth=1
	v_lshl_add_u64 v[2:3], v[76:77], 2, s[16:17]
	v_mov_b32_e32 v87, v65
	v_lshl_add_u64 v[2:3], v[2:3], 0, v[86:87]
	global_load_dwordx4 v[2:5], v[2:3], off
	s_waitcnt vmcnt(0)
	ds_write_b128 v96, v[2:5]
.LBB40_25:                              ;   in Loop: Header=BB40_11 Depth=1
	s_or_b64 exec, exec, s[14:15]
	v_pk_add_f32 v[84:85], v[0:1], v[80:81] neg_lo:[0,1] neg_hi:[0,1]
	s_waitcnt lgkmcnt(0)
	s_barrier
	ds_read2_b64 v[44:47], v93 offset1:28
	ds_read_b128 v[36:39], v69
	ds_read_b128 v[16:19], v69 offset:16
	ds_read_b128 v[4:7], v69 offset:32
	;; [unrolled: 1-line block ×3, first 2 shown]
	ds_read2_b64 v[40:43], v93 offset0:56 offset1:84
	ds_read2_b64 v[32:35], v93 offset0:112 offset1:140
	ds_read2_b64 v[28:31], v93 offset0:168 offset1:196
	ds_read2_b64 v[24:27], v93 offset0:224 offset1:252
	v_add_u32_e32 v104, 0x800, v93
	ds_read2_b64 v[20:23], v104 offset0:24 offset1:52
	ds_read2_b64 v[12:15], v104 offset0:80 offset1:108
	;; [unrolled: 1-line block ×3, first 2 shown]
	s_or_b32 s36, s35, 16
	s_mul_hi_i32 s37, s36, s41
	s_mul_i32 s36, s36, s41
	s_lshl_b64 s[36:37], s[36:37], 2
	s_add_u32 s36, s49, s36
	v_cmp_ngt_f32_e64 s[18:19], s52, v85
	v_cmp_nlt_f32_e64 s[20:21], s53, v85
	v_cmp_ngt_f32_e64 s[16:17], s52, v84
	v_cmp_nlt_f32_e64 s[14:15], s53, v84
	s_addc_u32 s37, s50, s37
	s_waitcnt lgkmcnt(0)
	s_barrier
	s_and_saveexec_b64 s[44:45], s[8:9]
	s_cbranch_execnz .LBB40_35
; %bb.26:                               ;   in Loop: Header=BB40_11 Depth=1
	s_or_b64 exec, exec, s[44:45]
	s_and_saveexec_b64 s[44:45], s[10:11]
	s_cbranch_execnz .LBB40_36
.LBB40_27:                              ;   in Loop: Header=BB40_11 Depth=1
	s_or_b64 exec, exec, s[44:45]
	s_and_saveexec_b64 s[44:45], s[12:13]
	s_cbranch_execz .LBB40_29
.LBB40_28:                              ;   in Loop: Header=BB40_11 Depth=1
	v_lshl_add_u64 v[78:79], v[76:77], 2, s[36:37]
	v_mov_b32_e32 v87, v65
	v_lshl_add_u64 v[78:79], v[78:79], 0, v[86:87]
	global_load_dwordx4 v[106:109], v[78:79], off
	s_waitcnt vmcnt(0)
	ds_write_b128 v96, v[106:109]
.LBB40_29:                              ;   in Loop: Header=BB40_11 Depth=1
	s_or_b64 exec, exec, s[44:45]
	v_mul_f32_e32 v64, 0x3fb8aa3b, v85
	v_fma_f32 v78, v85, s51, -v64
	v_rndne_f32_e32 v79, v64
	v_fmac_f32_e32 v78, 0x32a5705f, v85
	v_sub_f32_e32 v64, v64, v79
	v_add_f32_e32 v64, v64, v78
	v_cvt_i32_f32_e32 v78, v79
	v_mul_f32_e32 v79, 0x3fb8aa3b, v84
	v_fma_f32 v85, v84, s51, -v79
	v_fmac_f32_e32 v85, 0x32a5705f, v84
	v_rndne_f32_e32 v84, v79
	v_exp_f32_e32 v64, v64
	v_sub_f32_e32 v79, v79, v84
	v_add_f32_e32 v79, v79, v85
	v_exp_f32_e32 v85, v79
	v_cvt_i32_f32_e32 v84, v84
	v_ldexp_f32 v64, v64, v78
	v_cndmask_b32_e64 v64, 0, v64, s[18:19]
	v_cndmask_b32_e64 v79, v97, v64, s[20:21]
	v_ldexp_f32 v64, v85, v84
	v_cndmask_b32_e64 v64, 0, v64, s[16:17]
	v_cvt_f16_f32_e32 v84, v79
	v_cndmask_b32_e64 v78, v97, v64, s[14:15]
	v_cvt_f16_f32_e32 v64, v78
	v_pk_mul_f16 v85, v44, v36 op_sel_hi:[1,0]
	v_pk_mul_f16 v44, v44, v36 op_sel:[0,1]
	v_pk_mul_f16 v53, v84, v53 op_sel_hi:[0,1]
	v_pk_fma_f16 v44, v84, v51, v44 op_sel_hi:[0,1,1]
	v_pk_mul_f16 v51, v45, v36 op_sel_hi:[1,0]
	v_pk_fma_f16 v63, v64, v63, v85 op_sel_hi:[0,1,1]
	v_pk_fma_f16 v51, v64, v52, v51 op_sel_hi:[0,1,1]
	v_pk_fma_f16 v36, v45, v36, v53 op_sel:[0,1,0]
	v_pk_fma_f16 v45, v46, v37, v63 op_sel_hi:[1,0,1]
	v_pk_fma_f16 v44, v46, v37, v44 op_sel:[0,1,0]
	;; [unrolled: 2-line block ×31, first 2 shown]
	s_waitcnt lgkmcnt(0)
	s_barrier
	ds_read2_b64 v[0:3], v93 offset1:28
	ds_read_b128 v[4:7], v69 offset:64
	ds_read_b128 v[8:11], v69 offset:80
	;; [unrolled: 1-line block ×4, first 2 shown]
	v_pk_fma_f32 v[54:55], v[54:55], v[78:79], v[82:83]
	s_waitcnt lgkmcnt(3)
	v_pk_fma_f16 v24, v0, v4, v20 op_sel_hi:[1,0,1]
	v_pk_fma_f16 v0, v0, v4, v21 op_sel:[0,1,0]
	v_pk_fma_f16 v25, v1, v4, v22 op_sel_hi:[1,0,1]
	v_pk_fma_f16 v1, v1, v4, v23 op_sel:[0,1,0]
	ds_read2_b64 v[20:23], v93 offset0:56 offset1:84
	v_pk_fma_f16 v4, v2, v5, v24 op_sel_hi:[1,0,1]
	v_pk_fma_f16 v0, v2, v5, v0 op_sel:[0,1,0]
	v_pk_fma_f16 v2, v3, v5, v25 op_sel_hi:[1,0,1]
	v_pk_fma_f16 v1, v3, v5, v1 op_sel:[0,1,0]
	s_waitcnt lgkmcnt(0)
	v_pk_fma_f16 v4, v20, v6, v4 op_sel_hi:[1,0,1]
	v_pk_fma_f16 v5, v20, v6, v0 op_sel:[0,1,0]
	v_pk_fma_f16 v20, v21, v6, v2 op_sel_hi:[1,0,1]
	v_pk_fma_f16 v6, v21, v6, v1 op_sel:[0,1,0]
	ds_read2_b64 v[0:3], v93 offset0:112 offset1:140
	v_pk_fma_f16 v4, v22, v7, v4 op_sel_hi:[1,0,1]
	v_pk_fma_f16 v5, v22, v7, v5 op_sel:[0,1,0]
	v_pk_fma_f16 v20, v23, v7, v20 op_sel_hi:[1,0,1]
	v_pk_fma_f16 v6, v23, v7, v6 op_sel:[0,1,0]
	;; [unrolled: 10-line block ×6, first 2 shown]
	s_waitcnt lgkmcnt(0)
	v_pk_fma_f16 v8, v0, v16, v8 op_sel_hi:[1,0,1]
	v_pk_fma_f16 v0, v0, v16, v4 op_sel:[0,1,0]
	v_pk_fma_f16 v9, v1, v16, v6 op_sel_hi:[1,0,1]
	v_pk_fma_f16 v1, v1, v16, v5 op_sel:[0,1,0]
	ds_read2_b64 v[4:7], v104 offset0:136 offset1:164
	s_waitcnt lgkmcnt(0)
	s_barrier
	s_load_dword s14, s[26:27], 0x4
	v_pk_fma_f16 v8, v2, v17, v8 op_sel_hi:[1,0,1]
	v_pk_fma_f16 v0, v2, v17, v0 op_sel:[0,1,0]
	v_pk_fma_f16 v2, v3, v17, v9 op_sel_hi:[1,0,1]
	v_pk_fma_f16 v1, v3, v17, v1 op_sel:[0,1,0]
	s_waitcnt lgkmcnt(0)
	s_lshl_b32 s14, s14, 5
	v_pk_fma_f16 v3, v4, v18, v8 op_sel_hi:[1,0,1]
	v_pk_fma_f16 v0, v4, v18, v0 op_sel:[0,1,0]
	v_pk_fma_f16 v2, v5, v18, v2 op_sel_hi:[1,0,1]
	v_pk_fma_f16 v1, v5, v18, v1 op_sel:[0,1,0]
	s_add_i32 s35, s14, s35
	v_pk_fma_f16 v63, v6, v19, v3 op_sel_hi:[1,0,1]
	v_pk_fma_f16 v51, v6, v19, v0 op_sel:[0,1,0]
	v_pk_fma_f16 v52, v7, v19, v2 op_sel_hi:[1,0,1]
	v_pk_fma_f16 v53, v7, v19, v1 op_sel:[0,1,0]
	s_cmp_ge_i32 s35, s40
	s_cbranch_scc1 .LBB40_37
; %bb.30:                               ;   in Loop: Header=BB40_11 Depth=1
	v_mov_b32_e32 v0, v80
	v_mov_b32_e32 v1, v81
	s_branch .LBB40_11
.LBB40_31:                              ;   in Loop: Header=BB40_11 Depth=1
	global_load_dwordx4 v[10:13], v[6:7], off offset:208
	s_waitcnt vmcnt(0)
	ds_write_b128 v89, v[10:13]
	s_or_b64 exec, exec, s[14:15]
	s_and_saveexec_b64 s[14:15], s[4:5]
	s_cbranch_execz .LBB40_19
.LBB40_32:                              ;   in Loop: Header=BB40_11 Depth=1
	v_lshl_add_u64 v[4:5], v[4:5], 0, v[64:65]
	global_load_dwordx4 v[4:7], v[4:5], off offset:176
	s_waitcnt vmcnt(0)
	ds_write_b128 v90, v[4:7]
	s_or_b64 exec, exec, s[14:15]
	s_and_saveexec_b64 s[14:15], s[6:7]
	s_cbranch_execnz .LBB40_20
	s_branch .LBB40_21
.LBB40_33:                              ;   in Loop: Header=BB40_11 Depth=1
	v_lshl_add_u64 v[2:3], v[70:71], 2, s[16:17]
	v_lshl_add_u64 v[2:3], v[2:3], 0, v[64:65]
	global_load_dwordx4 v[2:5], v[2:3], off offset:192
	s_waitcnt vmcnt(0)
	ds_write_b128 v94, v[2:5]
	s_or_b64 exec, exec, s[14:15]
	s_and_saveexec_b64 s[14:15], s[10:11]
	s_cbranch_execz .LBB40_23
.LBB40_34:                              ;   in Loop: Header=BB40_11 Depth=1
	v_lshl_add_u64 v[2:3], v[72:73], 2, s[16:17]
	v_mov_b32_e32 v79, v65
	v_lshl_add_u64 v[2:3], v[2:3], 0, v[78:79]
	global_load_dwordx4 v[2:5], v[2:3], off offset:128
	s_waitcnt vmcnt(0)
	ds_write_b128 v95, v[2:5]
	s_or_b64 exec, exec, s[14:15]
	v_lshlrev_b32_e32 v86, 2, v74
	s_and_saveexec_b64 s[14:15], s[12:13]
	s_cbranch_execnz .LBB40_24
	s_branch .LBB40_25
.LBB40_35:                              ;   in Loop: Header=BB40_11 Depth=1
	v_lshl_add_u64 v[106:107], v[70:71], 2, s[36:37]
	v_lshl_add_u64 v[106:107], v[106:107], 0, v[64:65]
	global_load_dwordx4 v[106:109], v[106:107], off offset:192
	s_waitcnt vmcnt(0)
	ds_write_b128 v94, v[106:109]
	s_or_b64 exec, exec, s[44:45]
	s_and_saveexec_b64 s[44:45], s[10:11]
	s_cbranch_execz .LBB40_27
.LBB40_36:                              ;   in Loop: Header=BB40_11 Depth=1
	v_lshl_add_u64 v[106:107], v[72:73], 2, s[36:37]
	v_mov_b32_e32 v79, v65
	v_lshl_add_u64 v[78:79], v[106:107], 0, v[78:79]
	global_load_dwordx4 v[106:109], v[78:79], off offset:128
	s_waitcnt vmcnt(0)
	ds_write_b128 v95, v[106:109]
	s_or_b64 exec, exec, s[44:45]
	s_and_saveexec_b64 s[44:45], s[12:13]
	s_cbranch_execnz .LBB40_28
	s_branch .LBB40_29
.LBB40_37:
	v_cmp_lt_i32_e32 vcc, v103, v101
	s_cmp_lg_u64 s[24:25], 0
	s_cselect_b64 s[4:5], -1, 0
	v_cndmask_b32_e32 v0, v59, v103, vcc
	v_lshlrev_b32_e32 v1, 2, v0
	ds_bpermute_b32 v0, v1, v54
	ds_bpermute_b32 v1, v1, v55
	v_cmp_lt_i32_e32 vcc, v102, v101
	s_cmp_eq_u32 s3, 0
	s_cselect_b64 s[6:7], -1, 0
	v_cndmask_b32_e32 v2, v59, v102, vcc
	v_lshlrev_b32_e32 v3, 2, v2
	s_waitcnt lgkmcnt(0)
	v_pk_add_f32 v[0:1], v[54:55], v[0:1]
	ds_bpermute_b32 v2, v3, v0
	ds_bpermute_b32 v3, v3, v1
	v_cmp_lt_i32_e32 vcc, v100, v101
	s_and_b64 s[4:5], s[6:7], s[4:5]
	s_waitcnt lgkmcnt(0)
	v_pk_add_f32 v[0:1], v[0:1], v[2:3]
	v_cndmask_b32_e32 v4, v59, v100, vcc
	v_lshlrev_b32_e32 v4, 2, v4
	ds_bpermute_b32 v2, v4, v0
	ds_bpermute_b32 v3, v4, v1
	v_cmp_lt_i32_e32 vcc, v99, v101
	s_waitcnt lgkmcnt(0)
	v_pk_add_f32 v[0:1], v[0:1], v[2:3]
	v_cndmask_b32_e32 v4, v59, v99, vcc
	v_lshlrev_b32_e32 v4, 2, v4
	ds_bpermute_b32 v2, v4, v0
	ds_bpermute_b32 v3, v4, v1
	v_cmp_lt_i32_e32 vcc, v98, v101
	s_waitcnt lgkmcnt(0)
	v_pk_add_f32 v[0:1], v[0:1], v[2:3]
	v_cndmask_b32_e32 v4, v59, v98, vcc
	v_lshlrev_b32_e32 v4, 2, v4
	ds_bpermute_b32 v2, v4, v0
	ds_bpermute_b32 v3, v4, v1
	s_and_b64 vcc, exec, s[4:5]
	s_waitcnt lgkmcnt(0)
	v_pk_add_f32 v[0:1], v[0:1], v[2:3]
	s_cbranch_vccz .LBB40_39
; %bb.38:
	s_ashr_i32 s35, s34, 31
	s_lshl_b64 s[4:5], s[34:35], 2
	s_add_u32 s4, s24, s4
	s_addc_u32 s5, s25, s5
	v_mov_b32_e32 v2, 0
	global_load_dwordx2 v[2:3], v2, s[4:5]
	v_max_f32_e32 v4, v81, v81
	v_max_f32_e32 v6, v80, v80
	s_mov_b32 s2, 0x3fb8aa3b
	s_mov_b32 s4, 0xc2ce8ed0
	;; [unrolled: 1-line block ×3, first 2 shown]
	v_mov_b32_e32 v8, 0x7f800000
	s_waitcnt vmcnt(0)
	v_max_f32_e32 v5, v3, v3
	v_max_f32_e32 v7, v2, v2
	;; [unrolled: 1-line block ×4, first 2 shown]
	v_pk_add_f32 v[6:7], v[80:81], v[4:5] neg_lo:[0,1] neg_hi:[0,1]
	v_pk_add_f32 v[2:3], v[2:3], v[4:5] neg_lo:[0,1] neg_hi:[0,1]
	v_mul_f32_e32 v9, 0x3fb8aa3b, v7
	v_mul_f32_e32 v10, 0x3fb8aa3b, v6
	v_fma_f32 v13, v7, s2, -v9
	v_rndne_f32_e32 v14, v9
	v_mul_f32_e32 v11, 0x3fb8aa3b, v3
	v_fma_f32 v15, v6, s2, -v10
	v_rndne_f32_e32 v16, v10
	v_fmac_f32_e32 v13, 0x32a5705f, v7
	v_sub_f32_e32 v9, v9, v14
	v_mul_f32_e32 v12, 0x3fb8aa3b, v2
	v_fma_f32 v17, v3, s2, -v11
	v_rndne_f32_e32 v18, v11
	v_fmac_f32_e32 v15, 0x32a5705f, v6
	v_sub_f32_e32 v10, v10, v16
	v_add_f32_e32 v9, v9, v13
	v_fma_f32 v19, v2, s2, -v12
	v_rndne_f32_e32 v20, v12
	v_cvt_i32_f32_e32 v14, v14
	v_fmac_f32_e32 v17, 0x32a5705f, v3
	v_sub_f32_e32 v11, v11, v18
	v_add_f32_e32 v10, v10, v15
	v_exp_f32_e32 v9, v9
	v_cvt_i32_f32_e32 v16, v16
	v_fmac_f32_e32 v19, 0x32a5705f, v2
	v_sub_f32_e32 v12, v12, v20
	v_add_f32_e32 v11, v11, v17
	v_exp_f32_e32 v10, v10
	v_cvt_i32_f32_e32 v18, v18
	v_add_f32_e32 v12, v12, v19
	v_exp_f32_e32 v11, v11
	v_cvt_i32_f32_e32 v20, v20
	v_exp_f32_e32 v12, v12
	v_ldexp_f32 v9, v9, v14
	v_cmp_ngt_f32_e32 vcc, s4, v7
	v_ldexp_f32 v10, v10, v16
	v_ldexp_f32 v11, v11, v18
	v_cndmask_b32_e32 v9, 0, v9, vcc
	v_cmp_ngt_f32_e32 vcc, s4, v6
	v_ldexp_f32 v12, v12, v20
	v_mov_b64_e32 v[80:81], v[4:5]
	v_cndmask_b32_e32 v10, 0, v10, vcc
	v_cmp_ngt_f32_e32 vcc, s4, v3
	s_nop 1
	v_cndmask_b32_e32 v11, 0, v11, vcc
	v_cmp_ngt_f32_e32 vcc, s4, v2
	s_nop 1
	v_cndmask_b32_e32 v12, 0, v12, vcc
	v_cmp_nlt_f32_e32 vcc, s5, v7
	s_nop 1
	v_cndmask_b32_e32 v7, v8, v9, vcc
	v_cmp_nlt_f32_e32 vcc, s5, v6
	;; [unrolled: 3-line block ×3, first 2 shown]
	v_cvt_f16_f32_e32 v9, v6
	v_pk_mul_f16 v63, v9, v63 op_sel_hi:[0,1]
	v_cndmask_b32_e32 v3, v8, v11, vcc
	v_cmp_nlt_f32_e32 vcc, s5, v2
	v_pk_mul_f16 v52, v9, v52 op_sel_hi:[0,1]
	s_nop 0
	v_cndmask_b32_e32 v2, v8, v12, vcc
	v_cvt_f16_f32_e32 v8, v7
	v_pk_fma_f32 v[0:1], v[0:1], v[6:7], v[2:3]
	v_pk_mul_f16 v51, v8, v51 op_sel_hi:[0,1]
	v_pk_mul_f16 v53, v8, v53 op_sel_hi:[0,1]
.LBB40_39:
	v_cmp_gt_i32_e32 vcc, s38, v49
	s_and_saveexec_b64 s[4:5], vcc
	s_cbranch_execz .LBB40_49
; %bb.40:
	s_load_dword s6, s[0:1], 0xd4
	v_mov_b32_e32 v4, 1.0
	s_waitcnt lgkmcnt(0)
	s_cmp_lg_u32 s6, 1
	s_cselect_b64 s[4:5], -1, 0
	s_cmp_eq_u32 s6, 1
	s_cselect_b64 s[0:1], -1, 0
	s_and_b64 vcc, exec, s[4:5]
	s_cbranch_vccnz .LBB40_42
; %bb.41:
	v_div_scale_f32 v2, s[8:9], v0, v0, 1.0
	v_rcp_f32_e32 v3, v2
	v_div_scale_f32 v4, vcc, 1.0, v0, 1.0
	v_fma_f32 v5, -v2, v3, 1.0
	v_fmac_f32_e32 v3, v5, v3
	v_mul_f32_e32 v5, v4, v3
	v_fma_f32 v6, -v2, v5, v4
	v_fmac_f32_e32 v5, v6, v3
	v_fma_f32 v2, -v2, v5, v4
	v_div_fmas_f32 v2, v2, v3, v5
	v_div_fixup_f32 v4, v2, v0, 1.0
.LBB40_42:
	s_mul_i32 s33, s33, s38
	v_add_u32_e32 v2, s33, v49
	v_mul_lo_u32 v2, v2, s39
	v_add_u32_e32 v2, s34, v2
	v_mul_lo_u32 v2, s6, v2
	v_add_u32_e32 v2, s3, v2
	s_and_saveexec_b64 s[2:3], s[22:23]
	s_cbranch_execz .LBB40_44
; %bb.43:
	v_cvt_f32_f16_sdwa v9, v63 dst_sel:DWORD dst_unused:UNUSED_PAD src0_sel:WORD_1
	v_cvt_f32_f16_e32 v8, v63
	v_cvt_f32_f16_sdwa v11, v52 dst_sel:DWORD dst_unused:UNUSED_PAD src0_sel:WORD_1
	v_cvt_f32_f16_e32 v10, v52
	s_movk_i32 s7, 0x70
	v_mad_u64_u32 v[6:7], s[8:9], v2, s7, v[48:49]
	v_mov_b32_e32 v7, 0
	v_lshl_add_u64 v[12:13], v[6:7], 2, s[28:29]
	v_pk_mul_f32 v[6:7], v[4:5], v[8:9] op_sel_hi:[0,1]
	v_pk_mul_f32 v[8:9], v[4:5], v[10:11] op_sel_hi:[0,1]
	global_store_dwordx4 v[12:13], v[6:9], off
.LBB40_44:
	s_or_b64 exec, exec, s[2:3]
	v_cmp_eq_u32_e32 vcc, 0, v50
	s_and_b64 s[2:3], vcc, s[4:5]
	s_and_saveexec_b64 s[4:5], s[2:3]
	s_cbranch_execnz .LBB40_50
; %bb.45:
	s_or_b64 exec, exec, s[4:5]
	s_andn2_b64 vcc, exec, s[0:1]
	v_mov_b32_e32 v0, 1.0
	s_cbranch_vccz .LBB40_51
.LBB40_46:
	v_add_u32_e32 v2, s6, v2
	s_and_saveexec_b64 s[0:1], s[22:23]
	s_cbranch_execnz .LBB40_52
.LBB40_47:
	s_or_b64 exec, exec, s[0:1]
	s_and_b64 exec, exec, s[2:3]
	s_cbranch_execz .LBB40_49
.LBB40_48:
	v_ashrrev_i32_e32 v3, 31, v2
	v_lshl_add_u64 v[2:3], v[2:3], 3, s[30:31]
	v_mov_b32_e32 v0, v81
	global_store_dwordx2 v[2:3], v[0:1], off
.LBB40_49:
	s_endpgm
.LBB40_50:
	v_ashrrev_i32_e32 v3, 31, v2
	v_lshl_add_u64 v[4:5], v[2:3], 3, s[30:31]
	v_mov_b32_e32 v6, v80
	v_mov_b32_e32 v7, v0
	global_store_dwordx2 v[4:5], v[6:7], off
	s_or_b64 exec, exec, s[4:5]
	s_andn2_b64 vcc, exec, s[0:1]
	v_mov_b32_e32 v0, 1.0
	s_cbranch_vccnz .LBB40_46
.LBB40_51:
	v_div_scale_f32 v0, s[0:1], v1, v1, 1.0
	v_rcp_f32_e32 v3, v0
	v_div_scale_f32 v4, vcc, 1.0, v1, 1.0
	v_fma_f32 v5, -v0, v3, 1.0
	v_fmac_f32_e32 v3, v5, v3
	v_mul_f32_e32 v5, v4, v3
	v_fma_f32 v6, -v0, v5, v4
	v_fmac_f32_e32 v5, v6, v3
	v_fma_f32 v0, -v0, v5, v4
	v_div_fmas_f32 v0, v0, v3, v5
	v_div_fixup_f32 v0, v0, v1, 1.0
	v_add_u32_e32 v2, s6, v2
	s_and_saveexec_b64 s[0:1], s[22:23]
	s_cbranch_execz .LBB40_47
.LBB40_52:
	v_cvt_f32_f16_sdwa v7, v51 dst_sel:DWORD dst_unused:UNUSED_PAD src0_sel:WORD_1
	v_cvt_f32_f16_e32 v6, v51
	v_cvt_f32_f16_sdwa v9, v53 dst_sel:DWORD dst_unused:UNUSED_PAD src0_sel:WORD_1
	v_cvt_f32_f16_e32 v8, v53
	s_movk_i32 s4, 0x70
	v_mad_u64_u32 v[4:5], s[4:5], v2, s4, v[48:49]
	v_mov_b32_e32 v5, 0
	v_lshl_add_u64 v[10:11], v[4:5], 2, s[28:29]
	v_pk_mul_f32 v[4:5], v[0:1], v[6:7] op_sel_hi:[0,1]
	v_pk_mul_f32 v[6:7], v[0:1], v[8:9] op_sel_hi:[0,1]
	global_store_dwordx4 v[10:11], v[4:7], off
	s_or_b64 exec, exec, s[0:1]
	s_and_b64 exec, exec, s[2:3]
	s_cbranch_execnz .LBB40_48
	s_branch .LBB40_49
	.section	.rodata,"a",@progbits
	.p2align	6, 0x0
	.amdhsa_kernel _ZL15flash_attn_tileILi112ELi112ELi8ELi2ELb0EEvPKcS1_S1_S1_S1_PKiPfP15HIP_vector_typeIfLj2EEffffjfiS5_IjLj3EEiiiiiiiiiiiliiliiiiil
		.amdhsa_group_segment_fixed_size 8768
		.amdhsa_private_segment_fixed_size 0
		.amdhsa_kernarg_size 464
		.amdhsa_user_sgpr_count 2
		.amdhsa_user_sgpr_dispatch_ptr 0
		.amdhsa_user_sgpr_queue_ptr 0
		.amdhsa_user_sgpr_kernarg_segment_ptr 1
		.amdhsa_user_sgpr_dispatch_id 0
		.amdhsa_user_sgpr_kernarg_preload_length 0
		.amdhsa_user_sgpr_kernarg_preload_offset 0
		.amdhsa_user_sgpr_private_segment_size 0
		.amdhsa_uses_dynamic_stack 0
		.amdhsa_enable_private_segment 0
		.amdhsa_system_sgpr_workgroup_id_x 1
		.amdhsa_system_sgpr_workgroup_id_y 1
		.amdhsa_system_sgpr_workgroup_id_z 1
		.amdhsa_system_sgpr_workgroup_info 0
		.amdhsa_system_vgpr_workitem_id 1
		.amdhsa_next_free_vgpr 110
		.amdhsa_next_free_sgpr 54
		.amdhsa_accum_offset 112
		.amdhsa_reserve_vcc 1
		.amdhsa_float_round_mode_32 0
		.amdhsa_float_round_mode_16_64 0
		.amdhsa_float_denorm_mode_32 3
		.amdhsa_float_denorm_mode_16_64 3
		.amdhsa_dx10_clamp 1
		.amdhsa_ieee_mode 1
		.amdhsa_fp16_overflow 0
		.amdhsa_tg_split 0
		.amdhsa_exception_fp_ieee_invalid_op 0
		.amdhsa_exception_fp_denorm_src 0
		.amdhsa_exception_fp_ieee_div_zero 0
		.amdhsa_exception_fp_ieee_overflow 0
		.amdhsa_exception_fp_ieee_underflow 0
		.amdhsa_exception_fp_ieee_inexact 0
		.amdhsa_exception_int_div_zero 0
	.end_amdhsa_kernel
	.section	.text._ZL15flash_attn_tileILi112ELi112ELi8ELi2ELb0EEvPKcS1_S1_S1_S1_PKiPfP15HIP_vector_typeIfLj2EEffffjfiS5_IjLj3EEiiiiiiiiiiiliiliiiiil,"axG",@progbits,_ZL15flash_attn_tileILi112ELi112ELi8ELi2ELb0EEvPKcS1_S1_S1_S1_PKiPfP15HIP_vector_typeIfLj2EEffffjfiS5_IjLj3EEiiiiiiiiiiiliiliiiiil,comdat
.Lfunc_end40:
	.size	_ZL15flash_attn_tileILi112ELi112ELi8ELi2ELb0EEvPKcS1_S1_S1_S1_PKiPfP15HIP_vector_typeIfLj2EEffffjfiS5_IjLj3EEiiiiiiiiiiiliiliiiiil, .Lfunc_end40-_ZL15flash_attn_tileILi112ELi112ELi8ELi2ELb0EEvPKcS1_S1_S1_S1_PKiPfP15HIP_vector_typeIfLj2EEffffjfiS5_IjLj3EEiiiiiiiiiiiliiliiiiil
                                        ; -- End function
	.section	.AMDGPU.csdata,"",@progbits
; Kernel info:
; codeLenInByte = 7444
; NumSgprs: 60
; NumVgprs: 110
; NumAgprs: 0
; TotalNumVgprs: 110
; ScratchSize: 0
; MemoryBound: 0
; FloatMode: 240
; IeeeMode: 1
; LDSByteSize: 8768 bytes/workgroup (compile time only)
; SGPRBlocks: 7
; VGPRBlocks: 13
; NumSGPRsForWavesPerEU: 60
; NumVGPRsForWavesPerEU: 110
; AccumOffset: 112
; Occupancy: 4
; WaveLimiterHint : 1
; COMPUTE_PGM_RSRC2:SCRATCH_EN: 0
; COMPUTE_PGM_RSRC2:USER_SGPR: 2
; COMPUTE_PGM_RSRC2:TRAP_HANDLER: 0
; COMPUTE_PGM_RSRC2:TGID_X_EN: 1
; COMPUTE_PGM_RSRC2:TGID_Y_EN: 1
; COMPUTE_PGM_RSRC2:TGID_Z_EN: 1
; COMPUTE_PGM_RSRC2:TIDIG_COMP_CNT: 1
; COMPUTE_PGM_RSRC3_GFX90A:ACCUM_OFFSET: 27
; COMPUTE_PGM_RSRC3_GFX90A:TG_SPLIT: 0
	.section	.text._ZL33flash_attn_stream_k_fixup_uniformILi112ELi8ELi2EEvPfPK15HIP_vector_typeIfLj2EEiiiiiiS1_IjLj3EES5_S5_,"axG",@progbits,_ZL33flash_attn_stream_k_fixup_uniformILi112ELi8ELi2EEvPfPK15HIP_vector_typeIfLj2EEiiiiiiS1_IjLj3EES5_S5_,comdat
	.globl	_ZL33flash_attn_stream_k_fixup_uniformILi112ELi8ELi2EEvPfPK15HIP_vector_typeIfLj2EEiiiiiiS1_IjLj3EES5_S5_ ; -- Begin function _ZL33flash_attn_stream_k_fixup_uniformILi112ELi8ELi2EEvPfPK15HIP_vector_typeIfLj2EEiiiiiiS1_IjLj3EES5_S5_
	.p2align	8
	.type	_ZL33flash_attn_stream_k_fixup_uniformILi112ELi8ELi2EEvPfPK15HIP_vector_typeIfLj2EEiiiiiiS1_IjLj3EES5_S5_,@function
_ZL33flash_attn_stream_k_fixup_uniformILi112ELi8ELi2EEvPfPK15HIP_vector_typeIfLj2EEiiiiiiS1_IjLj3EES5_S5_: ; @_ZL33flash_attn_stream_k_fixup_uniformILi112ELi8ELi2EEvPfPK15HIP_vector_typeIfLj2EEiiiiiiS1_IjLj3EES5_S5_
; %bb.0:
	s_load_dwordx8 s[8:15], s[0:1], 0x1c
	s_load_dwordx2 s[6:7], s[0:1], 0x10
	s_load_dwordx4 s[16:19], s[0:1], 0x3c
	s_waitcnt lgkmcnt(0)
	s_mul_hi_u32 s5, s11, s2
	s_add_i32 s5, s2, s5
	s_lshr_b32 s5, s5, s12
	s_mul_i32 s11, s5, s13
	s_sub_i32 s12, s2, s11
	s_mul_hi_u32 s11, s12, s14
	s_add_i32 s11, s12, s11
	s_lshr_b32 s11, s11, s15
	s_mul_i32 s13, s11, s16
	s_sub_i32 s12, s12, s13
	;; [unrolled: 5-line block ×3, first 2 shown]
	s_lshl_b32 s12, s16, 3
	s_lshl_b32 s17, s13, 1
	s_add_i32 s12, s12, s3
	s_cmp_lt_i32 s12, s6
	s_cselect_b64 s[12:13], -1, 0
	s_add_i32 s17, s17, s4
	s_cmp_lt_i32 s17, s9
	s_cselect_b64 s[14:15], -1, 0
	s_and_b64 s[12:13], s[12:13], s[14:15]
	s_andn2_b64 vcc, exec, s[12:13]
	s_cbranch_vccnz .LBB41_6
; %bb.1:
	s_load_dwordx4 s[12:15], s[0:1], 0x0
	s_mul_i32 s0, s5, s6
	s_mul_i32 s11, s11, s9
	s_add_i32 s0, s0, s3
	s_mul_i32 s0, s0, s7
	s_add_i32 s5, s17, s11
	;; [unrolled: 2-line block ×3, first 2 shown]
	s_mulk_i32 s1, 0x380
	s_mulk_i32 s0, 0x70
	s_add_i32 s0, s0, s1
	v_add_u32_e32 v4, s0, v0
	s_waitcnt lgkmcnt(0)
	v_mov_b32_e32 v2, s12
	v_mov_b32_e32 v3, s13
	v_ashrrev_i32_e32 v5, 31, v4
	v_lshl_add_u64 v[2:3], v[4:5], 2, v[2:3]
	global_load_dword v7, v[2:3], off
	s_mul_i32 s5, s2, s10
	s_lshl_b32 s11, s3, 1
	s_add_i32 s9, s5, s10
	s_add_i32 s0, s11, s4
	s_lshl_b32 s1, s9, 4
	s_add_i32 s0, s0, s1
	s_add_i32 s0, s0, -16
	s_ashr_i32 s1, s0, 31
	s_lshl_b64 s[0:1], s[0:1], 3
	s_add_u32 s0, s14, s0
	s_addc_u32 s1, s15, s1
	s_load_dword s12, s[0:1], 0x4
	s_add_i32 s6, s9, -2
	s_cmp_lt_i32 s6, s5
	s_cbranch_scc1 .LBB41_4
; %bb.2:
	s_lshl_b32 s6, s8, 6
	s_ashr_i32 s7, s6, 31
	s_lshl_b64 s[6:7], s[6:7], 2
	s_add_u32 s6, s14, s6
	s_addc_u32 s7, s15, s7
	s_add_i32 s2, s2, 1
	s_load_dword s0, s[0:1], 0x0
	s_mul_i32 s1, s10, s2
	s_lshl_b32 s2, s1, 4
	s_add_i32 s2, s4, s2
	s_mulk_i32 s3, 0xe0
	s_mulk_i32 s4, 0x70
	s_lshl_b32 s8, s8, 4
	s_mulk_i32 s1, 0x700
	s_add_i32 s3, s4, s3
	s_add_i32 s2, s2, s8
	;; [unrolled: 1-line block ×4, first 2 shown]
	v_add_u32_e32 v0, s3, v0
	s_add_i32 s9, s9, -1
	s_sub_i32 s2, s2, 32
	v_add_u32_e32 v0, 0xfffff200, v0
	s_waitcnt lgkmcnt(0)
	v_mov_b32_e32 v6, s12
	v_mov_b32_e32 v5, s0
	s_mov_b32 s4, 0x3fb8aa3b
	s_mov_b32 s8, 0xc2ce8ed0
	;; [unrolled: 1-line block ×3, first 2 shown]
	v_mov_b32_e32 v4, 0x7f800000
	s_mov_b32 s11, 0xc1a00000
.LBB41_3:                               ; =>This Inner Loop Header: Depth=1
	v_ashrrev_i32_e32 v1, 31, v0
	v_lshl_add_u64 v[8:9], v[0:1], 2, s[6:7]
	global_load_dword v1, v[8:9], off
	s_ashr_i32 s3, s2, 31
	s_lshl_b64 s[0:1], s[2:3], 3
	s_add_u32 s0, s14, s0
	s_addc_u32 s1, s15, s1
	s_load_dwordx2 s[12:13], s[0:1], 0x0
	s_waitcnt vmcnt(1)
	v_mov_b32_e32 v8, v7
	v_max_f32_e32 v7, v5, v5
	v_mov_b32_e32 v9, v6
	s_add_i32 s9, s9, -1
	s_waitcnt lgkmcnt(0)
	v_max_f32_e64 v6, s12, s12
	v_max_f32_e32 v6, v7, v6
	v_sub_f32_e32 v10, s12, v6
	v_sub_f32_e32 v7, v5, v6
	v_mul_f32_e32 v11, 0x3fb8aa3b, v10
	v_mov_b32_e32 v5, v6
	v_mul_f32_e32 v6, 0x3fb8aa3b, v7
	v_fma_f32 v14, v10, s4, -v11
	v_rndne_f32_e32 v15, v11
	v_fma_f32 v12, v7, s4, -v6
	v_rndne_f32_e32 v13, v6
	v_fmac_f32_e32 v14, 0x32a5705f, v10
	v_sub_f32_e32 v11, v11, v15
	v_fmac_f32_e32 v12, 0x32a5705f, v7
	v_sub_f32_e32 v6, v6, v13
	v_add_f32_e32 v11, v11, v14
	v_cvt_i32_f32_e32 v15, v15
	v_add_f32_e32 v6, v6, v12
	v_exp_f32_e32 v11, v11
	v_cvt_i32_f32_e32 v13, v13
	v_exp_f32_e32 v6, v6
	v_cmp_ngt_f32_e32 vcc, s8, v10
	v_ldexp_f32 v11, v11, v15
	v_cmp_ngt_f32_e64 s[0:1], s8, v7
	v_ldexp_f32 v6, v6, v13
	v_cndmask_b32_e32 v11, 0, v11, vcc
	v_cmp_nlt_f32_e32 vcc, s10, v10
	v_cndmask_b32_e64 v6, 0, v6, s[0:1]
	v_cmp_nlt_f32_e64 s[0:1], s10, v7
	v_cndmask_b32_e32 v11, v4, v11, vcc
	v_cmp_le_f32_e32 vcc, s11, v10
	v_cndmask_b32_e64 v6, v4, v6, s[0:1]
	v_cmp_le_f32_e64 s[0:1], s11, v7
	v_cndmask_b32_e32 v7, 0, v11, vcc
	s_add_i32 s2, s2, -16
	v_cndmask_b32_e64 v10, 0, v6, s[0:1]
	v_mul_f32_e32 v6, s13, v7
	v_add_u32_e32 v0, 0xfffff900, v0
	s_cmp_le_i32 s9, s5
	v_fmac_f32_e32 v6, v9, v10
	s_waitcnt vmcnt(0)
	v_mul_f32_e32 v7, v1, v7
	v_fmac_f32_e32 v7, v8, v10
	s_cbranch_scc0 .LBB41_3
	s_branch .LBB41_5
.LBB41_4:
	s_waitcnt lgkmcnt(0)
	v_mov_b32_e32 v6, s12
.LBB41_5:
	s_waitcnt vmcnt(0)
	v_div_scale_f32 v0, s[0:1], v6, v6, v7
	v_rcp_f32_e32 v1, v0
	v_div_scale_f32 v4, vcc, v7, v6, v7
	v_fma_f32 v5, -v0, v1, 1.0
	v_fmac_f32_e32 v1, v5, v1
	v_mul_f32_e32 v5, v4, v1
	v_fma_f32 v8, -v0, v5, v4
	v_fmac_f32_e32 v5, v8, v1
	v_fma_f32 v0, -v0, v5, v4
	v_div_fmas_f32 v0, v0, v1, v5
	v_div_fixup_f32 v0, v0, v6, v7
	global_store_dword v[2:3], v0, off
.LBB41_6:
	s_endpgm
	.section	.rodata,"a",@progbits
	.p2align	6, 0x0
	.amdhsa_kernel _ZL33flash_attn_stream_k_fixup_uniformILi112ELi8ELi2EEvPfPK15HIP_vector_typeIfLj2EEiiiiiiS1_IjLj3EES5_S5_
		.amdhsa_group_segment_fixed_size 0
		.amdhsa_private_segment_fixed_size 0
		.amdhsa_kernarg_size 76
		.amdhsa_user_sgpr_count 2
		.amdhsa_user_sgpr_dispatch_ptr 0
		.amdhsa_user_sgpr_queue_ptr 0
		.amdhsa_user_sgpr_kernarg_segment_ptr 1
		.amdhsa_user_sgpr_dispatch_id 0
		.amdhsa_user_sgpr_kernarg_preload_length 0
		.amdhsa_user_sgpr_kernarg_preload_offset 0
		.amdhsa_user_sgpr_private_segment_size 0
		.amdhsa_uses_dynamic_stack 0
		.amdhsa_enable_private_segment 0
		.amdhsa_system_sgpr_workgroup_id_x 1
		.amdhsa_system_sgpr_workgroup_id_y 1
		.amdhsa_system_sgpr_workgroup_id_z 1
		.amdhsa_system_sgpr_workgroup_info 0
		.amdhsa_system_vgpr_workitem_id 0
		.amdhsa_next_free_vgpr 16
		.amdhsa_next_free_sgpr 20
		.amdhsa_accum_offset 16
		.amdhsa_reserve_vcc 1
		.amdhsa_float_round_mode_32 0
		.amdhsa_float_round_mode_16_64 0
		.amdhsa_float_denorm_mode_32 3
		.amdhsa_float_denorm_mode_16_64 3
		.amdhsa_dx10_clamp 1
		.amdhsa_ieee_mode 1
		.amdhsa_fp16_overflow 0
		.amdhsa_tg_split 0
		.amdhsa_exception_fp_ieee_invalid_op 0
		.amdhsa_exception_fp_denorm_src 0
		.amdhsa_exception_fp_ieee_div_zero 0
		.amdhsa_exception_fp_ieee_overflow 0
		.amdhsa_exception_fp_ieee_underflow 0
		.amdhsa_exception_fp_ieee_inexact 0
		.amdhsa_exception_int_div_zero 0
	.end_amdhsa_kernel
	.section	.text._ZL33flash_attn_stream_k_fixup_uniformILi112ELi8ELi2EEvPfPK15HIP_vector_typeIfLj2EEiiiiiiS1_IjLj3EES5_S5_,"axG",@progbits,_ZL33flash_attn_stream_k_fixup_uniformILi112ELi8ELi2EEvPfPK15HIP_vector_typeIfLj2EEiiiiiiS1_IjLj3EES5_S5_,comdat
.Lfunc_end41:
	.size	_ZL33flash_attn_stream_k_fixup_uniformILi112ELi8ELi2EEvPfPK15HIP_vector_typeIfLj2EEiiiiiiS1_IjLj3EES5_S5_, .Lfunc_end41-_ZL33flash_attn_stream_k_fixup_uniformILi112ELi8ELi2EEvPfPK15HIP_vector_typeIfLj2EEiiiiiiS1_IjLj3EES5_S5_
                                        ; -- End function
	.section	.AMDGPU.csdata,"",@progbits
; Kernel info:
; codeLenInByte = 836
; NumSgprs: 26
; NumVgprs: 16
; NumAgprs: 0
; TotalNumVgprs: 16
; ScratchSize: 0
; MemoryBound: 0
; FloatMode: 240
; IeeeMode: 1
; LDSByteSize: 0 bytes/workgroup (compile time only)
; SGPRBlocks: 3
; VGPRBlocks: 1
; NumSGPRsForWavesPerEU: 26
; NumVGPRsForWavesPerEU: 16
; AccumOffset: 16
; Occupancy: 8
; WaveLimiterHint : 0
; COMPUTE_PGM_RSRC2:SCRATCH_EN: 0
; COMPUTE_PGM_RSRC2:USER_SGPR: 2
; COMPUTE_PGM_RSRC2:TRAP_HANDLER: 0
; COMPUTE_PGM_RSRC2:TGID_X_EN: 1
; COMPUTE_PGM_RSRC2:TGID_Y_EN: 1
; COMPUTE_PGM_RSRC2:TGID_Z_EN: 1
; COMPUTE_PGM_RSRC2:TIDIG_COMP_CNT: 0
; COMPUTE_PGM_RSRC3_GFX90A:ACCUM_OFFSET: 3
; COMPUTE_PGM_RSRC3_GFX90A:TG_SPLIT: 0
	.section	.text._ZL33flash_attn_stream_k_fixup_generalILi112ELi8ELi2EEvPfPK15HIP_vector_typeIfLj2EEiiiiS1_IjLj3EES5_S5_S5_,"axG",@progbits,_ZL33flash_attn_stream_k_fixup_generalILi112ELi8ELi2EEvPfPK15HIP_vector_typeIfLj2EEiiiiS1_IjLj3EES5_S5_S5_,comdat
	.globl	_ZL33flash_attn_stream_k_fixup_generalILi112ELi8ELi2EEvPfPK15HIP_vector_typeIfLj2EEiiiiS1_IjLj3EES5_S5_S5_ ; -- Begin function _ZL33flash_attn_stream_k_fixup_generalILi112ELi8ELi2EEvPfPK15HIP_vector_typeIfLj2EEiiiiS1_IjLj3EES5_S5_S5_
	.p2align	8
	.type	_ZL33flash_attn_stream_k_fixup_generalILi112ELi8ELi2EEvPfPK15HIP_vector_typeIfLj2EEiiiiS1_IjLj3EES5_S5_S5_,@function
_ZL33flash_attn_stream_k_fixup_generalILi112ELi8ELi2EEvPfPK15HIP_vector_typeIfLj2EEiiiiS1_IjLj3EES5_S5_S5_: ; @_ZL33flash_attn_stream_k_fixup_generalILi112ELi8ELi2EEvPfPK15HIP_vector_typeIfLj2EEiiiiS1_IjLj3EES5_S5_S5_
; %bb.0:
	s_load_dwordx4 s[12:15], s[0:1], 0x10
	s_load_dword s22, s[0:1], 0x50
	s_mov_b32 s8, 0
	s_waitcnt lgkmcnt(0)
	s_mul_hi_i32 s9, s15, s2
	s_cmp_lg_u64 s[8:9], 0
	s_mul_i32 s5, s15, s2
	s_cbranch_scc0 .LBB42_21
; %bb.1:
	v_cvt_f32_u32_e32 v1, s22
	v_cvt_f32_ubyte0_e32 v2, 0
	s_sub_u32 s8, 0, s22
	s_subb_u32 s10, 0, 0
	v_fmamk_f32 v1, v2, 0x4f800000, v1
	v_rcp_f32_e32 v1, v1
	s_nop 0
	v_mul_f32_e32 v1, 0x5f7ffffc, v1
	v_mul_f32_e32 v2, 0x2f800000, v1
	v_trunc_f32_e32 v2, v2
	v_fmamk_f32 v1, v2, 0xcf800000, v1
	v_cvt_u32_f32_e32 v2, v2
	v_cvt_u32_f32_e32 v1, v1
	v_readfirstlane_b32 s11, v2
	v_readfirstlane_b32 s16, v1
	s_mul_i32 s17, s8, s11
	s_mul_hi_u32 s19, s8, s16
	s_mul_i32 s18, s10, s16
	s_add_i32 s17, s19, s17
	s_add_i32 s17, s17, s18
	s_mul_i32 s20, s8, s16
	s_mul_hi_u32 s18, s16, s17
	s_mul_i32 s19, s16, s17
	s_mul_hi_u32 s16, s16, s20
	s_add_u32 s16, s16, s19
	s_addc_u32 s18, 0, s18
	s_mul_hi_u32 s21, s11, s20
	s_mul_i32 s20, s11, s20
	s_add_u32 s16, s16, s20
	s_mul_hi_u32 s19, s11, s17
	s_addc_u32 s16, s18, s21
	s_addc_u32 s18, s19, 0
	s_mul_i32 s17, s11, s17
	s_add_u32 s16, s16, s17
	s_addc_u32 s17, 0, s18
	v_add_co_u32_e32 v1, vcc, s16, v1
	s_cmp_lg_u64 vcc, 0
	s_addc_u32 s11, s11, s17
	v_readfirstlane_b32 s17, v1
	s_mul_i32 s16, s8, s11
	s_mul_hi_u32 s18, s8, s17
	s_add_i32 s16, s18, s16
	s_mul_i32 s10, s10, s17
	s_add_i32 s16, s16, s10
	s_mul_i32 s8, s8, s17
	s_mul_hi_u32 s18, s11, s8
	s_mul_i32 s19, s11, s8
	s_mul_i32 s21, s17, s16
	s_mul_hi_u32 s8, s17, s8
	s_mul_hi_u32 s20, s17, s16
	s_add_u32 s8, s8, s21
	s_addc_u32 s17, 0, s20
	s_add_u32 s8, s8, s19
	s_mul_hi_u32 s10, s11, s16
	s_addc_u32 s8, s17, s18
	s_addc_u32 s10, s10, 0
	s_mul_i32 s16, s11, s16
	s_add_u32 s8, s8, s16
	s_addc_u32 s10, 0, s10
	v_add_co_u32_e32 v1, vcc, s8, v1
	s_cmp_lg_u64 vcc, 0
	s_addc_u32 s16, s11, s10
	s_ashr_i32 s10, s9, 31
	s_add_u32 s8, s5, s10
	s_mov_b32 s11, s10
	s_addc_u32 s9, s9, s10
	s_xor_b64 s[8:9], s[8:9], s[10:11]
	v_readfirstlane_b32 s19, v1
	s_mul_i32 s18, s8, s16
	s_mul_hi_u32 s20, s8, s19
	s_mul_hi_u32 s17, s8, s16
	s_add_u32 s18, s20, s18
	s_addc_u32 s17, 0, s17
	s_mul_hi_u32 s21, s9, s19
	s_mul_i32 s19, s9, s19
	s_add_u32 s18, s18, s19
	s_mul_hi_u32 s20, s9, s16
	s_addc_u32 s17, s17, s21
	s_addc_u32 s18, s20, 0
	s_mul_i32 s16, s9, s16
	s_add_u32 s16, s17, s16
	s_addc_u32 s17, 0, s18
	s_add_u32 s18, s16, 1
	s_addc_u32 s19, s17, 0
	s_add_u32 s20, s16, 2
	s_mul_i32 s23, s22, s17
	s_mul_hi_u32 s24, s22, s16
	s_addc_u32 s21, s17, 0
	s_add_i32 s24, s24, s23
	s_mul_i32 s23, s22, s16
	v_mov_b32_e32 v1, s23
	v_sub_co_u32_e32 v1, vcc, s8, v1
	s_cmp_lg_u64 vcc, 0
	s_subb_u32 s8, s9, s24
	v_subrev_co_u32_e32 v2, vcc, s22, v1
	s_cmp_lg_u64 vcc, 0
	s_subb_u32 s9, s8, 0
	v_readfirstlane_b32 s23, v2
	s_cmp_ge_u32 s23, s22
	s_cselect_b32 s23, -1, 0
	s_cmp_eq_u32 s9, 0
	s_cselect_b32 s9, s23, -1
	s_cmp_lg_u32 s9, 0
	s_cselect_b32 s9, s21, s19
	v_readfirstlane_b32 s19, v1
	s_cselect_b32 s18, s20, s18
	s_cmp_ge_u32 s19, s22
	s_cselect_b32 s19, -1, 0
	s_cmp_eq_u32 s8, 0
	s_cselect_b32 s8, s19, -1
	s_cmp_lg_u32 s8, 0
	s_cselect_b32 s9, s9, s17
	s_cselect_b32 s8, s18, s16
	s_xor_b64 s[8:9], s[8:9], s[10:11]
	s_sub_u32 s20, s8, s10
	s_load_dwordx4 s[16:19], s[0:1], 0x44
	s_cbranch_execnz .LBB42_3
.LBB42_2:
	v_cvt_f32_u32_e32 v1, s22
	s_sub_i32 s6, 0, s22
	v_rcp_iflag_f32_e32 v1, v1
	s_nop 0
	v_mul_f32_e32 v1, 0x4f7ffffe, v1
	v_cvt_u32_f32_e32 v1, v1
	s_nop 0
	v_readfirstlane_b32 s7, v1
	s_mul_i32 s6, s6, s7
	s_mul_hi_u32 s6, s7, s6
	s_add_i32 s7, s7, s6
	s_mul_hi_u32 s6, s5, s7
	s_mul_i32 s8, s6, s22
	s_sub_i32 s5, s5, s8
	s_add_i32 s7, s6, 1
	s_sub_i32 s8, s5, s22
	s_cmp_ge_u32 s5, s22
	s_cselect_b32 s6, s7, s6
	s_cselect_b32 s5, s8, s5
	s_add_i32 s7, s6, 1
	s_cmp_ge_u32 s5, s22
	s_cselect_b32 s20, s7, s6
.LBB42_3:
	s_add_i32 s5, s2, 1
	s_mul_hi_i32 s9, s15, s5
	s_mov_b32 s8, 0
	s_cmp_lg_u64 s[8:9], 0
	s_mul_i32 s5, s15, s5
	s_cbranch_scc0 .LBB42_22
; %bb.4:
	v_cvt_f32_u32_e32 v1, s22
	v_cvt_f32_ubyte0_e32 v2, 0
	s_sub_u32 s8, 0, s22
	s_subb_u32 s10, 0, 0
	v_fmamk_f32 v1, v2, 0x4f800000, v1
	v_rcp_f32_e32 v1, v1
	s_nop 0
	v_mul_f32_e32 v1, 0x5f7ffffc, v1
	v_mul_f32_e32 v2, 0x2f800000, v1
	v_trunc_f32_e32 v2, v2
	v_fmamk_f32 v1, v2, 0xcf800000, v1
	v_cvt_u32_f32_e32 v2, v2
	v_cvt_u32_f32_e32 v1, v1
	v_readfirstlane_b32 s11, v2
	s_waitcnt lgkmcnt(0)
	v_readfirstlane_b32 s19, v1
	s_mul_i32 s21, s8, s11
	s_mul_hi_u32 s24, s8, s19
	s_mul_i32 s23, s10, s19
	s_add_i32 s21, s24, s21
	s_add_i32 s21, s21, s23
	s_mul_i32 s25, s8, s19
	s_mul_hi_u32 s23, s19, s21
	s_mul_i32 s24, s19, s21
	s_mul_hi_u32 s19, s19, s25
	s_add_u32 s19, s19, s24
	s_addc_u32 s23, 0, s23
	s_mul_hi_u32 s26, s11, s25
	s_mul_i32 s25, s11, s25
	s_add_u32 s19, s19, s25
	s_mul_hi_u32 s24, s11, s21
	s_addc_u32 s19, s23, s26
	s_addc_u32 s23, s24, 0
	s_mul_i32 s21, s11, s21
	s_add_u32 s19, s19, s21
	s_addc_u32 s21, 0, s23
	v_add_co_u32_e32 v1, vcc, s19, v1
	s_cmp_lg_u64 vcc, 0
	s_addc_u32 s11, s11, s21
	v_readfirstlane_b32 s21, v1
	s_mul_i32 s19, s8, s11
	s_mul_hi_u32 s23, s8, s21
	s_add_i32 s19, s23, s19
	s_mul_i32 s10, s10, s21
	s_add_i32 s19, s19, s10
	s_mul_i32 s8, s8, s21
	s_mul_hi_u32 s23, s11, s8
	s_mul_i32 s24, s11, s8
	s_mul_i32 s26, s21, s19
	s_mul_hi_u32 s8, s21, s8
	s_mul_hi_u32 s25, s21, s19
	s_add_u32 s8, s8, s26
	s_addc_u32 s21, 0, s25
	s_add_u32 s8, s8, s24
	s_mul_hi_u32 s10, s11, s19
	s_addc_u32 s8, s21, s23
	s_addc_u32 s10, s10, 0
	s_mul_i32 s19, s11, s19
	s_add_u32 s8, s8, s19
	s_addc_u32 s10, 0, s10
	v_add_co_u32_e32 v1, vcc, s8, v1
	s_cmp_lg_u64 vcc, 0
	s_addc_u32 s19, s11, s10
	s_ashr_i32 s10, s9, 31
	s_add_u32 s8, s5, s10
	s_mov_b32 s11, s10
	s_addc_u32 s9, s9, s10
	s_xor_b64 s[8:9], s[8:9], s[10:11]
	v_readfirstlane_b32 s23, v1
	s_mul_i32 s21, s8, s19
	s_mul_hi_u32 s24, s8, s23
	s_mul_hi_u32 s11, s8, s19
	s_add_u32 s21, s24, s21
	s_addc_u32 s11, 0, s11
	s_mul_hi_u32 s25, s9, s23
	s_mul_i32 s23, s9, s23
	s_add_u32 s21, s21, s23
	s_mul_hi_u32 s24, s9, s19
	s_addc_u32 s11, s11, s25
	s_addc_u32 s21, s24, 0
	s_mul_i32 s19, s9, s19
	s_add_u32 s11, s11, s19
	s_addc_u32 s19, 0, s21
	s_mul_i32 s19, s22, s19
	s_mul_hi_u32 s24, s22, s11
	s_add_i32 s24, s24, s19
	s_mul_i32 s19, s22, s11
	v_mov_b32_e32 v1, s19
	s_add_u32 s21, s11, 1
	s_add_u32 s23, s11, 2
	v_sub_co_u32_e32 v1, vcc, s8, v1
	s_cmp_lg_u64 vcc, 0
	s_subb_u32 s8, s9, s24
	v_subrev_co_u32_e32 v2, vcc, s22, v1
	s_cmp_lg_u64 vcc, 0
	s_subb_u32 s9, s8, 0
	v_cmp_le_u32_e32 vcc, s22, v2
	s_cmp_eq_u32 s9, 0
	v_mov_b32_e32 v3, s21
	v_cndmask_b32_e64 v2, 0, -1, vcc
	s_cselect_b64 vcc, -1, 0
	v_cndmask_b32_e32 v2, -1, v2, vcc
	v_mov_b32_e32 v4, s23
	v_cmp_ne_u32_e32 vcc, 0, v2
	s_cmp_eq_u32 s8, 0
	s_nop 0
	v_cndmask_b32_e32 v2, v3, v4, vcc
	v_cmp_le_u32_e32 vcc, s22, v1
	v_mov_b32_e32 v3, s11
	s_nop 0
	v_cndmask_b32_e64 v1, 0, -1, vcc
	s_cselect_b64 vcc, -1, 0
	v_cndmask_b32_e32 v1, -1, v1, vcc
	v_cmp_ne_u32_e32 vcc, 0, v1
	s_nop 1
	v_cndmask_b32_e32 v1, v3, v2, vcc
	v_xor_b32_e32 v1, s10, v1
	v_subrev_co_u32_e32 v2, vcc, s10, v1
	s_cbranch_execnz .LBB42_6
.LBB42_5:
	v_cvt_f32_u32_e32 v1, s22
	s_sub_i32 s6, 0, s22
	s_mov_b32 s7, 0
	v_rcp_iflag_f32_e32 v1, v1
	s_nop 0
	v_mul_f32_e32 v1, 0x4f7ffffe, v1
	v_cvt_u32_f32_e32 v1, v1
	s_nop 0
	v_readfirstlane_b32 s8, v1
	s_mul_i32 s6, s6, s8
	s_mul_hi_u32 s6, s8, s6
	s_add_i32 s8, s8, s6
	s_mul_hi_u32 s6, s5, s8
	s_mul_i32 s9, s6, s22
	s_sub_i32 s5, s5, s9
	s_add_i32 s8, s6, 1
	s_sub_i32 s9, s5, s22
	s_cmp_ge_u32 s5, s22
	s_cselect_b32 s6, s8, s6
	s_cselect_b32 s5, s9, s5
	s_add_i32 s8, s6, 1
	s_cmp_ge_u32 s5, s22
	s_cselect_b32 s6, s8, s6
	v_mov_b64_e32 v[2:3], s[6:7]
.LBB42_6:
	s_waitcnt lgkmcnt(0)
	s_mul_hi_u32 s5, s20, s16
	s_add_i32 s5, s5, s20
	v_mul_hi_u32 v1, v2, s16
	s_lshr_b32 s19, s5, s17
	v_add_u32_e32 v1, v1, v2
	s_mul_i32 s5, s19, s18
	v_lshrrev_b32_e32 v1, s17, v1
	s_cmp_eq_u32 s5, s20
	v_cmp_eq_u32_e64 s[6:7], s19, v1
	v_mul_lo_u32 v1, v1, s18
	v_cmp_eq_u32_e32 vcc, s20, v2
	s_cselect_b64 s[10:11], -1, 0
	v_cmp_ne_u32_e64 s[8:9], v1, v2
	s_and_b64 s[6:7], s[6:7], s[8:9]
	s_or_b64 s[8:9], vcc, s[10:11]
	s_or_b64 s[6:7], s[8:9], s[6:7]
	s_and_b64 vcc, exec, s[6:7]
	s_cbranch_vccnz .LBB42_24
; %bb.7:
	s_load_dwordx8 s[24:31], s[0:1], 0x20
	s_load_dword s5, s[0:1], 0x40
	s_waitcnt lgkmcnt(0)
	s_mul_hi_u32 s6, s20, s24
	s_add_i32 s6, s6, s20
	s_lshr_b32 s7, s6, s25
	s_mul_i32 s6, s7, s26
	s_sub_i32 s6, s20, s6
	s_mul_hi_u32 s8, s6, s27
	s_add_i32 s8, s6, s8
	s_lshr_b32 s23, s8, s28
	s_mul_i32 s8, s23, s29
	s_sub_i32 s6, s6, s8
	s_mul_hi_u32 s8, s6, s30
	s_add_i32 s8, s6, s8
	s_lshr_b32 s8, s8, s31
	s_mul_i32 s5, s8, s5
	s_sub_i32 s5, s6, s5
	s_mul_hi_u32 s6, s5, s16
	s_add_i32 s5, s5, s6
	s_lshr_b32 s24, s5, s17
	s_lshl_b32 s5, s24, 3
	s_lshl_b32 s25, s8, 1
	s_add_i32 s5, s5, s3
	s_cmp_lt_i32 s5, s12
	s_cselect_b64 s[8:9], -1, 0
	s_add_i32 s25, s25, s4
	s_cmp_lt_i32 s25, s14
	s_cselect_b64 s[10:11], -1, 0
	s_and_b64 s[8:9], s[8:9], s[10:11]
	s_andn2_b64 vcc, exec, s[8:9]
	s_mov_b32 s6, 0
	s_cbranch_vccnz .LBB42_24
; %bb.8:
	s_load_dwordx4 s[8:11], s[0:1], 0x0
	s_lshl_b32 s21, s3, 1
	s_lshl_b32 s0, s22, 6
	s_mov_b32 s1, s6
	s_add_i32 s21, s21, s4
	s_lshl_b64 s[0:1], s[0:1], 2
	s_waitcnt lgkmcnt(0)
	s_add_u32 s4, s10, s0
	s_mul_i32 s0, s7, s12
	s_addc_u32 s5, s11, s1
	s_mul_i32 s23, s23, s14
	s_add_i32 s0, s0, s3
	s_mul_i32 s0, s0, s13
	s_add_i32 s3, s25, s23
	;; [unrolled: 2-line block ×3, first 2 shown]
	s_mulk_i32 s1, 0x380
	s_mulk_i32 s0, 0x70
	s_add_i32 s1, s1, s0
	v_add_u32_e32 v4, s1, v0
	v_mov_b32_e32 v2, s8
	v_mov_b32_e32 v3, s9
	v_ashrrev_i32_e32 v5, 31, v4
	v_lshl_add_u64 v[2:3], v[4:5], 2, v[2:3]
	global_load_dword v5, v[2:3], off
	s_lshl_b32 s0, s2, 4
	s_add_i32 s0, s21, s0
	s_ashr_i32 s1, s0, 31
	s_lshl_b64 s[0:1], s[0:1], 3
	s_add_u32 s0, s10, s0
	s_addc_u32 s1, s11, s1
	s_add_i32 s12, s2, -1
	s_mul_i32 s2, s21, 0x70
	v_add_u32_e32 v4, s2, v0
	v_cvt_f32_u32_e32 v0, s22
	v_cvt_f32_ubyte0_e32 v1, 0
	s_load_dwordx2 s[0:1], s[0:1], 0x0
	v_mov_b32_e32 v8, s20
	v_fmac_f32_e32 v0, 0x4f800000, v1
	v_rcp_f32_e32 v0, v0
	v_cvt_f32_u32_e32 v1, s22
	s_waitcnt lgkmcnt(0)
	v_mov_b32_e32 v6, s1
	v_mov_b32_e32 v7, s0
	v_mul_f32_e32 v0, 0x5f7ffffc, v0
	v_rcp_iflag_f32_e32 v1, v1
	v_mul_f32_e32 v9, 0x2f800000, v0
	v_trunc_f32_e32 v10, v9
	v_fmac_f32_e32 v0, 0xcf800000, v10
	v_cvt_u32_f32_e32 v9, v0
	v_mul_f32_e32 v0, 0x4f7ffffe, v1
	v_cvt_u32_f32_e32 v10, v10
	v_cvt_u32_f32_e32 v11, v0
	s_mov_b32 s8, 0x3fb8aa3b
	s_mov_b32 s9, 0xc2ce8ed0
	;; [unrolled: 1-line block ×4, first 2 shown]
	v_mov_b32_e32 v12, 0x7f800000
	s_mul_hi_i32 s7, s12, s15
	s_cmp_lg_u64 s[6:7], 0
	s_mul_i32 s2, s12, s15
	s_cbranch_scc0 .LBB42_15
.LBB42_9:
	s_sub_u32 s0, 0, s22
	v_readfirstlane_b32 s3, v9
	v_readfirstlane_b32 s24, v10
	s_subb_u32 s1, 0, 0
	s_mul_hi_u32 s23, s0, s3
	s_mul_i32 s25, s0, s24
	s_mul_i32 s20, s1, s3
	s_add_i32 s23, s23, s25
	s_add_i32 s23, s23, s20
	s_mul_i32 s26, s0, s3
	s_mul_hi_u32 s20, s3, s23
	s_mul_i32 s25, s3, s23
	s_mul_hi_u32 s3, s3, s26
	s_add_u32 s3, s3, s25
	s_addc_u32 s20, 0, s20
	s_mul_hi_u32 s27, s24, s26
	s_mul_i32 s26, s24, s26
	s_add_u32 s3, s3, s26
	s_mul_hi_u32 s25, s24, s23
	s_addc_u32 s3, s20, s27
	s_addc_u32 s20, s25, 0
	s_mul_i32 s23, s24, s23
	s_add_u32 s3, s3, s23
	s_addc_u32 s20, 0, s20
	v_add_co_u32_e32 v0, vcc, s3, v9
	s_cmp_lg_u64 vcc, 0
	s_addc_u32 s3, s24, s20
	v_readfirstlane_b32 s23, v0
	s_mul_i32 s20, s0, s3
	s_mul_hi_u32 s24, s0, s23
	s_add_i32 s20, s24, s20
	s_mul_i32 s1, s1, s23
	s_add_i32 s20, s20, s1
	s_mul_i32 s0, s0, s23
	s_mul_hi_u32 s24, s3, s0
	s_mul_i32 s25, s3, s0
	s_mul_i32 s27, s23, s20
	s_mul_hi_u32 s0, s23, s0
	s_mul_hi_u32 s26, s23, s20
	s_add_u32 s0, s0, s27
	s_addc_u32 s23, 0, s26
	s_add_u32 s0, s0, s25
	s_mul_hi_u32 s1, s3, s20
	s_addc_u32 s0, s23, s24
	s_addc_u32 s1, s1, 0
	s_mul_i32 s20, s3, s20
	s_add_u32 s0, s0, s20
	s_addc_u32 s1, 0, s1
	v_add_co_u32_e32 v0, vcc, s0, v0
	s_cmp_lg_u64 vcc, 0
	s_addc_u32 s3, s3, s1
	s_ashr_i32 s0, s7, 31
	s_add_u32 s24, s2, s0
	s_mov_b32 s1, s0
	s_addc_u32 s25, s7, s0
	s_xor_b64 s[24:25], s[24:25], s[0:1]
	v_readfirstlane_b32 s20, v0
	s_mul_i32 s7, s24, s3
	s_mul_hi_u32 s23, s24, s20
	s_mul_hi_u32 s1, s24, s3
	s_add_u32 s7, s23, s7
	s_addc_u32 s1, 0, s1
	s_mul_hi_u32 s26, s25, s20
	s_mul_i32 s20, s25, s20
	s_add_u32 s7, s7, s20
	s_mul_hi_u32 s23, s25, s3
	s_addc_u32 s1, s1, s26
	s_addc_u32 s7, s23, 0
	s_mul_i32 s3, s25, s3
	s_add_u32 s1, s1, s3
	s_addc_u32 s3, 0, s7
	s_mul_i32 s3, s22, s3
	s_mul_hi_u32 s23, s22, s1
	s_add_i32 s23, s23, s3
	s_mul_i32 s3, s22, s1
	v_mov_b32_e32 v0, s3
	s_add_u32 s7, s1, 1
	s_add_u32 s20, s1, 2
	v_sub_co_u32_e32 v0, vcc, s24, v0
	s_cmp_lg_u64 vcc, 0
	s_subb_u32 s3, s25, s23
	v_subrev_co_u32_e32 v1, vcc, s22, v0
	s_cmp_lg_u64 vcc, 0
	s_subb_u32 s23, s3, 0
	v_cmp_le_u32_e32 vcc, s22, v1
	s_cmp_eq_u32 s23, 0
	v_mov_b32_e32 v13, s7
	v_cndmask_b32_e64 v1, 0, -1, vcc
	s_cselect_b64 vcc, -1, 0
	v_cndmask_b32_e32 v1, -1, v1, vcc
	v_mov_b32_e32 v14, s20
	v_cmp_ne_u32_e32 vcc, 0, v1
	s_cmp_eq_u32 s3, 0
	s_nop 0
	v_cndmask_b32_e32 v1, v13, v14, vcc
	v_cmp_le_u32_e32 vcc, s22, v0
	v_mov_b32_e32 v13, s1
	s_nop 0
	v_cndmask_b32_e64 v0, 0, -1, vcc
	s_cselect_b64 vcc, -1, 0
	v_cndmask_b32_e32 v0, -1, v0, vcc
	v_cmp_ne_u32_e32 vcc, 0, v0
	s_nop 1
	v_cndmask_b32_e32 v0, v13, v1, vcc
	v_xor_b32_e32 v0, s0, v0
	v_subrev_co_u32_e32 v0, vcc, s0, v0
	s_cbranch_execnz .LBB42_11
.LBB42_10:
	s_sub_i32 s0, 0, s22
	v_mul_lo_u32 v0, s0, v11
	v_mul_hi_u32 v0, v11, v0
	v_add_u32_e32 v0, v11, v0
	v_mul_hi_u32 v0, s2, v0
	v_mul_lo_u32 v13, v0, s22
	v_sub_u32_e32 v13, s2, v13
	v_add_u32_e32 v1, 1, v0
	v_subrev_u32_e32 v14, s22, v13
	v_cmp_le_u32_e32 vcc, s22, v13
	s_nop 1
	v_cndmask_b32_e32 v13, v13, v14, vcc
	v_cndmask_b32_e32 v0, v0, v1, vcc
	v_add_u32_e32 v1, 1, v0
	v_cmp_le_u32_e32 vcc, s22, v13
	s_nop 1
	v_cndmask_b32_e32 v0, v0, v1, vcc
.LBB42_11:
	v_cmp_ne_u32_e32 vcc, v8, v0
	s_cbranch_vccz .LBB42_14
; %bb.12:
	s_add_i32 s0, s12, s22
	s_lshl_b32 s0, s0, 4
	v_mul_hi_u32 v1, v0, s16
	s_add_i32 s0, s0, s21
	s_mov_b32 s1, s6
	v_add_u32_e32 v1, v1, v0
	s_lshl_b64 s[0:1], s[0:1], 3
	v_lshrrev_b32_e32 v1, s17, v1
	s_add_u32 s2, s10, s0
	v_mul_lo_u32 v13, v1, s18
	s_addc_u32 s3, s11, s1
	v_cmp_eq_u32_e32 vcc, v13, v0
	v_cmp_gt_u32_e64 s[0:1], s19, v1
	s_or_b64 s[0:1], s[0:1], vcc
	s_and_b64 vcc, exec, s[0:1]
	s_cbranch_vccnz .LBB42_16
; %bb.13:
	s_add_i32 s7, s12, -1
	s_mov_b64 s[0:1], 0
	s_branch .LBB42_17
.LBB42_14:
                                        ; implicit-def: $sgpr0_sgpr1
                                        ; implicit-def: $vgpr14
                                        ; implicit-def: $vgpr1
                                        ; implicit-def: $vgpr13
                                        ; implicit-def: $sgpr7
                                        ; implicit-def: $vgpr0
	s_branch .LBB42_18
.LBB42_15:
                                        ; implicit-def: $vgpr0_vgpr1
	s_branch .LBB42_10
.LBB42_16:
	s_mov_b64 s[0:1], -1
	s_mov_b32 s7, s12
	v_mov_b32_e32 v0, v8
.LBB42_17:
	s_mul_i32 s20, s12, 0x700
	v_add_u32_e32 v14, s20, v4
	v_ashrrev_i32_e32 v15, 31, v14
	v_lshl_add_u64 v[14:15], v[14:15], 2, s[4:5]
	global_load_dword v14, v[14:15], off
	s_load_dwordx2 s[2:3], s[2:3], 0x0
	v_max_f32_e32 v1, v7, v7
	s_waitcnt lgkmcnt(0)
	v_max_f32_e64 v13, s2, s2
	v_max_f32_e32 v1, v1, v13
	v_sub_f32_e32 v13, v7, v1
	v_sub_f32_e32 v15, s2, v1
	v_mul_f32_e32 v16, 0x3fb8aa3b, v13
	v_mul_f32_e32 v17, 0x3fb8aa3b, v15
	v_fma_f32 v18, v13, s8, -v16
	v_rndne_f32_e32 v19, v16
	v_fma_f32 v20, v15, s8, -v17
	v_rndne_f32_e32 v21, v17
	v_fmac_f32_e32 v18, 0x32a5705f, v13
	v_sub_f32_e32 v16, v16, v19
	v_fmac_f32_e32 v20, 0x32a5705f, v15
	v_sub_f32_e32 v17, v17, v21
	v_add_f32_e32 v16, v16, v18
	v_cvt_i32_f32_e32 v19, v19
	v_add_f32_e32 v17, v17, v20
	v_exp_f32_e32 v16, v16
	v_cvt_i32_f32_e32 v21, v21
	v_exp_f32_e32 v17, v17
	v_cmp_ngt_f32_e32 vcc, s9, v13
	v_ldexp_f32 v16, v16, v19
	v_ldexp_f32 v17, v17, v21
	v_cndmask_b32_e32 v16, 0, v16, vcc
	v_cmp_ngt_f32_e32 vcc, s9, v15
	s_nop 1
	v_cndmask_b32_e32 v17, 0, v17, vcc
	v_cmp_nlt_f32_e32 vcc, s13, v13
	s_nop 1
	v_cndmask_b32_e32 v16, v12, v16, vcc
	v_cmp_nlt_f32_e32 vcc, s13, v15
	s_nop 1
	v_cndmask_b32_e32 v17, v12, v17, vcc
	v_cmp_le_f32_e32 vcc, s14, v13
	s_nop 1
	v_cndmask_b32_e32 v16, 0, v16, vcc
	v_cmp_le_f32_e32 vcc, s14, v15
	s_nop 1
	v_cndmask_b32_e32 v15, 0, v17, vcc
	v_mul_f32_e32 v13, s3, v15
	v_fmac_f32_e32 v13, v6, v16
	s_waitcnt vmcnt(0)
	v_mul_f32_e32 v14, v14, v15
	v_fmac_f32_e32 v14, v5, v16
	s_cbranch_execnz .LBB42_19
.LBB42_18:
	s_add_i32 s7, s12, -1
	s_mov_b64 s[0:1], 0
	v_mov_b32_e32 v0, v8
	v_mov_b32_e32 v13, v6
	;; [unrolled: 1-line block ×3, first 2 shown]
	s_waitcnt vmcnt(0)
	v_mov_b32_e32 v14, v5
.LBB42_19:
	s_andn2_b64 vcc, exec, s[0:1]
	s_cbranch_vccz .LBB42_23
; %bb.20:
	v_mov_b32_e32 v8, v0
	s_mov_b32 s12, s7
	v_mov_b32_e32 v6, v13
	v_mov_b32_e32 v7, v1
	s_waitcnt vmcnt(0)
	v_mov_b32_e32 v5, v14
	s_mul_hi_i32 s7, s12, s15
	s_cmp_lg_u64 s[6:7], 0
	s_mul_i32 s2, s12, s15
	s_cbranch_scc1 .LBB42_9
	s_branch .LBB42_15
.LBB42_21:
                                        ; implicit-def: $sgpr20_sgpr21
	s_load_dwordx4 s[16:19], s[0:1], 0x44
	s_branch .LBB42_2
.LBB42_22:
                                        ; implicit-def: $vgpr2_vgpr3
	s_branch .LBB42_5
.LBB42_23:
	v_div_scale_f32 v0, s[0:1], v13, v13, v14
	v_rcp_f32_e32 v1, v0
	v_div_scale_f32 v4, vcc, v14, v13, v14
	s_waitcnt vmcnt(0)
	v_fma_f32 v5, -v0, v1, 1.0
	v_fmac_f32_e32 v1, v5, v1
	v_mul_f32_e32 v5, v4, v1
	v_fma_f32 v6, -v0, v5, v4
	v_fmac_f32_e32 v5, v6, v1
	v_fma_f32 v0, -v0, v5, v4
	v_div_fmas_f32 v0, v0, v1, v5
	v_div_fixup_f32 v0, v0, v13, v14
	global_store_dword v[2:3], v0, off
.LBB42_24:
	s_endpgm
	.section	.rodata,"a",@progbits
	.p2align	6, 0x0
	.amdhsa_kernel _ZL33flash_attn_stream_k_fixup_generalILi112ELi8ELi2EEvPfPK15HIP_vector_typeIfLj2EEiiiiS1_IjLj3EES5_S5_S5_
		.amdhsa_group_segment_fixed_size 0
		.amdhsa_private_segment_fixed_size 0
		.amdhsa_kernarg_size 336
		.amdhsa_user_sgpr_count 2
		.amdhsa_user_sgpr_dispatch_ptr 0
		.amdhsa_user_sgpr_queue_ptr 0
		.amdhsa_user_sgpr_kernarg_segment_ptr 1
		.amdhsa_user_sgpr_dispatch_id 0
		.amdhsa_user_sgpr_kernarg_preload_length 0
		.amdhsa_user_sgpr_kernarg_preload_offset 0
		.amdhsa_user_sgpr_private_segment_size 0
		.amdhsa_uses_dynamic_stack 0
		.amdhsa_enable_private_segment 0
		.amdhsa_system_sgpr_workgroup_id_x 1
		.amdhsa_system_sgpr_workgroup_id_y 1
		.amdhsa_system_sgpr_workgroup_id_z 1
		.amdhsa_system_sgpr_workgroup_info 0
		.amdhsa_system_vgpr_workitem_id 0
		.amdhsa_next_free_vgpr 22
		.amdhsa_next_free_sgpr 32
		.amdhsa_accum_offset 24
		.amdhsa_reserve_vcc 1
		.amdhsa_float_round_mode_32 0
		.amdhsa_float_round_mode_16_64 0
		.amdhsa_float_denorm_mode_32 3
		.amdhsa_float_denorm_mode_16_64 3
		.amdhsa_dx10_clamp 1
		.amdhsa_ieee_mode 1
		.amdhsa_fp16_overflow 0
		.amdhsa_tg_split 0
		.amdhsa_exception_fp_ieee_invalid_op 0
		.amdhsa_exception_fp_denorm_src 0
		.amdhsa_exception_fp_ieee_div_zero 0
		.amdhsa_exception_fp_ieee_overflow 0
		.amdhsa_exception_fp_ieee_underflow 0
		.amdhsa_exception_fp_ieee_inexact 0
		.amdhsa_exception_int_div_zero 0
	.end_amdhsa_kernel
	.section	.text._ZL33flash_attn_stream_k_fixup_generalILi112ELi8ELi2EEvPfPK15HIP_vector_typeIfLj2EEiiiiS1_IjLj3EES5_S5_S5_,"axG",@progbits,_ZL33flash_attn_stream_k_fixup_generalILi112ELi8ELi2EEvPfPK15HIP_vector_typeIfLj2EEiiiiS1_IjLj3EES5_S5_S5_,comdat
.Lfunc_end42:
	.size	_ZL33flash_attn_stream_k_fixup_generalILi112ELi8ELi2EEvPfPK15HIP_vector_typeIfLj2EEiiiiS1_IjLj3EES5_S5_S5_, .Lfunc_end42-_ZL33flash_attn_stream_k_fixup_generalILi112ELi8ELi2EEvPfPK15HIP_vector_typeIfLj2EEiiiiS1_IjLj3EES5_S5_S5_
                                        ; -- End function
	.section	.AMDGPU.csdata,"",@progbits
; Kernel info:
; codeLenInByte = 2868
; NumSgprs: 38
; NumVgprs: 22
; NumAgprs: 0
; TotalNumVgprs: 22
; ScratchSize: 0
; MemoryBound: 0
; FloatMode: 240
; IeeeMode: 1
; LDSByteSize: 0 bytes/workgroup (compile time only)
; SGPRBlocks: 4
; VGPRBlocks: 2
; NumSGPRsForWavesPerEU: 38
; NumVGPRsForWavesPerEU: 22
; AccumOffset: 24
; Occupancy: 8
; WaveLimiterHint : 0
; COMPUTE_PGM_RSRC2:SCRATCH_EN: 0
; COMPUTE_PGM_RSRC2:USER_SGPR: 2
; COMPUTE_PGM_RSRC2:TRAP_HANDLER: 0
; COMPUTE_PGM_RSRC2:TGID_X_EN: 1
; COMPUTE_PGM_RSRC2:TGID_Y_EN: 1
; COMPUTE_PGM_RSRC2:TGID_Z_EN: 1
; COMPUTE_PGM_RSRC2:TIDIG_COMP_CNT: 0
; COMPUTE_PGM_RSRC3_GFX90A:ACCUM_OFFSET: 5
; COMPUTE_PGM_RSRC3_GFX90A:TG_SPLIT: 0
	.section	.text._ZL15flash_attn_tileILi112ELi112ELi4ELi2ELb0EEvPKcS1_S1_S1_S1_PKiPfP15HIP_vector_typeIfLj2EEffffjfiS5_IjLj3EEiiiiiiiiiiiliiliiiiil,"axG",@progbits,_ZL15flash_attn_tileILi112ELi112ELi4ELi2ELb0EEvPKcS1_S1_S1_S1_PKiPfP15HIP_vector_typeIfLj2EEffffjfiS5_IjLj3EEiiiiiiiiiiiliiliiiiil,comdat
	.globl	_ZL15flash_attn_tileILi112ELi112ELi4ELi2ELb0EEvPKcS1_S1_S1_S1_PKiPfP15HIP_vector_typeIfLj2EEffffjfiS5_IjLj3EEiiiiiiiiiiiliiliiiiil ; -- Begin function _ZL15flash_attn_tileILi112ELi112ELi4ELi2ELb0EEvPKcS1_S1_S1_S1_PKiPfP15HIP_vector_typeIfLj2EEffffjfiS5_IjLj3EEiiiiiiiiiiiliiliiiiil
	.p2align	8
	.type	_ZL15flash_attn_tileILi112ELi112ELi4ELi2ELb0EEvPKcS1_S1_S1_S1_PKiPfP15HIP_vector_typeIfLj2EEffffjfiS5_IjLj3EEiiiiiiiiiiiliiliiiiil,@function
_ZL15flash_attn_tileILi112ELi112ELi4ELi2ELb0EEvPKcS1_S1_S1_S1_PKiPfP15HIP_vector_typeIfLj2EEffffjfiS5_IjLj3EEiiiiiiiiiiiliiliiiiil: ; @_ZL15flash_attn_tileILi112ELi112ELi4ELi2ELb0EEvPKcS1_S1_S1_S1_PKiPfP15HIP_vector_typeIfLj2EEffffjfiS5_IjLj3EEiiiiiiiiiiiliiliiiiil
; %bb.0:
	s_load_dwordx4 s[28:31], s[0:1], 0x5c
	s_load_dwordx2 s[34:35], s[0:1], 0x80
	s_load_dwordx16 s[12:27], s[0:1], 0x0
	s_mov_b64 s[36:37], 0
	s_waitcnt lgkmcnt(0)
	s_lshr_b32 s5, s31, 31
	s_add_i32 s5, s31, s5
	s_ashr_i32 s5, s5, 1
	v_cvt_f32_u32_e32 v1, s5
	s_sub_i32 s6, 0, s5
	v_rcp_iflag_f32_e32 v1, v1
	s_nop 0
	v_mul_f32_e32 v1, 0x4f7ffffe, v1
	v_cvt_u32_f32_e32 v1, v1
	s_nop 0
	v_readfirstlane_b32 s7, v1
	s_mul_i32 s6, s6, s7
	s_mul_hi_u32 s6, s7, s6
	s_add_i32 s7, s7, s6
	s_mul_hi_u32 s6, s4, s7
	s_mul_i32 s7, s6, s5
	s_sub_i32 s7, s4, s7
	s_add_i32 s8, s6, 1
	s_sub_i32 s9, s7, s5
	s_cmp_ge_u32 s7, s5
	s_cselect_b32 s6, s8, s6
	s_cselect_b32 s7, s9, s7
	s_add_i32 s8, s6, 1
	s_cmp_ge_u32 s7, s5
	s_cselect_b32 s33, s8, s6
	s_abs_i32 s5, s35
	v_cvt_f32_u32_e32 v1, s5
	s_sub_i32 s8, 0, s5
	s_abs_i32 s7, s31
	s_lshl_b32 s6, s4, 1
	v_rcp_iflag_f32_e32 v1, v1
	s_xor_b32 s4, s31, s35
	s_ashr_i32 s4, s4, 31
	v_mul_f32_e32 v1, 0x4f7ffffe, v1
	v_cvt_u32_f32_e32 v1, v1
	s_nop 0
	v_readfirstlane_b32 s9, v1
	s_mul_i32 s8, s8, s9
	s_mul_hi_u32 s8, s9, s8
	s_add_i32 s9, s9, s8
	s_mul_hi_u32 s8, s7, s9
	s_mul_i32 s9, s8, s5
	s_sub_i32 s7, s7, s9
	s_add_i32 s10, s8, 1
	s_sub_i32 s9, s7, s5
	s_cmp_ge_u32 s7, s5
	s_cselect_b32 s8, s10, s8
	s_cselect_b32 s7, s9, s7
	s_add_i32 s9, s8, 1
	s_cmp_ge_u32 s7, s5
	s_cselect_b32 s5, s9, s8
	s_xor_b32 s5, s5, s4
	s_sub_i32 s9, s5, s4
	s_abs_i32 s8, s9
	v_cvt_f32_u32_e32 v1, s8
	s_load_dwordx2 s[4:5], s[0:1], 0xb8
	s_mul_i32 s7, s33, s31
	s_cmp_eq_u64 s[18:19], 0
	v_rcp_iflag_f32_e32 v1, v1
	s_nop 0
	v_mul_f32_e32 v1, 0x4f7ffffe, v1
	v_cvt_u32_f32_e32 v1, v1
	s_nop 0
	v_readfirstlane_b32 s10, v1
	s_cbranch_scc1 .LBB43_2
; %bb.1:
	s_waitcnt lgkmcnt(0)
	s_abs_i32 s4, s4
	v_cvt_f32_u32_e32 v1, s4
	s_sub_i32 s38, 0, s4
	s_abs_i32 s35, s33
	s_ashr_i32 s11, s33, 31
	v_rcp_iflag_f32_e32 v1, v1
	s_load_dwordx2 s[36:37], s[0:1], 0xc8
	v_mul_f32_e32 v1, 0x4f7ffffe, v1
	v_cvt_u32_f32_e32 v1, v1
	s_nop 0
	v_readfirstlane_b32 s39, v1
	s_mul_i32 s38, s38, s39
	s_mul_hi_u32 s38, s39, s38
	s_add_i32 s39, s39, s38
	s_mul_hi_u32 s38, s35, s39
	s_mul_i32 s38, s38, s4
	s_sub_i32 s35, s35, s38
	s_sub_i32 s38, s35, s4
	s_cmp_ge_u32 s35, s4
	s_cselect_b32 s35, s38, s35
	s_sub_i32 s38, s35, s4
	s_cmp_ge_u32 s35, s4
	s_cselect_b32 s4, s38, s35
	s_xor_b32 s4, s4, s11
	s_sub_i32 s4, s4, s11
	s_ashr_i32 s11, s4, 31
	s_waitcnt lgkmcnt(0)
	s_mul_i32 s35, s4, s37
	s_mul_hi_u32 s37, s4, s36
	s_add_i32 s35, s37, s35
	s_mul_i32 s11, s11, s36
	s_add_i32 s35, s35, s11
	s_mul_i32 s4, s4, s36
	s_add_u32 s36, s18, s4
	s_addc_u32 s37, s19, s35
.LBB43_2:
	v_bfe_u32 v1, v0, 10, 10
	s_waitcnt lgkmcnt(0)
	s_lshl_b32 s4, s2, 2
	v_lshrrev_b32_e32 v2, 1, v1
	v_and_b32_e32 v40, 0x3ff, v0
	v_add_u32_e32 v45, s4, v2
	s_sub_i32 s35, s6, s7
	v_and_b32_e32 v41, 1, v1
	v_cmp_gt_u32_e64 s[18:19], 28, v40
	v_mul_hi_u32 v0, s28, v45
	s_and_saveexec_b64 s[6:7], s[18:19]
	s_cbranch_execz .LBB43_4
; %bb.3:
	s_load_dwordx4 s[40:43], s[0:1], 0x70
	v_add_u32_e32 v4, v45, v0
	v_lshrrev_b32_e32 v4, s29, v4
	v_mul_lo_u32 v4, v4, s30
	v_sub_u32_e32 v7, v45, v4
	s_waitcnt lgkmcnt(0)
	s_mul_i32 s4, s33, s42
	s_ashr_i32 s28, s4, 31
	s_mul_i32 s11, s35, s41
	s_add_u32 s4, s12, s4
	s_addc_u32 s13, s13, s28
	s_ashr_i32 s28, s11, 31
	s_add_u32 s12, s4, s11
	v_mov_b32_e32 v2, s41
	s_addc_u32 s13, s13, s28
	s_ashr_i32 s4, s41, 31
	v_alignbit_b32 v2, s4, v2, 2
	s_lshr_b32 s4, s4, 2
	v_mul_lo_u32 v3, s4, v41
	s_ashr_i32 s4, s40, 31
	v_mov_b32_e32 v4, s40
	v_alignbit_b32 v4, s4, v4, 2
	v_mad_u64_u32 v[4:5], s[38:39], v4, v7, 0
	v_mov_b32_e32 v6, v5
	s_lshr_b32 s4, s4, 2
	v_mul_lo_u32 v2, v2, v41
	v_mad_u64_u32 v[6:7], s[38:39], s4, v7, v[6:7]
	v_mov_b32_e32 v5, v6
	v_lshl_add_u64 v[2:3], v[2:3], 2, s[12:13]
	v_lshl_add_u64 v[2:3], v[4:5], 2, v[2:3]
	v_lshlrev_b32_e32 v4, 4, v40
	v_mov_b32_e32 v5, 0
	v_lshl_add_u64 v[2:3], v[2:3], 0, v[4:5]
	global_load_dwordx4 v[2:5], v[2:3], off
	s_load_dword s4, s[0:1], 0x40
	v_mul_u32_u24_e32 v6, 56, v1
	s_waitcnt vmcnt(0) lgkmcnt(0)
	v_pk_mul_f32 v[2:3], v[2:3], s[4:5] op_sel_hi:[1,0]
	v_pk_mul_f32 v[4:5], v[4:5], s[4:5] op_sel_hi:[1,0]
	v_cvt_f16_f32_e32 v7, v3
	v_cvt_f16_f32_e32 v3, v5
	;; [unrolled: 1-line block ×4, first 2 shown]
	v_lshlrev_b32_e32 v5, 1, v40
	v_add_lshl_u32 v5, v6, v5, 2
	v_pack_b32_f16 v3, v4, v3
	v_pack_b32_f16 v2, v2, v7
	ds_write_b64 v5, v[2:3] offset:4160
.LBB43_4:
	s_or_b64 exec, exec, s[6:7]
	s_cmp_eq_u64 s[22:23], 0
	s_waitcnt lgkmcnt(0)
	s_barrier
	s_cbranch_scc1 .LBB43_6
; %bb.5:
	s_load_dword s4, s[0:1], 0xd0
	s_mov_b32 s7, 0
	s_waitcnt lgkmcnt(0)
	s_mul_i32 s4, s4, s33
	s_add_i32 s6, s4, s2
	s_lshl_b64 s[6:7], s[6:7], 2
	s_add_u32 s6, s22, s6
	s_addc_u32 s7, s23, s7
	s_load_dword s34, s[6:7], 0x0
.LBB43_6:
	s_lshl_b32 s2, s3, 5
	s_waitcnt lgkmcnt(0)
	s_cmp_lt_i32 s2, s34
	v_mbcnt_lo_u32_b32 v2, -1, 0
	s_cbranch_scc1 .LBB43_8
; %bb.7:
	v_mbcnt_hi_u32_b32 v49, -1, v2
	v_and_b32_e32 v3, 0x60, v49
	s_mov_b32 s4, 0
	v_add_u32_e32 v82, 32, v3
	v_xor_b32_e32 v83, 16, v49
	v_xor_b32_e32 v84, 8, v49
	;; [unrolled: 1-line block ×5, first 2 shown]
	s_mov_b64 s[6:7], 0
	s_mov_b32 s11, 0xfeffffff
	s_branch .LBB43_9
.LBB43_8:
	s_mov_b64 s[6:7], -1
                                        ; implicit-def: $sgpr11
                                        ; implicit-def: $sgpr4
                                        ; implicit-def: $vgpr49
                                        ; implicit-def: $vgpr82
                                        ; implicit-def: $vgpr83
                                        ; implicit-def: $vgpr84
                                        ; implicit-def: $vgpr85
                                        ; implicit-def: $vgpr86
                                        ; implicit-def: $vgpr87
.LBB43_9:
	s_andn2_b64 vcc, exec, s[6:7]
	v_mov_b32_e32 v64, s11
	v_mov_b32_e32 v88, s4
	;; [unrolled: 1-line block ×4, first 2 shown]
	s_cbranch_vccnz .LBB43_37
; %bb.10:
	s_load_dwordx2 s[6:7], s[0:1], 0x8c
	s_load_dwordx4 s[44:47], s[0:1], 0x98
	s_sub_i32 s4, 0, s8
	s_mul_i32 s4, s4, s10
	s_ashr_i32 s22, s5, 1
	s_waitcnt lgkmcnt(0)
	s_ashr_i32 s41, s6, 2
	s_ashr_i32 s5, s33, 31
	s_mul_i32 s6, s33, s45
	s_mul_hi_u32 s23, s33, s44
	s_mul_hi_u32 s4, s10, s4
	s_add_i32 s6, s23, s6
	s_mul_i32 s23, s5, s44
	s_abs_i32 s12, s35
	s_add_i32 s10, s10, s4
	s_ashr_i32 s13, s35, 31
	s_ashr_i32 s9, s9, 31
	;; [unrolled: 1-line block ×3, first 2 shown]
	s_add_i32 s6, s6, s23
	s_mul_i32 s23, s33, s44
	s_mul_hi_u32 s4, s12, s10
	s_add_u32 s14, s14, s23
	s_addc_u32 s6, s15, s6
	s_xor_b32 s9, s13, s9
	s_mul_i32 s13, s4, s8
	s_sub_i32 s12, s12, s13
	s_add_i32 s13, s4, 1
	s_sub_i32 s15, s12, s8
	s_cmp_ge_u32 s12, s8
	s_cselect_b32 s4, s13, s4
	s_cselect_b32 s12, s15, s12
	s_add_i32 s13, s4, 1
	s_cmp_ge_u32 s12, s8
	s_cselect_b32 s4, s13, s4
	s_load_dwordx2 s[10:11], s[0:1], 0xa8
	s_xor_b32 s4, s4, s9
	s_sub_i32 s4, s4, s9
	s_mul_i32 s7, s4, s7
	s_ashr_i32 s8, s7, 31
	v_add_u32_e32 v0, v45, v0
	s_add_u32 s42, s14, s7
	v_lshrrev_b32_e32 v0, s29, v0
	s_addc_u32 s43, s6, s8
	s_waitcnt lgkmcnt(0)
	s_mul_i32 s6, s33, s11
	s_mul_hi_u32 s7, s33, s10
	v_mul_lo_u32 v0, v0, s30
	s_add_i32 s6, s7, s6
	s_mul_i32 s5, s5, s10
	v_lshl_add_u32 v3, v1, 5, v40
	v_sub_u32_e32 v0, v45, v0
	s_add_i32 s6, s6, s5
	s_mul_i32 s5, s33, s10
	v_cmp_gt_u32_e32 vcc, 32, v3
	v_lshrrev_b32_e32 v4, 1, v40
	v_mul_lo_u32 v42, s41, v3
	v_lshlrev_b32_e32 v3, 2, v40
	v_mad_u64_u32 v[54:55], s[8:9], v0, s22, v[40:41]
	v_mov_b32_e32 v0, 0x1740
	s_add_u32 s5, s16, s5
	s_mul_i32 s4, s4, s47
	v_lshl_add_u32 v4, v1, 4, v4
	v_lshrrev_b32_e32 v5, 2, v40
	s_movk_i32 s14, 0xe0
	v_mov_b32_e32 v6, 0x1040
	v_and_b32_e32 v44, 4, v3
	v_lshl_add_u32 v74, v1, 6, v0
	v_lshrrev_b32_e32 v0, 3, v40
	s_addc_u32 s6, s17, s6
	s_ashr_i32 s7, s4, 31
	v_lshl_add_u32 v5, v1, 3, v5
	v_mad_u32_u24 v65, v1, s14, v6
	v_lshlrev_b32_e32 v7, 2, v44
	v_lshl_add_u32 v0, v1, 2, v0
	v_mul_u32_u24_e32 v1, 0xe0, v4
	s_add_u32 s44, s5, s4
	v_lshlrev_b32_e32 v6, 7, v4
	v_and_b32_e32 v48, 12, v3
	v_or_b32_e32 v1, v1, v7
	s_addc_u32 s45, s6, s7
	v_or3_b32 v72, v6, v7, 64
	v_lshlrev_b32_e32 v6, 2, v48
	v_add_u32_e32 v77, 0xc0, v1
	v_mul_u32_u24_e32 v1, 0xe0, v5
	s_movk_i32 s15, 0x80
	v_and_b32_e32 v60, 28, v3
	v_lshlrev_b32_e32 v70, 7, v40
	v_mul_lo_u32 v46, s41, v4
	v_mul_lo_u32 v52, s41, v5
	;; [unrolled: 1-line block ×3, first 2 shown]
	v_add3_u32 v78, v1, v6, s15
	v_mul_lo_u32 v58, s40, v5
	v_lshlrev_b32_e32 v1, 2, v60
	v_mul_lo_u32 v62, s40, v0
	s_add_u32 s22, s0, 0xd0
	v_cmp_gt_u32_e64 s[4:5], 32, v4
	v_cmp_gt_u32_e64 s[6:7], 32, v5
	v_or_b32_e32 v71, 0x60, v70
	v_ashrrev_i32_e32 v43, 31, v42
	v_ashrrev_i32_e32 v47, 31, v46
	v_mov_b32_e32 v51, 0
	v_lshl_or_b32 v73, v5, 7, v6
	v_ashrrev_i32_e32 v53, 31, v52
	v_lshl_add_u32 v75, v40, 1, v74
	v_cmp_gt_u32_e64 s[8:9], 16, v4
	v_cmp_gt_u32_e64 s[10:11], 16, v5
	;; [unrolled: 1-line block ×3, first 2 shown]
	v_lshlrev_b32_e32 v76, 3, v40
	v_ashrrev_i32_e32 v57, 31, v56
	v_ashrrev_i32_e32 v59, 31, v58
	v_mad_u32_u24 v79, v0, s14, v1
	v_ashrrev_i32_e32 v63, 31, v62
	s_addc_u32 s23, s1, 0
	v_mov_b32_e32 v6, 0xfeffffff
	v_mbcnt_hi_u32_b32 v49, -1, v2
	s_mov_b32 s46, 0x3fb8aa3b
	s_mov_b32 s47, 0xc2ce8ed0
	;; [unrolled: 1-line block ×3, first 2 shown]
	v_mov_b32_e32 v80, 0x7f800000
	v_mov_b32_e32 v61, 0
	v_mov_b32_e32 v55, 0
	v_mov_b32_e32 v81, 0
.LBB43_11:                              ; =>This Inner Loop Header: Depth=1
	s_mul_hi_i32 s15, s2, s41
	s_mul_i32 s14, s2, s41
	s_lshl_b64 s[14:15], s[14:15], 2
	s_add_u32 s14, s42, s14
	s_addc_u32 s15, s43, s15
	v_lshl_add_u64 v[2:3], v[42:43], 2, s[14:15]
	s_and_saveexec_b64 s[16:17], vcc
	s_cbranch_execz .LBB43_13
; %bb.12:                               ;   in Loop: Header=BB43_11 Depth=1
	global_load_dwordx4 v[8:11], v[2:3], off offset:96
	s_waitcnt vmcnt(0)
	ds_write_b128 v71, v[8:11]
.LBB43_13:                              ;   in Loop: Header=BB43_11 Depth=1
	s_or_b64 exec, exec, s[16:17]
	v_lshl_add_u64 v[0:1], v[46:47], 2, s[14:15]
	v_lshlrev_b32_e32 v50, 2, v44
	s_and_saveexec_b64 s[16:17], s[4:5]
	s_cbranch_execz .LBB43_15
; %bb.14:                               ;   in Loop: Header=BB43_11 Depth=1
	v_lshl_add_u64 v[4:5], v[0:1], 0, v[50:51]
	global_load_dwordx4 v[8:11], v[4:5], off offset:64
	s_waitcnt vmcnt(0)
	ds_write_b128 v72, v[8:11]
.LBB43_15:                              ;   in Loop: Header=BB43_11 Depth=1
	s_or_b64 exec, exec, s[16:17]
	v_lshl_add_u64 v[4:5], v[52:53], 2, s[14:15]
	v_lshlrev_b32_e32 v66, 2, v48
	s_and_saveexec_b64 s[14:15], s[6:7]
	s_cbranch_execz .LBB43_17
; %bb.16:                               ;   in Loop: Header=BB43_11 Depth=1
	v_mov_b32_e32 v67, v51
	v_lshl_add_u64 v[8:9], v[4:5], 0, v[66:67]
	global_load_dwordx4 v[8:11], v[8:9], off
	s_waitcnt vmcnt(0)
	ds_write_b128 v73, v[8:11]
.LBB43_17:                              ;   in Loop: Header=BB43_11 Depth=1
	s_or_b64 exec, exec, s[14:15]
	s_waitcnt lgkmcnt(0)
	s_barrier
	ds_read_b128 v[8:11], v70
	ds_read_b128 v[12:15], v65
	v_mov_b32_e32 v7, 0
	s_waitcnt lgkmcnt(0)
	;;#ASMSTART
	v_dot2_f32_f16 v7, v8, v12, v7
	;;#ASMEND
	s_nop 0
	;;#ASMSTART
	v_dot2_f32_f16 v7, v9, v13, v7
	;;#ASMEND
	s_nop 0
	;;#ASMSTART
	v_dot2_f32_f16 v7, v10, v14, v7
	;;#ASMEND
	s_nop 0
	;;#ASMSTART
	v_dot2_f32_f16 v7, v11, v15, v7
	;;#ASMEND
	ds_read_b128 v[8:11], v70 offset:16
	ds_read_b128 v[12:15], v65 offset:16
	s_waitcnt lgkmcnt(0)
	;;#ASMSTART
	v_dot2_f32_f16 v7, v8, v12, v7
	;;#ASMEND
	s_nop 0
	;;#ASMSTART
	v_dot2_f32_f16 v7, v9, v13, v7
	;;#ASMEND
	s_nop 0
	;;#ASMSTART
	v_dot2_f32_f16 v7, v10, v14, v7
	;;#ASMEND
	s_nop 0
	;;#ASMSTART
	v_dot2_f32_f16 v7, v11, v15, v7
	;;#ASMEND
	ds_read_b128 v[8:11], v70 offset:32
	ds_read_b128 v[12:15], v65 offset:32
	;; [unrolled: 18-line block ×6, first 2 shown]
	s_waitcnt lgkmcnt(0)
	;;#ASMSTART
	v_dot2_f32_f16 v7, v8, v12, v7
	;;#ASMEND
	s_nop 0
	;;#ASMSTART
	v_dot2_f32_f16 v7, v9, v13, v7
	;;#ASMEND
	s_nop 0
	;; [unrolled: 4-line block ×3, first 2 shown]
	;;#ASMSTART
	v_dot2_f32_f16 v7, v11, v15, v7
	;;#ASMEND
	s_barrier
	s_and_saveexec_b64 s[14:15], vcc
	s_cbranch_execnz .LBB43_31
; %bb.18:                               ;   in Loop: Header=BB43_11 Depth=1
	s_or_b64 exec, exec, s[14:15]
	s_and_saveexec_b64 s[14:15], s[4:5]
	s_cbranch_execnz .LBB43_32
.LBB43_19:                              ;   in Loop: Header=BB43_11 Depth=1
	s_or_b64 exec, exec, s[14:15]
	s_and_saveexec_b64 s[14:15], s[6:7]
	s_cbranch_execz .LBB43_21
.LBB43_20:                              ;   in Loop: Header=BB43_11 Depth=1
	v_mov_b32_e32 v67, v51
	v_lshl_add_u64 v[0:1], v[4:5], 0, v[66:67]
	global_load_dwordx4 v[0:3], v[0:1], off offset:112
	s_waitcnt vmcnt(0)
	ds_write_b128 v73, v[0:3]
.LBB43_21:                              ;   in Loop: Header=BB43_11 Depth=1
	s_or_b64 exec, exec, s[14:15]
	s_waitcnt lgkmcnt(0)
	s_barrier
	ds_read_b128 v[0:3], v70
	ds_read_b128 v[8:11], v65 offset:112
	v_add_u32_e32 v4, s2, v54
	s_waitcnt lgkmcnt(0)
	;;#ASMSTART
	v_dot2_f32_f16 v7, v0, v8, v7
	;;#ASMEND
	s_nop 0
	;;#ASMSTART
	v_dot2_f32_f16 v7, v1, v9, v7
	;;#ASMEND
	v_ashrrev_i32_e32 v5, 31, v4
	;;#ASMSTART
	v_dot2_f32_f16 v7, v2, v10, v7
	;;#ASMEND
	v_lshl_add_u64 v[4:5], v[4:5], 1, s[36:37]
	;;#ASMSTART
	v_dot2_f32_f16 v7, v3, v11, v7
	;;#ASMEND
	ds_read_b128 v[0:3], v70 offset:16
	ds_read_b128 v[8:11], v65 offset:128
	s_waitcnt lgkmcnt(0)
	;;#ASMSTART
	v_dot2_f32_f16 v7, v0, v8, v7
	;;#ASMEND
	s_nop 0
	;;#ASMSTART
	v_dot2_f32_f16 v7, v1, v9, v7
	;;#ASMEND
	v_xor_b32_e32 v83, 16, v49
	;;#ASMSTART
	v_dot2_f32_f16 v7, v2, v10, v7
	;;#ASMEND
	v_xor_b32_e32 v84, 8, v49
	;;#ASMSTART
	v_dot2_f32_f16 v7, v3, v11, v7
	;;#ASMEND
	ds_read_b128 v[0:3], v70 offset:32
	ds_read_b128 v[8:11], v65 offset:144
	s_waitcnt lgkmcnt(0)
	;;#ASMSTART
	v_dot2_f32_f16 v7, v0, v8, v7
	;;#ASMEND
	s_nop 0
	;;#ASMSTART
	v_dot2_f32_f16 v7, v1, v9, v7
	;;#ASMEND
	v_xor_b32_e32 v85, 4, v49
	;;#ASMSTART
	v_dot2_f32_f16 v7, v2, v10, v7
	;;#ASMEND
	v_xor_b32_e32 v86, 2, v49
	;;#ASMSTART
	v_dot2_f32_f16 v7, v3, v11, v7
	;;#ASMEND
	ds_read_b128 v[0:3], v70 offset:48
	ds_read_b128 v[8:11], v65 offset:160
	s_waitcnt lgkmcnt(0)
	;;#ASMSTART
	v_dot2_f32_f16 v7, v0, v8, v7
	;;#ASMEND
	s_nop 0
	;;#ASMSTART
	v_dot2_f32_f16 v7, v1, v9, v7
	;;#ASMEND
	v_xor_b32_e32 v87, 1, v49
	;;#ASMSTART
	v_dot2_f32_f16 v7, v2, v10, v7
	;;#ASMEND
	s_nop 0
	;;#ASMSTART
	v_dot2_f32_f16 v7, v3, v11, v7
	;;#ASMEND
	ds_read_b128 v[0:3], v70 offset:64
	ds_read_b128 v[8:11], v65 offset:176
	s_waitcnt lgkmcnt(0)
	;;#ASMSTART
	v_dot2_f32_f16 v7, v0, v8, v7
	;;#ASMEND
	s_nop 0
	;;#ASMSTART
	v_dot2_f32_f16 v7, v1, v9, v7
	;;#ASMEND
	s_nop 0
	;; [unrolled: 4-line block ×3, first 2 shown]
	;;#ASMSTART
	v_dot2_f32_f16 v7, v3, v11, v7
	;;#ASMEND
	ds_read_b128 v[0:3], v70 offset:80
	ds_read_b128 v[8:11], v65 offset:192
	s_waitcnt lgkmcnt(0)
	;;#ASMSTART
	v_dot2_f32_f16 v7, v0, v8, v7
	;;#ASMEND
	s_nop 0
	;;#ASMSTART
	v_dot2_f32_f16 v7, v1, v9, v7
	;;#ASMEND
	s_nop 0
	;; [unrolled: 4-line block ×3, first 2 shown]
	;;#ASMSTART
	v_dot2_f32_f16 v7, v3, v11, v7
	;;#ASMEND
	ds_read_b128 v[0:3], v70 offset:96
	ds_read_b128 v[8:11], v65 offset:208
	s_waitcnt lgkmcnt(0)
	;;#ASMSTART
	v_dot2_f32_f16 v7, v0, v8, v7
	;;#ASMEND
	s_nop 0
	;;#ASMSTART
	v_dot2_f32_f16 v7, v1, v9, v7
	;;#ASMEND
	v_max_f32_e32 v1, v6, v6
	;;#ASMSTART
	v_dot2_f32_f16 v7, v2, v10, v7
	;;#ASMEND
	v_and_b32_e32 v2, 0x60, v49
	;;#ASMSTART
	v_dot2_f32_f16 v7, v3, v11, v7
	;;#ASMEND
	flat_load_ushort v0, v[4:5]
	v_add_u32_e32 v82, 32, v2
	v_cmp_lt_i32_e64 s[14:15], v83, v82
	s_waitcnt lgkmcnt(0)
	s_barrier
	v_cndmask_b32_e64 v2, v49, v83, s[14:15]
	v_lshlrev_b32_e32 v2, 2, v2
	v_cmp_lt_i32_e64 s[14:15], v84, v82
	s_waitcnt vmcnt(0)
	v_cvt_f32_f16_e32 v0, v0
	v_add_f32_e32 v0, v7, v0
	v_add_f32_e32 v3, 0x40051340, v0
	v_max_f32_e32 v1, v1, v3
	ds_bpermute_b32 v2, v2, v1
	v_cndmask_b32_e64 v3, v49, v84, s[14:15]
	v_lshlrev_b32_e32 v3, 2, v3
	v_cmp_lt_i32_e64 s[14:15], v85, v82
	s_waitcnt lgkmcnt(0)
	v_max_f32_e32 v2, v2, v2
	v_max_f32_e32 v1, v1, v2
	ds_bpermute_b32 v2, v3, v1
	v_cndmask_b32_e64 v3, v49, v85, s[14:15]
	v_lshlrev_b32_e32 v3, 2, v3
	v_cmp_lt_i32_e64 s[14:15], v86, v82
	s_waitcnt lgkmcnt(0)
	v_max_f32_e32 v2, v2, v2
	;; [unrolled: 7-line block ×3, first 2 shown]
	v_max_f32_e32 v1, v1, v2
	ds_bpermute_b32 v2, v3, v1
	v_cndmask_b32_e64 v3, v49, v87, s[14:15]
	v_lshlrev_b32_e32 v3, 2, v3
	s_mul_hi_i32 s15, s2, s40
	s_mul_i32 s14, s2, s40
	s_waitcnt lgkmcnt(0)
	v_max_f32_e32 v2, v2, v2
	v_max_f32_e32 v1, v1, v2
	ds_bpermute_b32 v2, v3, v1
	s_lshl_b64 s[16:17], s[14:15], 2
	s_add_u32 s16, s44, s16
	s_addc_u32 s17, s45, s17
	s_waitcnt lgkmcnt(0)
	v_max_f32_e32 v2, v2, v2
	v_max_f32_e32 v64, v1, v2
	v_sub_f32_e32 v0, v0, v64
	v_mul_f32_e32 v1, 0x3fb8aa3b, v0
	v_fma_f32 v2, v0, s46, -v1
	v_rndne_f32_e32 v3, v1
	v_fmac_f32_e32 v2, 0x32a5705f, v0
	v_sub_f32_e32 v1, v1, v3
	v_add_f32_e32 v1, v1, v2
	v_cvt_i32_f32_e32 v3, v3
	v_exp_f32_e32 v1, v1
	v_cmp_ngt_f32_e64 s[14:15], s47, v0
	v_ldexp_f32 v1, v1, v3
	s_nop 0
	v_cndmask_b32_e64 v1, 0, v1, s[14:15]
	v_cmp_nlt_f32_e64 s[14:15], s48, v0
	s_nop 1
	v_cndmask_b32_e64 v88, v80, v1, s[14:15]
	v_cvt_f16_f32_e32 v0, v88
	ds_write_b16 v75, v0
	s_and_saveexec_b64 s[14:15], s[8:9]
	s_cbranch_execnz .LBB43_33
; %bb.22:                               ;   in Loop: Header=BB43_11 Depth=1
	s_or_b64 exec, exec, s[14:15]
	s_and_saveexec_b64 s[14:15], s[10:11]
	s_cbranch_execnz .LBB43_34
.LBB43_23:                              ;   in Loop: Header=BB43_11 Depth=1
	s_or_b64 exec, exec, s[14:15]
	v_lshlrev_b32_e32 v68, 2, v60
	s_and_saveexec_b64 s[14:15], s[12:13]
	s_cbranch_execz .LBB43_25
.LBB43_24:                              ;   in Loop: Header=BB43_11 Depth=1
	v_lshl_add_u64 v[0:1], v[62:63], 2, s[16:17]
	v_mov_b32_e32 v69, v51
	v_lshl_add_u64 v[0:1], v[0:1], 0, v[68:69]
	global_load_dwordx4 v[0:3], v[0:1], off
	s_waitcnt vmcnt(0)
	ds_write_b128 v79, v[0:3]
.LBB43_25:                              ;   in Loop: Header=BB43_11 Depth=1
	s_or_b64 exec, exec, s[14:15]
	s_waitcnt lgkmcnt(0)
	s_barrier
	ds_read2_b64 v[28:31], v76 offset1:28
	ds_read_b128 v[8:11], v74
	ds_read_b128 v[0:3], v74 offset:16
	ds_read2_b64 v[36:39], v76 offset0:56 offset1:84
	ds_read2_b64 v[32:35], v76 offset0:112 offset1:140
	;; [unrolled: 1-line block ×4, first 2 shown]
	v_add_u32_e32 v89, 0x800, v76
	v_sub_f32_e32 v90, v6, v64
	ds_read2_b64 v[20:23], v89 offset0:24 offset1:52
	ds_read2_b64 v[12:15], v89 offset0:80 offset1:108
	;; [unrolled: 1-line block ×3, first 2 shown]
	s_or_b32 s28, s2, 16
	s_mul_hi_i32 s29, s28, s40
	s_mul_i32 s28, s28, s40
	s_lshl_b64 s[28:29], s[28:29], 2
	s_add_u32 s28, s44, s28
	v_cmp_ngt_f32_e64 s[14:15], s47, v90
	v_cmp_nlt_f32_e64 s[16:17], s48, v90
	s_addc_u32 s29, s45, s29
	s_waitcnt lgkmcnt(0)
	s_barrier
	s_and_saveexec_b64 s[38:39], s[8:9]
	s_cbranch_execnz .LBB43_35
; %bb.26:                               ;   in Loop: Header=BB43_11 Depth=1
	s_or_b64 exec, exec, s[38:39]
	s_and_saveexec_b64 s[38:39], s[10:11]
	s_cbranch_execnz .LBB43_36
.LBB43_27:                              ;   in Loop: Header=BB43_11 Depth=1
	s_or_b64 exec, exec, s[38:39]
	s_and_saveexec_b64 s[38:39], s[12:13]
	s_cbranch_execz .LBB43_29
.LBB43_28:                              ;   in Loop: Header=BB43_11 Depth=1
	v_lshl_add_u64 v[66:67], v[62:63], 2, s[28:29]
	v_mov_b32_e32 v69, v51
	v_lshl_add_u64 v[66:67], v[66:67], 0, v[68:69]
	global_load_dwordx4 v[66:69], v[66:67], off
	s_waitcnt vmcnt(0)
	ds_write_b128 v79, v[66:69]
.LBB43_29:                              ;   in Loop: Header=BB43_11 Depth=1
	s_or_b64 exec, exec, s[38:39]
	v_mul_f32_e32 v50, 0x3fb8aa3b, v90
	v_fma_f32 v66, v90, s46, -v50
	v_rndne_f32_e32 v67, v50
	v_fmac_f32_e32 v66, 0x32a5705f, v90
	v_sub_f32_e32 v50, v50, v67
	v_add_f32_e32 v50, v50, v66
	v_cvt_i32_f32_e32 v66, v67
	v_exp_f32_e32 v50, v50
	v_pk_mul_f16 v28, v28, v8 op_sel_hi:[1,0]
	v_pk_mul_f16 v29, v29, v8 op_sel_hi:[1,0]
	s_waitcnt lgkmcnt(0)
	v_ldexp_f32 v50, v50, v66
	v_cndmask_b32_e64 v50, 0, v50, s[14:15]
	v_cndmask_b32_e64 v50, v80, v50, s[16:17]
	v_cvt_f16_f32_e32 v66, v50
	s_barrier
	v_fmac_f32_e32 v88, v81, v50
	v_pk_fma_f16 v28, v61, v66, v28 op_sel_hi:[1,0,1]
	v_pk_fma_f16 v29, v55, v66, v29 op_sel_hi:[1,0,1]
	v_pk_fma_f16 v28, v30, v8, v28 op_sel:[0,1,0]
	v_pk_fma_f16 v8, v31, v8, v29 op_sel:[0,1,0]
	v_pk_fma_f16 v28, v36, v9, v28 op_sel_hi:[1,0,1]
	v_pk_fma_f16 v8, v37, v9, v8 op_sel_hi:[1,0,1]
	v_pk_fma_f16 v28, v38, v9, v28 op_sel:[0,1,0]
	v_pk_fma_f16 v8, v39, v9, v8 op_sel:[0,1,0]
	;; [unrolled: 4-line block ×7, first 2 shown]
	ds_read2_b64 v[8:11], v76 offset1:28
	ds_read_b128 v[12:15], v74 offset:32
	v_pk_fma_f16 v1, v4, v3, v1 op_sel_hi:[1,0,1]
	v_pk_fma_f16 v0, v5, v3, v0 op_sel_hi:[1,0,1]
	v_pk_fma_f16 v4, v6, v3, v1 op_sel:[0,1,0]
	v_pk_fma_f16 v16, v7, v3, v0 op_sel:[0,1,0]
	s_waitcnt lgkmcnt(0)
	v_pk_fma_f16 v8, v8, v12, v4 op_sel_hi:[1,0,1]
	ds_read2_b64 v[4:7], v76 offset0:56 offset1:84
	v_pk_fma_f16 v9, v9, v12, v16 op_sel_hi:[1,0,1]
	v_pk_fma_f16 v16, v10, v12, v8 op_sel:[0,1,0]
	v_pk_fma_f16 v12, v11, v12, v9 op_sel:[0,1,0]
	ds_read2_b64 v[8:11], v76 offset0:112 offset1:140
	s_waitcnt lgkmcnt(1)
	v_pk_fma_f16 v4, v4, v13, v16 op_sel_hi:[1,0,1]
	v_pk_fma_f16 v5, v5, v13, v12 op_sel_hi:[1,0,1]
	v_pk_fma_f16 v4, v6, v13, v4 op_sel:[0,1,0]
	v_pk_fma_f16 v12, v7, v13, v5 op_sel:[0,1,0]
	s_waitcnt lgkmcnt(0)
	v_pk_fma_f16 v8, v8, v14, v4 op_sel_hi:[1,0,1]
	ds_read2_b64 v[4:7], v76 offset0:168 offset1:196
	v_pk_fma_f16 v9, v9, v14, v12 op_sel_hi:[1,0,1]
	ds_read_b128 v[0:3], v74 offset:48
	v_pk_fma_f16 v12, v10, v14, v8 op_sel:[0,1,0]
	v_pk_fma_f16 v13, v11, v14, v9 op_sel:[0,1,0]
	ds_read2_b64 v[8:11], v76 offset0:224 offset1:252
	s_waitcnt lgkmcnt(2)
	v_pk_fma_f16 v4, v4, v15, v12 op_sel_hi:[1,0,1]
	v_pk_fma_f16 v5, v5, v15, v13 op_sel_hi:[1,0,1]
	v_pk_fma_f16 v4, v6, v15, v4 op_sel:[0,1,0]
	v_pk_fma_f16 v12, v7, v15, v5 op_sel:[0,1,0]
	s_waitcnt lgkmcnt(0)
	v_pk_fma_f16 v8, v8, v0, v4 op_sel_hi:[1,0,1]
	ds_read2_b64 v[4:7], v89 offset0:24 offset1:52
	v_pk_fma_f16 v9, v9, v0, v12 op_sel_hi:[1,0,1]
	v_pk_fma_f16 v12, v10, v0, v8 op_sel:[0,1,0]
	v_pk_fma_f16 v0, v11, v0, v9 op_sel:[0,1,0]
	ds_read2_b64 v[8:11], v89 offset0:80 offset1:108
	s_waitcnt lgkmcnt(1)
	v_pk_fma_f16 v4, v4, v1, v12 op_sel_hi:[1,0,1]
	v_pk_fma_f16 v0, v5, v1, v0 op_sel_hi:[1,0,1]
	v_pk_fma_f16 v4, v6, v1, v4 op_sel:[0,1,0]
	v_pk_fma_f16 v0, v7, v1, v0 op_sel:[0,1,0]
	s_waitcnt lgkmcnt(0)
	v_pk_fma_f16 v1, v8, v2, v4 op_sel_hi:[1,0,1]
	ds_read2_b64 v[4:7], v89 offset0:136 offset1:164
	s_waitcnt lgkmcnt(0)
	s_barrier
	s_load_dword s14, s[22:23], 0x4
	v_pk_fma_f16 v0, v9, v2, v0 op_sel_hi:[1,0,1]
	v_pk_fma_f16 v1, v10, v2, v1 op_sel:[0,1,0]
	v_pk_fma_f16 v0, v11, v2, v0 op_sel:[0,1,0]
	v_pk_fma_f16 v1, v4, v3, v1 op_sel_hi:[1,0,1]
	s_waitcnt lgkmcnt(0)
	s_lshl_b32 s14, s14, 5
	v_pk_fma_f16 v0, v5, v3, v0 op_sel_hi:[1,0,1]
	s_add_i32 s2, s14, s2
	v_pk_fma_f16 v61, v6, v3, v1 op_sel:[0,1,0]
	s_cmp_lt_i32 s2, s34
	v_pk_fma_f16 v55, v7, v3, v0 op_sel:[0,1,0]
	s_cbranch_scc0 .LBB43_37
; %bb.30:                               ;   in Loop: Header=BB43_11 Depth=1
	v_mov_b32_e32 v6, v64
	v_mov_b32_e32 v81, v88
	s_branch .LBB43_11
.LBB43_31:                              ;   in Loop: Header=BB43_11 Depth=1
	global_load_dwordx4 v[8:11], v[2:3], off offset:208
	s_waitcnt vmcnt(0)
	ds_write_b128 v71, v[8:11]
	s_or_b64 exec, exec, s[14:15]
	s_and_saveexec_b64 s[14:15], s[4:5]
	s_cbranch_execz .LBB43_19
.LBB43_32:                              ;   in Loop: Header=BB43_11 Depth=1
	v_lshl_add_u64 v[0:1], v[0:1], 0, v[50:51]
	global_load_dwordx4 v[0:3], v[0:1], off offset:176
	s_waitcnt vmcnt(0)
	ds_write_b128 v72, v[0:3]
	s_or_b64 exec, exec, s[14:15]
	s_and_saveexec_b64 s[14:15], s[6:7]
	s_cbranch_execnz .LBB43_20
	s_branch .LBB43_21
.LBB43_33:                              ;   in Loop: Header=BB43_11 Depth=1
	v_lshl_add_u64 v[0:1], v[56:57], 2, s[16:17]
	v_lshl_add_u64 v[0:1], v[0:1], 0, v[50:51]
	global_load_dwordx4 v[0:3], v[0:1], off offset:192
	s_waitcnt vmcnt(0)
	ds_write_b128 v77, v[0:3]
	s_or_b64 exec, exec, s[14:15]
	s_and_saveexec_b64 s[14:15], s[10:11]
	s_cbranch_execz .LBB43_23
.LBB43_34:                              ;   in Loop: Header=BB43_11 Depth=1
	v_lshl_add_u64 v[0:1], v[58:59], 2, s[16:17]
	v_mov_b32_e32 v67, v51
	v_lshl_add_u64 v[0:1], v[0:1], 0, v[66:67]
	global_load_dwordx4 v[0:3], v[0:1], off offset:128
	s_waitcnt vmcnt(0)
	ds_write_b128 v78, v[0:3]
	s_or_b64 exec, exec, s[14:15]
	v_lshlrev_b32_e32 v68, 2, v60
	s_and_saveexec_b64 s[14:15], s[12:13]
	s_cbranch_execnz .LBB43_24
	s_branch .LBB43_25
.LBB43_35:                              ;   in Loop: Header=BB43_11 Depth=1
	v_lshl_add_u64 v[92:93], v[56:57], 2, s[28:29]
	v_lshl_add_u64 v[92:93], v[92:93], 0, v[50:51]
	global_load_dwordx4 v[92:95], v[92:93], off offset:192
	s_waitcnt vmcnt(0)
	ds_write_b128 v77, v[92:95]
	s_or_b64 exec, exec, s[38:39]
	s_and_saveexec_b64 s[38:39], s[10:11]
	s_cbranch_execz .LBB43_27
.LBB43_36:                              ;   in Loop: Header=BB43_11 Depth=1
	v_lshl_add_u64 v[92:93], v[58:59], 2, s[28:29]
	v_mov_b32_e32 v67, v51
	v_lshl_add_u64 v[66:67], v[92:93], 0, v[66:67]
	global_load_dwordx4 v[92:95], v[66:67], off offset:128
	s_waitcnt vmcnt(0)
	ds_write_b128 v78, v[92:95]
	s_or_b64 exec, exec, s[38:39]
	s_and_saveexec_b64 s[38:39], s[12:13]
	s_cbranch_execnz .LBB43_28
	s_branch .LBB43_29
.LBB43_37:
	v_cmp_lt_i32_e32 vcc, v83, v82
	s_cmp_eq_u64 s[20:21], 0
	s_cselect_b64 s[4:5], -1, 0
	v_cndmask_b32_e32 v0, v49, v83, vcc
	v_lshlrev_b32_e32 v0, 2, v0
	ds_bpermute_b32 v0, v0, v88
	v_cmp_lt_i32_e32 vcc, v84, v82
	s_cmp_lg_u32 s3, 0
	s_cselect_b64 s[6:7], -1, 0
	v_cndmask_b32_e32 v1, v49, v84, vcc
	v_lshlrev_b32_e32 v1, 2, v1
	s_waitcnt lgkmcnt(0)
	v_add_f32_e32 v0, v88, v0
	ds_bpermute_b32 v1, v1, v0
	v_cmp_lt_i32_e32 vcc, v85, v82
	s_or_b64 s[4:5], s[6:7], s[4:5]
	s_waitcnt lgkmcnt(0)
	v_add_f32_e32 v0, v0, v1
	v_cndmask_b32_e32 v2, v49, v85, vcc
	v_lshlrev_b32_e32 v2, 2, v2
	ds_bpermute_b32 v1, v2, v0
	v_cmp_lt_i32_e32 vcc, v86, v82
	s_waitcnt lgkmcnt(0)
	v_add_f32_e32 v0, v0, v1
	v_cndmask_b32_e32 v2, v49, v86, vcc
	v_lshlrev_b32_e32 v2, 2, v2
	ds_bpermute_b32 v1, v2, v0
	v_cmp_lt_i32_e32 vcc, v87, v82
	s_waitcnt lgkmcnt(0)
	v_add_f32_e32 v0, v0, v1
	v_cndmask_b32_e32 v2, v49, v87, vcc
	v_lshlrev_b32_e32 v2, 2, v2
	ds_bpermute_b32 v1, v2, v0
	s_and_b64 vcc, exec, s[4:5]
	s_waitcnt lgkmcnt(0)
	v_add_f32_e32 v65, v0, v1
	s_cbranch_vccnz .LBB43_40
; %bb.38:
	v_add_u32_e32 v0, s35, v41
	v_ashrrev_i32_e32 v1, 31, v0
	v_lshl_add_u64 v[0:1], v[0:1], 2, s[20:21]
	global_load_dword v1, v[0:1], off
	v_max_f32_e32 v0, v64, v64
	s_mov_b32 s2, 0x3fb8aa3b
	s_mov_b32 s4, 0xc2ce8ed0
	s_waitcnt vmcnt(0)
	v_max_f32_e32 v2, v1, v1
	v_max_f32_e32 v0, v0, v2
	v_sub_f32_e32 v2, v64, v0
	v_sub_f32_e32 v1, v1, v0
	v_mul_f32_e32 v3, 0x3fb8aa3b, v2
	v_mul_f32_e32 v4, 0x3fb8aa3b, v1
	v_fma_f32 v5, v2, s2, -v3
	v_rndne_f32_e32 v6, v3
	v_fma_f32 v7, v1, s2, -v4
	v_rndne_f32_e32 v8, v4
	v_fmac_f32_e32 v5, 0x32a5705f, v2
	v_sub_f32_e32 v3, v3, v6
	v_fmac_f32_e32 v7, 0x32a5705f, v1
	v_sub_f32_e32 v4, v4, v8
	v_add_f32_e32 v3, v3, v5
	v_cvt_i32_f32_e32 v6, v6
	v_add_f32_e32 v4, v4, v7
	v_exp_f32_e32 v3, v3
	v_cvt_i32_f32_e32 v8, v8
	v_exp_f32_e32 v4, v4
	v_cmp_ngt_f32_e32 vcc, s4, v2
	v_ldexp_f32 v3, v3, v6
	s_mov_b32 s2, 0x42b17218
	v_ldexp_f32 v4, v4, v8
	v_cndmask_b32_e32 v3, 0, v3, vcc
	v_cmp_ngt_f32_e32 vcc, s4, v1
	v_mov_b32_e32 v5, 0x7f800000
	s_nop 0
	v_cndmask_b32_e32 v4, 0, v4, vcc
	v_cmp_nlt_f32_e32 vcc, s2, v2
	s_nop 1
	v_cndmask_b32_e32 v2, v5, v3, vcc
	v_cvt_f16_f32_e32 v3, v2
	v_cmp_nlt_f32_e32 vcc, s2, v1
	v_pk_mul_f16 v61, v3, v61 op_sel_hi:[0,1]
	s_nop 0
	v_cndmask_b32_e32 v1, v5, v4, vcc
	v_fmac_f32_e32 v1, v65, v2
	v_pk_mul_f16 v55, v3, v55 op_sel_hi:[0,1]
	v_mov_b64_e32 v[64:65], v[0:1]
	v_cmp_gt_i32_e32 vcc, s30, v45
	s_and_saveexec_b64 s[4:5], vcc
	s_cbranch_execnz .LBB43_41
.LBB43_39:
	s_endpgm
.LBB43_40:
	v_mov_b32_e32 v1, v65
	v_cmp_gt_i32_e32 vcc, s30, v45
	s_and_saveexec_b64 s[4:5], vcc
	s_cbranch_execz .LBB43_39
.LBB43_41:
	s_load_dword s2, s[0:1], 0xd4
	s_mul_i32 s33, s33, s30
	v_add_u32_e32 v0, s33, v45
	v_mul_lo_u32 v0, v0, s31
	v_add3_u32 v0, s35, v41, v0
	s_waitcnt lgkmcnt(0)
	s_cmp_lg_u32 s2, 1
	v_mul_lo_u32 v0, s2, v0
	s_cselect_b64 s[0:1], -1, 0
	v_add_u32_e32 v0, s3, v0
	s_and_saveexec_b64 s[2:3], s[18:19]
	s_cbranch_execz .LBB43_43
; %bb.42:
	v_div_scale_f32 v4, s[4:5], v1, v1, 1.0
	v_rcp_f32_e32 v5, v4
	v_cvt_f32_f16_sdwa v9, v61 dst_sel:DWORD dst_unused:UNUSED_PAD src0_sel:WORD_1
	v_cvt_f32_f16_sdwa v11, v55 dst_sel:DWORD dst_unused:UNUSED_PAD src0_sel:WORD_1
	v_cvt_f32_f16_e32 v10, v55
	v_fma_f32 v6, -v4, v5, 1.0
	v_fmac_f32_e32 v5, v6, v5
	v_div_scale_f32 v6, vcc, 1.0, v1, 1.0
	v_mul_f32_e32 v7, v6, v5
	v_fma_f32 v8, -v4, v7, v6
	v_fmac_f32_e32 v7, v8, v5
	v_fma_f32 v4, -v4, v7, v6
	v_div_fmas_f32 v4, v4, v5, v7
	v_cvt_f32_f16_e32 v8, v61
	v_div_fixup_f32 v1, v4, v1, 1.0
	s_movk_i32 s4, 0x70
	v_cndmask_b32_e64 v4, v1, 1.0, s[0:1]
	v_mul_lo_u32 v1, v0, s4
	v_mov_b32_e32 v2, s24
	v_mov_b32_e32 v3, s25
	v_lshl_add_u32 v6, v40, 2, v1
	v_mov_b32_e32 v7, 0
	v_lshl_add_u64 v[6:7], v[6:7], 2, v[2:3]
	v_pk_mul_f32 v[2:3], v[4:5], v[8:9] op_sel_hi:[0,1]
	v_pk_mul_f32 v[4:5], v[4:5], v[10:11] op_sel_hi:[0,1]
	global_store_dwordx4 v[6:7], v[2:5], off
.LBB43_43:
	s_or_b64 exec, exec, s[2:3]
	v_cmp_eq_u32_e32 vcc, 0, v40
	s_and_b64 s[0:1], vcc, s[0:1]
	s_and_b64 exec, exec, s[0:1]
	s_cbranch_execz .LBB43_39
; %bb.44:
	v_mov_b32_e32 v2, s26
	v_mov_b32_e32 v3, s27
	v_ashrrev_i32_e32 v1, 31, v0
	v_lshl_add_u64 v[0:1], v[0:1], 3, v[2:3]
	global_store_dwordx2 v[0:1], v[64:65], off
	s_endpgm
	.section	.rodata,"a",@progbits
	.p2align	6, 0x0
	.amdhsa_kernel _ZL15flash_attn_tileILi112ELi112ELi4ELi2ELb0EEvPKcS1_S1_S1_S1_PKiPfP15HIP_vector_typeIfLj2EEffffjfiS5_IjLj3EEiiiiiiiiiiiliiliiiiil
		.amdhsa_group_segment_fixed_size 6464
		.amdhsa_private_segment_fixed_size 0
		.amdhsa_kernarg_size 464
		.amdhsa_user_sgpr_count 2
		.amdhsa_user_sgpr_dispatch_ptr 0
		.amdhsa_user_sgpr_queue_ptr 0
		.amdhsa_user_sgpr_kernarg_segment_ptr 1
		.amdhsa_user_sgpr_dispatch_id 0
		.amdhsa_user_sgpr_kernarg_preload_length 0
		.amdhsa_user_sgpr_kernarg_preload_offset 0
		.amdhsa_user_sgpr_private_segment_size 0
		.amdhsa_uses_dynamic_stack 0
		.amdhsa_enable_private_segment 0
		.amdhsa_system_sgpr_workgroup_id_x 1
		.amdhsa_system_sgpr_workgroup_id_y 1
		.amdhsa_system_sgpr_workgroup_id_z 1
		.amdhsa_system_sgpr_workgroup_info 0
		.amdhsa_system_vgpr_workitem_id 1
		.amdhsa_next_free_vgpr 96
		.amdhsa_next_free_sgpr 49
		.amdhsa_accum_offset 96
		.amdhsa_reserve_vcc 1
		.amdhsa_float_round_mode_32 0
		.amdhsa_float_round_mode_16_64 0
		.amdhsa_float_denorm_mode_32 3
		.amdhsa_float_denorm_mode_16_64 3
		.amdhsa_dx10_clamp 1
		.amdhsa_ieee_mode 1
		.amdhsa_fp16_overflow 0
		.amdhsa_tg_split 0
		.amdhsa_exception_fp_ieee_invalid_op 0
		.amdhsa_exception_fp_denorm_src 0
		.amdhsa_exception_fp_ieee_div_zero 0
		.amdhsa_exception_fp_ieee_overflow 0
		.amdhsa_exception_fp_ieee_underflow 0
		.amdhsa_exception_fp_ieee_inexact 0
		.amdhsa_exception_int_div_zero 0
	.end_amdhsa_kernel
	.section	.text._ZL15flash_attn_tileILi112ELi112ELi4ELi2ELb0EEvPKcS1_S1_S1_S1_PKiPfP15HIP_vector_typeIfLj2EEffffjfiS5_IjLj3EEiiiiiiiiiiiliiliiiiil,"axG",@progbits,_ZL15flash_attn_tileILi112ELi112ELi4ELi2ELb0EEvPKcS1_S1_S1_S1_PKiPfP15HIP_vector_typeIfLj2EEffffjfiS5_IjLj3EEiiiiiiiiiiiliiliiiiil,comdat
.Lfunc_end43:
	.size	_ZL15flash_attn_tileILi112ELi112ELi4ELi2ELb0EEvPKcS1_S1_S1_S1_PKiPfP15HIP_vector_typeIfLj2EEffffjfiS5_IjLj3EEiiiiiiiiiiiliiliiiiil, .Lfunc_end43-_ZL15flash_attn_tileILi112ELi112ELi4ELi2ELb0EEvPKcS1_S1_S1_S1_PKiPfP15HIP_vector_typeIfLj2EEffffjfiS5_IjLj3EEiiiiiiiiiiiliiliiiiil
                                        ; -- End function
	.section	.AMDGPU.csdata,"",@progbits
; Kernel info:
; codeLenInByte = 5256
; NumSgprs: 55
; NumVgprs: 96
; NumAgprs: 0
; TotalNumVgprs: 96
; ScratchSize: 0
; MemoryBound: 0
; FloatMode: 240
; IeeeMode: 1
; LDSByteSize: 6464 bytes/workgroup (compile time only)
; SGPRBlocks: 6
; VGPRBlocks: 11
; NumSGPRsForWavesPerEU: 55
; NumVGPRsForWavesPerEU: 96
; AccumOffset: 96
; Occupancy: 5
; WaveLimiterHint : 1
; COMPUTE_PGM_RSRC2:SCRATCH_EN: 0
; COMPUTE_PGM_RSRC2:USER_SGPR: 2
; COMPUTE_PGM_RSRC2:TRAP_HANDLER: 0
; COMPUTE_PGM_RSRC2:TGID_X_EN: 1
; COMPUTE_PGM_RSRC2:TGID_Y_EN: 1
; COMPUTE_PGM_RSRC2:TGID_Z_EN: 1
; COMPUTE_PGM_RSRC2:TIDIG_COMP_CNT: 1
; COMPUTE_PGM_RSRC3_GFX90A:ACCUM_OFFSET: 23
; COMPUTE_PGM_RSRC3_GFX90A:TG_SPLIT: 0
	.section	.text._ZL33flash_attn_stream_k_fixup_uniformILi112ELi4ELi2EEvPfPK15HIP_vector_typeIfLj2EEiiiiiiS1_IjLj3EES5_S5_,"axG",@progbits,_ZL33flash_attn_stream_k_fixup_uniformILi112ELi4ELi2EEvPfPK15HIP_vector_typeIfLj2EEiiiiiiS1_IjLj3EES5_S5_,comdat
	.globl	_ZL33flash_attn_stream_k_fixup_uniformILi112ELi4ELi2EEvPfPK15HIP_vector_typeIfLj2EEiiiiiiS1_IjLj3EES5_S5_ ; -- Begin function _ZL33flash_attn_stream_k_fixup_uniformILi112ELi4ELi2EEvPfPK15HIP_vector_typeIfLj2EEiiiiiiS1_IjLj3EES5_S5_
	.p2align	8
	.type	_ZL33flash_attn_stream_k_fixup_uniformILi112ELi4ELi2EEvPfPK15HIP_vector_typeIfLj2EEiiiiiiS1_IjLj3EES5_S5_,@function
_ZL33flash_attn_stream_k_fixup_uniformILi112ELi4ELi2EEvPfPK15HIP_vector_typeIfLj2EEiiiiiiS1_IjLj3EES5_S5_: ; @_ZL33flash_attn_stream_k_fixup_uniformILi112ELi4ELi2EEvPfPK15HIP_vector_typeIfLj2EEiiiiiiS1_IjLj3EES5_S5_
; %bb.0:
	s_load_dwordx8 s[8:15], s[0:1], 0x1c
	s_load_dwordx2 s[6:7], s[0:1], 0x10
	s_load_dwordx4 s[16:19], s[0:1], 0x3c
	s_waitcnt lgkmcnt(0)
	s_mul_hi_u32 s5, s11, s2
	s_add_i32 s5, s2, s5
	s_lshr_b32 s5, s5, s12
	s_mul_i32 s11, s5, s13
	s_sub_i32 s12, s2, s11
	s_mul_hi_u32 s11, s12, s14
	s_add_i32 s11, s12, s11
	s_lshr_b32 s11, s11, s15
	s_mul_i32 s13, s11, s16
	s_sub_i32 s12, s12, s13
	;; [unrolled: 5-line block ×3, first 2 shown]
	s_lshl_b32 s12, s16, 2
	s_lshl_b32 s17, s13, 1
	s_add_i32 s12, s12, s3
	s_cmp_lt_i32 s12, s6
	s_cselect_b64 s[12:13], -1, 0
	s_add_i32 s17, s17, s4
	s_cmp_lt_i32 s17, s9
	s_cselect_b64 s[14:15], -1, 0
	s_and_b64 s[12:13], s[12:13], s[14:15]
	s_andn2_b64 vcc, exec, s[12:13]
	s_cbranch_vccnz .LBB44_6
; %bb.1:
	s_load_dwordx4 s[12:15], s[0:1], 0x0
	s_mul_i32 s0, s5, s6
	s_mul_i32 s11, s11, s9
	s_add_i32 s0, s0, s3
	s_mul_i32 s0, s0, s7
	s_add_i32 s5, s17, s11
	;; [unrolled: 2-line block ×3, first 2 shown]
	s_mulk_i32 s1, 0x1c0
	s_mulk_i32 s0, 0x70
	s_add_i32 s0, s0, s1
	v_add_u32_e32 v4, s0, v0
	s_waitcnt lgkmcnt(0)
	v_mov_b32_e32 v2, s12
	v_mov_b32_e32 v3, s13
	v_ashrrev_i32_e32 v5, 31, v4
	v_lshl_add_u64 v[2:3], v[4:5], 2, v[2:3]
	global_load_dword v7, v[2:3], off
	s_mul_i32 s5, s2, s10
	s_lshl_b32 s11, s3, 1
	s_add_i32 s9, s5, s10
	s_add_i32 s0, s11, s4
	s_lshl_b32 s1, s9, 3
	s_add_i32 s0, s0, s1
	s_add_i32 s0, s0, -8
	s_ashr_i32 s1, s0, 31
	s_lshl_b64 s[0:1], s[0:1], 3
	s_add_u32 s0, s14, s0
	s_addc_u32 s1, s15, s1
	s_load_dword s12, s[0:1], 0x4
	s_add_i32 s6, s9, -2
	s_cmp_lt_i32 s6, s5
	s_cbranch_scc1 .LBB44_4
; %bb.2:
	s_lshl_b32 s6, s8, 5
	s_ashr_i32 s7, s6, 31
	s_lshl_b64 s[6:7], s[6:7], 2
	s_add_u32 s6, s14, s6
	s_addc_u32 s7, s15, s7
	s_add_i32 s2, s2, 1
	s_load_dword s0, s[0:1], 0x0
	s_mul_i32 s1, s10, s2
	s_lshl_b32 s2, s1, 3
	s_add_i32 s2, s4, s2
	s_mulk_i32 s3, 0xe0
	s_mulk_i32 s4, 0x70
	s_lshl_b32 s8, s8, 3
	s_mulk_i32 s1, 0x380
	s_add_i32 s3, s4, s3
	s_add_i32 s2, s2, s8
	;; [unrolled: 1-line block ×4, first 2 shown]
	v_add_u32_e32 v0, s3, v0
	s_add_i32 s9, s9, -1
	s_add_i32 s2, s2, -16
	v_add_u32_e32 v0, 0xfffff900, v0
	s_waitcnt lgkmcnt(0)
	v_mov_b32_e32 v6, s12
	v_mov_b32_e32 v5, s0
	s_mov_b32 s4, 0x3fb8aa3b
	s_mov_b32 s8, 0xc2ce8ed0
	;; [unrolled: 1-line block ×3, first 2 shown]
	v_mov_b32_e32 v4, 0x7f800000
	s_mov_b32 s11, 0xc1a00000
.LBB44_3:                               ; =>This Inner Loop Header: Depth=1
	v_ashrrev_i32_e32 v1, 31, v0
	v_lshl_add_u64 v[8:9], v[0:1], 2, s[6:7]
	global_load_dword v1, v[8:9], off
	s_ashr_i32 s3, s2, 31
	s_lshl_b64 s[0:1], s[2:3], 3
	s_add_u32 s0, s14, s0
	s_addc_u32 s1, s15, s1
	s_load_dwordx2 s[12:13], s[0:1], 0x0
	s_waitcnt vmcnt(1)
	v_mov_b32_e32 v8, v7
	v_max_f32_e32 v7, v5, v5
	v_mov_b32_e32 v9, v6
	s_add_i32 s9, s9, -1
	s_waitcnt lgkmcnt(0)
	v_max_f32_e64 v6, s12, s12
	v_max_f32_e32 v6, v7, v6
	v_sub_f32_e32 v10, s12, v6
	v_sub_f32_e32 v7, v5, v6
	v_mul_f32_e32 v11, 0x3fb8aa3b, v10
	v_mov_b32_e32 v5, v6
	v_mul_f32_e32 v6, 0x3fb8aa3b, v7
	v_fma_f32 v14, v10, s4, -v11
	v_rndne_f32_e32 v15, v11
	v_fma_f32 v12, v7, s4, -v6
	v_rndne_f32_e32 v13, v6
	v_fmac_f32_e32 v14, 0x32a5705f, v10
	v_sub_f32_e32 v11, v11, v15
	v_fmac_f32_e32 v12, 0x32a5705f, v7
	v_sub_f32_e32 v6, v6, v13
	v_add_f32_e32 v11, v11, v14
	v_cvt_i32_f32_e32 v15, v15
	v_add_f32_e32 v6, v6, v12
	v_exp_f32_e32 v11, v11
	v_cvt_i32_f32_e32 v13, v13
	v_exp_f32_e32 v6, v6
	v_cmp_ngt_f32_e32 vcc, s8, v10
	v_ldexp_f32 v11, v11, v15
	v_cmp_ngt_f32_e64 s[0:1], s8, v7
	v_ldexp_f32 v6, v6, v13
	v_cndmask_b32_e32 v11, 0, v11, vcc
	v_cmp_nlt_f32_e32 vcc, s10, v10
	v_cndmask_b32_e64 v6, 0, v6, s[0:1]
	v_cmp_nlt_f32_e64 s[0:1], s10, v7
	v_cndmask_b32_e32 v11, v4, v11, vcc
	v_cmp_le_f32_e32 vcc, s11, v10
	v_cndmask_b32_e64 v6, v4, v6, s[0:1]
	v_cmp_le_f32_e64 s[0:1], s11, v7
	v_cndmask_b32_e32 v7, 0, v11, vcc
	s_add_i32 s2, s2, -8
	v_cndmask_b32_e64 v10, 0, v6, s[0:1]
	v_mul_f32_e32 v6, s13, v7
	v_add_u32_e32 v0, 0xfffffc80, v0
	s_cmp_le_i32 s9, s5
	v_fmac_f32_e32 v6, v9, v10
	s_waitcnt vmcnt(0)
	v_mul_f32_e32 v7, v1, v7
	v_fmac_f32_e32 v7, v8, v10
	s_cbranch_scc0 .LBB44_3
	s_branch .LBB44_5
.LBB44_4:
	s_waitcnt lgkmcnt(0)
	v_mov_b32_e32 v6, s12
.LBB44_5:
	s_waitcnt vmcnt(0)
	v_div_scale_f32 v0, s[0:1], v6, v6, v7
	v_rcp_f32_e32 v1, v0
	v_div_scale_f32 v4, vcc, v7, v6, v7
	v_fma_f32 v5, -v0, v1, 1.0
	v_fmac_f32_e32 v1, v5, v1
	v_mul_f32_e32 v5, v4, v1
	v_fma_f32 v8, -v0, v5, v4
	v_fmac_f32_e32 v5, v8, v1
	v_fma_f32 v0, -v0, v5, v4
	v_div_fmas_f32 v0, v0, v1, v5
	v_div_fixup_f32 v0, v0, v6, v7
	global_store_dword v[2:3], v0, off
.LBB44_6:
	s_endpgm
	.section	.rodata,"a",@progbits
	.p2align	6, 0x0
	.amdhsa_kernel _ZL33flash_attn_stream_k_fixup_uniformILi112ELi4ELi2EEvPfPK15HIP_vector_typeIfLj2EEiiiiiiS1_IjLj3EES5_S5_
		.amdhsa_group_segment_fixed_size 0
		.amdhsa_private_segment_fixed_size 0
		.amdhsa_kernarg_size 76
		.amdhsa_user_sgpr_count 2
		.amdhsa_user_sgpr_dispatch_ptr 0
		.amdhsa_user_sgpr_queue_ptr 0
		.amdhsa_user_sgpr_kernarg_segment_ptr 1
		.amdhsa_user_sgpr_dispatch_id 0
		.amdhsa_user_sgpr_kernarg_preload_length 0
		.amdhsa_user_sgpr_kernarg_preload_offset 0
		.amdhsa_user_sgpr_private_segment_size 0
		.amdhsa_uses_dynamic_stack 0
		.amdhsa_enable_private_segment 0
		.amdhsa_system_sgpr_workgroup_id_x 1
		.amdhsa_system_sgpr_workgroup_id_y 1
		.amdhsa_system_sgpr_workgroup_id_z 1
		.amdhsa_system_sgpr_workgroup_info 0
		.amdhsa_system_vgpr_workitem_id 0
		.amdhsa_next_free_vgpr 16
		.amdhsa_next_free_sgpr 20
		.amdhsa_accum_offset 16
		.amdhsa_reserve_vcc 1
		.amdhsa_float_round_mode_32 0
		.amdhsa_float_round_mode_16_64 0
		.amdhsa_float_denorm_mode_32 3
		.amdhsa_float_denorm_mode_16_64 3
		.amdhsa_dx10_clamp 1
		.amdhsa_ieee_mode 1
		.amdhsa_fp16_overflow 0
		.amdhsa_tg_split 0
		.amdhsa_exception_fp_ieee_invalid_op 0
		.amdhsa_exception_fp_denorm_src 0
		.amdhsa_exception_fp_ieee_div_zero 0
		.amdhsa_exception_fp_ieee_overflow 0
		.amdhsa_exception_fp_ieee_underflow 0
		.amdhsa_exception_fp_ieee_inexact 0
		.amdhsa_exception_int_div_zero 0
	.end_amdhsa_kernel
	.section	.text._ZL33flash_attn_stream_k_fixup_uniformILi112ELi4ELi2EEvPfPK15HIP_vector_typeIfLj2EEiiiiiiS1_IjLj3EES5_S5_,"axG",@progbits,_ZL33flash_attn_stream_k_fixup_uniformILi112ELi4ELi2EEvPfPK15HIP_vector_typeIfLj2EEiiiiiiS1_IjLj3EES5_S5_,comdat
.Lfunc_end44:
	.size	_ZL33flash_attn_stream_k_fixup_uniformILi112ELi4ELi2EEvPfPK15HIP_vector_typeIfLj2EEiiiiiiS1_IjLj3EES5_S5_, .Lfunc_end44-_ZL33flash_attn_stream_k_fixup_uniformILi112ELi4ELi2EEvPfPK15HIP_vector_typeIfLj2EEiiiiiiS1_IjLj3EES5_S5_
                                        ; -- End function
	.section	.AMDGPU.csdata,"",@progbits
; Kernel info:
; codeLenInByte = 836
; NumSgprs: 26
; NumVgprs: 16
; NumAgprs: 0
; TotalNumVgprs: 16
; ScratchSize: 0
; MemoryBound: 0
; FloatMode: 240
; IeeeMode: 1
; LDSByteSize: 0 bytes/workgroup (compile time only)
; SGPRBlocks: 3
; VGPRBlocks: 1
; NumSGPRsForWavesPerEU: 26
; NumVGPRsForWavesPerEU: 16
; AccumOffset: 16
; Occupancy: 8
; WaveLimiterHint : 0
; COMPUTE_PGM_RSRC2:SCRATCH_EN: 0
; COMPUTE_PGM_RSRC2:USER_SGPR: 2
; COMPUTE_PGM_RSRC2:TRAP_HANDLER: 0
; COMPUTE_PGM_RSRC2:TGID_X_EN: 1
; COMPUTE_PGM_RSRC2:TGID_Y_EN: 1
; COMPUTE_PGM_RSRC2:TGID_Z_EN: 1
; COMPUTE_PGM_RSRC2:TIDIG_COMP_CNT: 0
; COMPUTE_PGM_RSRC3_GFX90A:ACCUM_OFFSET: 3
; COMPUTE_PGM_RSRC3_GFX90A:TG_SPLIT: 0
	.section	.text._ZL33flash_attn_stream_k_fixup_generalILi112ELi4ELi2EEvPfPK15HIP_vector_typeIfLj2EEiiiiS1_IjLj3EES5_S5_S5_,"axG",@progbits,_ZL33flash_attn_stream_k_fixup_generalILi112ELi4ELi2EEvPfPK15HIP_vector_typeIfLj2EEiiiiS1_IjLj3EES5_S5_S5_,comdat
	.globl	_ZL33flash_attn_stream_k_fixup_generalILi112ELi4ELi2EEvPfPK15HIP_vector_typeIfLj2EEiiiiS1_IjLj3EES5_S5_S5_ ; -- Begin function _ZL33flash_attn_stream_k_fixup_generalILi112ELi4ELi2EEvPfPK15HIP_vector_typeIfLj2EEiiiiS1_IjLj3EES5_S5_S5_
	.p2align	8
	.type	_ZL33flash_attn_stream_k_fixup_generalILi112ELi4ELi2EEvPfPK15HIP_vector_typeIfLj2EEiiiiS1_IjLj3EES5_S5_S5_,@function
_ZL33flash_attn_stream_k_fixup_generalILi112ELi4ELi2EEvPfPK15HIP_vector_typeIfLj2EEiiiiS1_IjLj3EES5_S5_S5_: ; @_ZL33flash_attn_stream_k_fixup_generalILi112ELi4ELi2EEvPfPK15HIP_vector_typeIfLj2EEiiiiS1_IjLj3EES5_S5_S5_
; %bb.0:
	s_load_dwordx4 s[12:15], s[0:1], 0x10
	s_load_dword s22, s[0:1], 0x50
	s_mov_b32 s8, 0
	s_waitcnt lgkmcnt(0)
	s_mul_hi_i32 s9, s15, s2
	s_cmp_lg_u64 s[8:9], 0
	s_mul_i32 s5, s15, s2
	s_cbranch_scc0 .LBB45_21
; %bb.1:
	v_cvt_f32_u32_e32 v1, s22
	v_cvt_f32_ubyte0_e32 v2, 0
	s_sub_u32 s8, 0, s22
	s_subb_u32 s10, 0, 0
	v_fmamk_f32 v1, v2, 0x4f800000, v1
	v_rcp_f32_e32 v1, v1
	s_nop 0
	v_mul_f32_e32 v1, 0x5f7ffffc, v1
	v_mul_f32_e32 v2, 0x2f800000, v1
	v_trunc_f32_e32 v2, v2
	v_fmamk_f32 v1, v2, 0xcf800000, v1
	v_cvt_u32_f32_e32 v2, v2
	v_cvt_u32_f32_e32 v1, v1
	v_readfirstlane_b32 s11, v2
	v_readfirstlane_b32 s16, v1
	s_mul_i32 s17, s8, s11
	s_mul_hi_u32 s19, s8, s16
	s_mul_i32 s18, s10, s16
	s_add_i32 s17, s19, s17
	s_add_i32 s17, s17, s18
	s_mul_i32 s20, s8, s16
	s_mul_hi_u32 s18, s16, s17
	s_mul_i32 s19, s16, s17
	s_mul_hi_u32 s16, s16, s20
	s_add_u32 s16, s16, s19
	s_addc_u32 s18, 0, s18
	s_mul_hi_u32 s21, s11, s20
	s_mul_i32 s20, s11, s20
	s_add_u32 s16, s16, s20
	s_mul_hi_u32 s19, s11, s17
	s_addc_u32 s16, s18, s21
	s_addc_u32 s18, s19, 0
	s_mul_i32 s17, s11, s17
	s_add_u32 s16, s16, s17
	s_addc_u32 s17, 0, s18
	v_add_co_u32_e32 v1, vcc, s16, v1
	s_cmp_lg_u64 vcc, 0
	s_addc_u32 s11, s11, s17
	v_readfirstlane_b32 s17, v1
	s_mul_i32 s16, s8, s11
	s_mul_hi_u32 s18, s8, s17
	s_add_i32 s16, s18, s16
	s_mul_i32 s10, s10, s17
	s_add_i32 s16, s16, s10
	s_mul_i32 s8, s8, s17
	s_mul_hi_u32 s18, s11, s8
	s_mul_i32 s19, s11, s8
	s_mul_i32 s21, s17, s16
	s_mul_hi_u32 s8, s17, s8
	s_mul_hi_u32 s20, s17, s16
	s_add_u32 s8, s8, s21
	s_addc_u32 s17, 0, s20
	s_add_u32 s8, s8, s19
	s_mul_hi_u32 s10, s11, s16
	s_addc_u32 s8, s17, s18
	s_addc_u32 s10, s10, 0
	s_mul_i32 s16, s11, s16
	s_add_u32 s8, s8, s16
	s_addc_u32 s10, 0, s10
	v_add_co_u32_e32 v1, vcc, s8, v1
	s_cmp_lg_u64 vcc, 0
	s_addc_u32 s16, s11, s10
	s_ashr_i32 s10, s9, 31
	s_add_u32 s8, s5, s10
	s_mov_b32 s11, s10
	s_addc_u32 s9, s9, s10
	s_xor_b64 s[8:9], s[8:9], s[10:11]
	v_readfirstlane_b32 s19, v1
	s_mul_i32 s18, s8, s16
	s_mul_hi_u32 s20, s8, s19
	s_mul_hi_u32 s17, s8, s16
	s_add_u32 s18, s20, s18
	s_addc_u32 s17, 0, s17
	s_mul_hi_u32 s21, s9, s19
	s_mul_i32 s19, s9, s19
	s_add_u32 s18, s18, s19
	s_mul_hi_u32 s20, s9, s16
	s_addc_u32 s17, s17, s21
	s_addc_u32 s18, s20, 0
	s_mul_i32 s16, s9, s16
	s_add_u32 s16, s17, s16
	s_addc_u32 s17, 0, s18
	s_add_u32 s18, s16, 1
	s_addc_u32 s19, s17, 0
	s_add_u32 s20, s16, 2
	s_mul_i32 s23, s22, s17
	s_mul_hi_u32 s24, s22, s16
	s_addc_u32 s21, s17, 0
	s_add_i32 s24, s24, s23
	s_mul_i32 s23, s22, s16
	v_mov_b32_e32 v1, s23
	v_sub_co_u32_e32 v1, vcc, s8, v1
	s_cmp_lg_u64 vcc, 0
	s_subb_u32 s8, s9, s24
	v_subrev_co_u32_e32 v2, vcc, s22, v1
	s_cmp_lg_u64 vcc, 0
	s_subb_u32 s9, s8, 0
	v_readfirstlane_b32 s23, v2
	s_cmp_ge_u32 s23, s22
	s_cselect_b32 s23, -1, 0
	s_cmp_eq_u32 s9, 0
	s_cselect_b32 s9, s23, -1
	s_cmp_lg_u32 s9, 0
	s_cselect_b32 s9, s21, s19
	v_readfirstlane_b32 s19, v1
	s_cselect_b32 s18, s20, s18
	s_cmp_ge_u32 s19, s22
	s_cselect_b32 s19, -1, 0
	s_cmp_eq_u32 s8, 0
	s_cselect_b32 s8, s19, -1
	s_cmp_lg_u32 s8, 0
	s_cselect_b32 s9, s9, s17
	s_cselect_b32 s8, s18, s16
	s_xor_b64 s[8:9], s[8:9], s[10:11]
	s_sub_u32 s20, s8, s10
	s_load_dwordx4 s[16:19], s[0:1], 0x44
	s_cbranch_execnz .LBB45_3
.LBB45_2:
	v_cvt_f32_u32_e32 v1, s22
	s_sub_i32 s6, 0, s22
	v_rcp_iflag_f32_e32 v1, v1
	s_nop 0
	v_mul_f32_e32 v1, 0x4f7ffffe, v1
	v_cvt_u32_f32_e32 v1, v1
	s_nop 0
	v_readfirstlane_b32 s7, v1
	s_mul_i32 s6, s6, s7
	s_mul_hi_u32 s6, s7, s6
	s_add_i32 s7, s7, s6
	s_mul_hi_u32 s6, s5, s7
	s_mul_i32 s8, s6, s22
	s_sub_i32 s5, s5, s8
	s_add_i32 s7, s6, 1
	s_sub_i32 s8, s5, s22
	s_cmp_ge_u32 s5, s22
	s_cselect_b32 s6, s7, s6
	s_cselect_b32 s5, s8, s5
	s_add_i32 s7, s6, 1
	s_cmp_ge_u32 s5, s22
	s_cselect_b32 s20, s7, s6
.LBB45_3:
	s_add_i32 s5, s2, 1
	s_mul_hi_i32 s9, s15, s5
	s_mov_b32 s8, 0
	s_cmp_lg_u64 s[8:9], 0
	s_mul_i32 s5, s15, s5
	s_cbranch_scc0 .LBB45_22
; %bb.4:
	v_cvt_f32_u32_e32 v1, s22
	v_cvt_f32_ubyte0_e32 v2, 0
	s_sub_u32 s8, 0, s22
	s_subb_u32 s10, 0, 0
	v_fmamk_f32 v1, v2, 0x4f800000, v1
	v_rcp_f32_e32 v1, v1
	s_nop 0
	v_mul_f32_e32 v1, 0x5f7ffffc, v1
	v_mul_f32_e32 v2, 0x2f800000, v1
	v_trunc_f32_e32 v2, v2
	v_fmamk_f32 v1, v2, 0xcf800000, v1
	v_cvt_u32_f32_e32 v2, v2
	v_cvt_u32_f32_e32 v1, v1
	v_readfirstlane_b32 s11, v2
	s_waitcnt lgkmcnt(0)
	v_readfirstlane_b32 s19, v1
	s_mul_i32 s21, s8, s11
	s_mul_hi_u32 s24, s8, s19
	s_mul_i32 s23, s10, s19
	s_add_i32 s21, s24, s21
	s_add_i32 s21, s21, s23
	s_mul_i32 s25, s8, s19
	s_mul_hi_u32 s23, s19, s21
	s_mul_i32 s24, s19, s21
	s_mul_hi_u32 s19, s19, s25
	s_add_u32 s19, s19, s24
	s_addc_u32 s23, 0, s23
	s_mul_hi_u32 s26, s11, s25
	s_mul_i32 s25, s11, s25
	s_add_u32 s19, s19, s25
	s_mul_hi_u32 s24, s11, s21
	s_addc_u32 s19, s23, s26
	s_addc_u32 s23, s24, 0
	s_mul_i32 s21, s11, s21
	s_add_u32 s19, s19, s21
	s_addc_u32 s21, 0, s23
	v_add_co_u32_e32 v1, vcc, s19, v1
	s_cmp_lg_u64 vcc, 0
	s_addc_u32 s11, s11, s21
	v_readfirstlane_b32 s21, v1
	s_mul_i32 s19, s8, s11
	s_mul_hi_u32 s23, s8, s21
	s_add_i32 s19, s23, s19
	s_mul_i32 s10, s10, s21
	s_add_i32 s19, s19, s10
	s_mul_i32 s8, s8, s21
	s_mul_hi_u32 s23, s11, s8
	s_mul_i32 s24, s11, s8
	s_mul_i32 s26, s21, s19
	s_mul_hi_u32 s8, s21, s8
	s_mul_hi_u32 s25, s21, s19
	s_add_u32 s8, s8, s26
	s_addc_u32 s21, 0, s25
	s_add_u32 s8, s8, s24
	s_mul_hi_u32 s10, s11, s19
	s_addc_u32 s8, s21, s23
	s_addc_u32 s10, s10, 0
	s_mul_i32 s19, s11, s19
	s_add_u32 s8, s8, s19
	s_addc_u32 s10, 0, s10
	v_add_co_u32_e32 v1, vcc, s8, v1
	s_cmp_lg_u64 vcc, 0
	s_addc_u32 s19, s11, s10
	s_ashr_i32 s10, s9, 31
	s_add_u32 s8, s5, s10
	s_mov_b32 s11, s10
	s_addc_u32 s9, s9, s10
	s_xor_b64 s[8:9], s[8:9], s[10:11]
	v_readfirstlane_b32 s23, v1
	s_mul_i32 s21, s8, s19
	s_mul_hi_u32 s24, s8, s23
	s_mul_hi_u32 s11, s8, s19
	s_add_u32 s21, s24, s21
	s_addc_u32 s11, 0, s11
	s_mul_hi_u32 s25, s9, s23
	s_mul_i32 s23, s9, s23
	s_add_u32 s21, s21, s23
	s_mul_hi_u32 s24, s9, s19
	s_addc_u32 s11, s11, s25
	s_addc_u32 s21, s24, 0
	s_mul_i32 s19, s9, s19
	s_add_u32 s11, s11, s19
	s_addc_u32 s19, 0, s21
	s_mul_i32 s19, s22, s19
	s_mul_hi_u32 s24, s22, s11
	s_add_i32 s24, s24, s19
	s_mul_i32 s19, s22, s11
	v_mov_b32_e32 v1, s19
	s_add_u32 s21, s11, 1
	s_add_u32 s23, s11, 2
	v_sub_co_u32_e32 v1, vcc, s8, v1
	s_cmp_lg_u64 vcc, 0
	s_subb_u32 s8, s9, s24
	v_subrev_co_u32_e32 v2, vcc, s22, v1
	s_cmp_lg_u64 vcc, 0
	s_subb_u32 s9, s8, 0
	v_cmp_le_u32_e32 vcc, s22, v2
	s_cmp_eq_u32 s9, 0
	v_mov_b32_e32 v3, s21
	v_cndmask_b32_e64 v2, 0, -1, vcc
	s_cselect_b64 vcc, -1, 0
	v_cndmask_b32_e32 v2, -1, v2, vcc
	v_mov_b32_e32 v4, s23
	v_cmp_ne_u32_e32 vcc, 0, v2
	s_cmp_eq_u32 s8, 0
	s_nop 0
	v_cndmask_b32_e32 v2, v3, v4, vcc
	v_cmp_le_u32_e32 vcc, s22, v1
	v_mov_b32_e32 v3, s11
	s_nop 0
	v_cndmask_b32_e64 v1, 0, -1, vcc
	s_cselect_b64 vcc, -1, 0
	v_cndmask_b32_e32 v1, -1, v1, vcc
	v_cmp_ne_u32_e32 vcc, 0, v1
	s_nop 1
	v_cndmask_b32_e32 v1, v3, v2, vcc
	v_xor_b32_e32 v1, s10, v1
	v_subrev_co_u32_e32 v2, vcc, s10, v1
	s_cbranch_execnz .LBB45_6
.LBB45_5:
	v_cvt_f32_u32_e32 v1, s22
	s_sub_i32 s6, 0, s22
	s_mov_b32 s7, 0
	v_rcp_iflag_f32_e32 v1, v1
	s_nop 0
	v_mul_f32_e32 v1, 0x4f7ffffe, v1
	v_cvt_u32_f32_e32 v1, v1
	s_nop 0
	v_readfirstlane_b32 s8, v1
	s_mul_i32 s6, s6, s8
	s_mul_hi_u32 s6, s8, s6
	s_add_i32 s8, s8, s6
	s_mul_hi_u32 s6, s5, s8
	s_mul_i32 s9, s6, s22
	s_sub_i32 s5, s5, s9
	s_add_i32 s8, s6, 1
	s_sub_i32 s9, s5, s22
	s_cmp_ge_u32 s5, s22
	s_cselect_b32 s6, s8, s6
	s_cselect_b32 s5, s9, s5
	s_add_i32 s8, s6, 1
	s_cmp_ge_u32 s5, s22
	s_cselect_b32 s6, s8, s6
	v_mov_b64_e32 v[2:3], s[6:7]
.LBB45_6:
	s_waitcnt lgkmcnt(0)
	s_mul_hi_u32 s5, s20, s16
	s_add_i32 s5, s5, s20
	v_mul_hi_u32 v1, v2, s16
	s_lshr_b32 s19, s5, s17
	v_add_u32_e32 v1, v1, v2
	s_mul_i32 s5, s19, s18
	v_lshrrev_b32_e32 v1, s17, v1
	s_cmp_eq_u32 s5, s20
	v_cmp_eq_u32_e64 s[6:7], s19, v1
	v_mul_lo_u32 v1, v1, s18
	v_cmp_eq_u32_e32 vcc, s20, v2
	s_cselect_b64 s[10:11], -1, 0
	v_cmp_ne_u32_e64 s[8:9], v1, v2
	s_and_b64 s[6:7], s[6:7], s[8:9]
	s_or_b64 s[8:9], vcc, s[10:11]
	s_or_b64 s[6:7], s[8:9], s[6:7]
	s_and_b64 vcc, exec, s[6:7]
	s_cbranch_vccnz .LBB45_24
; %bb.7:
	s_load_dwordx8 s[24:31], s[0:1], 0x20
	s_load_dword s5, s[0:1], 0x40
	s_waitcnt lgkmcnt(0)
	s_mul_hi_u32 s6, s20, s24
	s_add_i32 s6, s6, s20
	s_lshr_b32 s7, s6, s25
	s_mul_i32 s6, s7, s26
	s_sub_i32 s6, s20, s6
	s_mul_hi_u32 s8, s6, s27
	s_add_i32 s8, s6, s8
	s_lshr_b32 s23, s8, s28
	s_mul_i32 s8, s23, s29
	s_sub_i32 s6, s6, s8
	;; [unrolled: 5-line block ×3, first 2 shown]
	s_mul_hi_u32 s6, s5, s16
	s_add_i32 s5, s5, s6
	s_lshr_b32 s24, s5, s17
	s_lshl_b32 s5, s24, 2
	s_lshl_b32 s25, s8, 1
	s_add_i32 s5, s5, s3
	s_cmp_lt_i32 s5, s12
	s_cselect_b64 s[8:9], -1, 0
	s_add_i32 s25, s25, s4
	s_cmp_lt_i32 s25, s14
	s_cselect_b64 s[10:11], -1, 0
	s_and_b64 s[8:9], s[8:9], s[10:11]
	s_andn2_b64 vcc, exec, s[8:9]
	s_mov_b32 s6, 0
	s_cbranch_vccnz .LBB45_24
; %bb.8:
	s_load_dwordx4 s[8:11], s[0:1], 0x0
	s_lshl_b32 s21, s3, 1
	s_lshl_b32 s0, s22, 5
	s_mov_b32 s1, s6
	s_add_i32 s21, s21, s4
	s_lshl_b64 s[0:1], s[0:1], 2
	s_waitcnt lgkmcnt(0)
	s_add_u32 s4, s10, s0
	s_mul_i32 s0, s7, s12
	s_addc_u32 s5, s11, s1
	s_mul_i32 s23, s23, s14
	s_add_i32 s0, s0, s3
	s_mul_i32 s0, s0, s13
	s_add_i32 s3, s25, s23
	s_mul_i32 s1, s13, s24
	s_add_i32 s0, s3, s0
	s_mulk_i32 s1, 0x1c0
	s_mulk_i32 s0, 0x70
	s_add_i32 s1, s1, s0
	v_add_u32_e32 v4, s1, v0
	v_mov_b32_e32 v2, s8
	v_mov_b32_e32 v3, s9
	v_ashrrev_i32_e32 v5, 31, v4
	v_lshl_add_u64 v[2:3], v[4:5], 2, v[2:3]
	global_load_dword v5, v[2:3], off
	s_lshl_b32 s0, s2, 3
	s_add_i32 s0, s21, s0
	s_ashr_i32 s1, s0, 31
	s_lshl_b64 s[0:1], s[0:1], 3
	s_add_u32 s0, s10, s0
	s_addc_u32 s1, s11, s1
	s_add_i32 s12, s2, -1
	s_mul_i32 s2, s21, 0x70
	v_add_u32_e32 v4, s2, v0
	v_cvt_f32_u32_e32 v0, s22
	v_cvt_f32_ubyte0_e32 v1, 0
	s_load_dwordx2 s[0:1], s[0:1], 0x0
	v_mov_b32_e32 v8, s20
	v_fmac_f32_e32 v0, 0x4f800000, v1
	v_rcp_f32_e32 v0, v0
	v_cvt_f32_u32_e32 v1, s22
	s_waitcnt lgkmcnt(0)
	v_mov_b32_e32 v6, s1
	v_mov_b32_e32 v7, s0
	v_mul_f32_e32 v0, 0x5f7ffffc, v0
	v_rcp_iflag_f32_e32 v1, v1
	v_mul_f32_e32 v9, 0x2f800000, v0
	v_trunc_f32_e32 v10, v9
	v_fmac_f32_e32 v0, 0xcf800000, v10
	v_cvt_u32_f32_e32 v9, v0
	v_mul_f32_e32 v0, 0x4f7ffffe, v1
	v_cvt_u32_f32_e32 v10, v10
	v_cvt_u32_f32_e32 v11, v0
	s_mov_b32 s8, 0x3fb8aa3b
	s_mov_b32 s9, 0xc2ce8ed0
	;; [unrolled: 1-line block ×4, first 2 shown]
	v_mov_b32_e32 v12, 0x7f800000
	s_mul_hi_i32 s7, s12, s15
	s_cmp_lg_u64 s[6:7], 0
	s_mul_i32 s2, s12, s15
	s_cbranch_scc0 .LBB45_15
.LBB45_9:
	s_sub_u32 s0, 0, s22
	v_readfirstlane_b32 s3, v9
	v_readfirstlane_b32 s24, v10
	s_subb_u32 s1, 0, 0
	s_mul_hi_u32 s23, s0, s3
	s_mul_i32 s25, s0, s24
	s_mul_i32 s20, s1, s3
	s_add_i32 s23, s23, s25
	s_add_i32 s23, s23, s20
	s_mul_i32 s26, s0, s3
	s_mul_hi_u32 s20, s3, s23
	s_mul_i32 s25, s3, s23
	s_mul_hi_u32 s3, s3, s26
	s_add_u32 s3, s3, s25
	s_addc_u32 s20, 0, s20
	s_mul_hi_u32 s27, s24, s26
	s_mul_i32 s26, s24, s26
	s_add_u32 s3, s3, s26
	s_mul_hi_u32 s25, s24, s23
	s_addc_u32 s3, s20, s27
	s_addc_u32 s20, s25, 0
	s_mul_i32 s23, s24, s23
	s_add_u32 s3, s3, s23
	s_addc_u32 s20, 0, s20
	v_add_co_u32_e32 v0, vcc, s3, v9
	s_cmp_lg_u64 vcc, 0
	s_addc_u32 s3, s24, s20
	v_readfirstlane_b32 s23, v0
	s_mul_i32 s20, s0, s3
	s_mul_hi_u32 s24, s0, s23
	s_add_i32 s20, s24, s20
	s_mul_i32 s1, s1, s23
	s_add_i32 s20, s20, s1
	s_mul_i32 s0, s0, s23
	s_mul_hi_u32 s24, s3, s0
	s_mul_i32 s25, s3, s0
	s_mul_i32 s27, s23, s20
	s_mul_hi_u32 s0, s23, s0
	s_mul_hi_u32 s26, s23, s20
	s_add_u32 s0, s0, s27
	s_addc_u32 s23, 0, s26
	s_add_u32 s0, s0, s25
	s_mul_hi_u32 s1, s3, s20
	s_addc_u32 s0, s23, s24
	s_addc_u32 s1, s1, 0
	s_mul_i32 s20, s3, s20
	s_add_u32 s0, s0, s20
	s_addc_u32 s1, 0, s1
	v_add_co_u32_e32 v0, vcc, s0, v0
	s_cmp_lg_u64 vcc, 0
	s_addc_u32 s3, s3, s1
	s_ashr_i32 s0, s7, 31
	s_add_u32 s24, s2, s0
	s_mov_b32 s1, s0
	s_addc_u32 s25, s7, s0
	s_xor_b64 s[24:25], s[24:25], s[0:1]
	v_readfirstlane_b32 s20, v0
	s_mul_i32 s7, s24, s3
	s_mul_hi_u32 s23, s24, s20
	s_mul_hi_u32 s1, s24, s3
	s_add_u32 s7, s23, s7
	s_addc_u32 s1, 0, s1
	s_mul_hi_u32 s26, s25, s20
	s_mul_i32 s20, s25, s20
	s_add_u32 s7, s7, s20
	s_mul_hi_u32 s23, s25, s3
	s_addc_u32 s1, s1, s26
	s_addc_u32 s7, s23, 0
	s_mul_i32 s3, s25, s3
	s_add_u32 s1, s1, s3
	s_addc_u32 s3, 0, s7
	s_mul_i32 s3, s22, s3
	s_mul_hi_u32 s23, s22, s1
	s_add_i32 s23, s23, s3
	s_mul_i32 s3, s22, s1
	v_mov_b32_e32 v0, s3
	s_add_u32 s7, s1, 1
	s_add_u32 s20, s1, 2
	v_sub_co_u32_e32 v0, vcc, s24, v0
	s_cmp_lg_u64 vcc, 0
	s_subb_u32 s3, s25, s23
	v_subrev_co_u32_e32 v1, vcc, s22, v0
	s_cmp_lg_u64 vcc, 0
	s_subb_u32 s23, s3, 0
	v_cmp_le_u32_e32 vcc, s22, v1
	s_cmp_eq_u32 s23, 0
	v_mov_b32_e32 v13, s7
	v_cndmask_b32_e64 v1, 0, -1, vcc
	s_cselect_b64 vcc, -1, 0
	v_cndmask_b32_e32 v1, -1, v1, vcc
	v_mov_b32_e32 v14, s20
	v_cmp_ne_u32_e32 vcc, 0, v1
	s_cmp_eq_u32 s3, 0
	s_nop 0
	v_cndmask_b32_e32 v1, v13, v14, vcc
	v_cmp_le_u32_e32 vcc, s22, v0
	v_mov_b32_e32 v13, s1
	s_nop 0
	v_cndmask_b32_e64 v0, 0, -1, vcc
	s_cselect_b64 vcc, -1, 0
	v_cndmask_b32_e32 v0, -1, v0, vcc
	v_cmp_ne_u32_e32 vcc, 0, v0
	s_nop 1
	v_cndmask_b32_e32 v0, v13, v1, vcc
	v_xor_b32_e32 v0, s0, v0
	v_subrev_co_u32_e32 v0, vcc, s0, v0
	s_cbranch_execnz .LBB45_11
.LBB45_10:
	s_sub_i32 s0, 0, s22
	v_mul_lo_u32 v0, s0, v11
	v_mul_hi_u32 v0, v11, v0
	v_add_u32_e32 v0, v11, v0
	v_mul_hi_u32 v0, s2, v0
	v_mul_lo_u32 v13, v0, s22
	v_sub_u32_e32 v13, s2, v13
	v_add_u32_e32 v1, 1, v0
	v_subrev_u32_e32 v14, s22, v13
	v_cmp_le_u32_e32 vcc, s22, v13
	s_nop 1
	v_cndmask_b32_e32 v13, v13, v14, vcc
	v_cndmask_b32_e32 v0, v0, v1, vcc
	v_add_u32_e32 v1, 1, v0
	v_cmp_le_u32_e32 vcc, s22, v13
	s_nop 1
	v_cndmask_b32_e32 v0, v0, v1, vcc
.LBB45_11:
	v_cmp_ne_u32_e32 vcc, v8, v0
	s_cbranch_vccz .LBB45_14
; %bb.12:
	s_add_i32 s0, s12, s22
	s_lshl_b32 s0, s0, 3
	v_mul_hi_u32 v1, v0, s16
	s_add_i32 s0, s0, s21
	s_mov_b32 s1, s6
	v_add_u32_e32 v1, v1, v0
	s_lshl_b64 s[0:1], s[0:1], 3
	v_lshrrev_b32_e32 v1, s17, v1
	s_add_u32 s2, s10, s0
	v_mul_lo_u32 v13, v1, s18
	s_addc_u32 s3, s11, s1
	v_cmp_eq_u32_e32 vcc, v13, v0
	v_cmp_gt_u32_e64 s[0:1], s19, v1
	s_or_b64 s[0:1], s[0:1], vcc
	s_and_b64 vcc, exec, s[0:1]
	s_cbranch_vccnz .LBB45_16
; %bb.13:
	s_add_i32 s7, s12, -1
	s_mov_b64 s[0:1], 0
	s_branch .LBB45_17
.LBB45_14:
                                        ; implicit-def: $sgpr0_sgpr1
                                        ; implicit-def: $vgpr14
                                        ; implicit-def: $vgpr1
                                        ; implicit-def: $vgpr13
                                        ; implicit-def: $sgpr7
                                        ; implicit-def: $vgpr0
	s_branch .LBB45_18
.LBB45_15:
                                        ; implicit-def: $vgpr0_vgpr1
	s_branch .LBB45_10
.LBB45_16:
	s_mov_b64 s[0:1], -1
	s_mov_b32 s7, s12
	v_mov_b32_e32 v0, v8
.LBB45_17:
	s_mul_i32 s20, s12, 0x380
	v_add_u32_e32 v14, s20, v4
	v_ashrrev_i32_e32 v15, 31, v14
	v_lshl_add_u64 v[14:15], v[14:15], 2, s[4:5]
	global_load_dword v14, v[14:15], off
	s_load_dwordx2 s[2:3], s[2:3], 0x0
	v_max_f32_e32 v1, v7, v7
	s_waitcnt lgkmcnt(0)
	v_max_f32_e64 v13, s2, s2
	v_max_f32_e32 v1, v1, v13
	v_sub_f32_e32 v13, v7, v1
	v_sub_f32_e32 v15, s2, v1
	v_mul_f32_e32 v16, 0x3fb8aa3b, v13
	v_mul_f32_e32 v17, 0x3fb8aa3b, v15
	v_fma_f32 v18, v13, s8, -v16
	v_rndne_f32_e32 v19, v16
	v_fma_f32 v20, v15, s8, -v17
	v_rndne_f32_e32 v21, v17
	v_fmac_f32_e32 v18, 0x32a5705f, v13
	v_sub_f32_e32 v16, v16, v19
	v_fmac_f32_e32 v20, 0x32a5705f, v15
	v_sub_f32_e32 v17, v17, v21
	v_add_f32_e32 v16, v16, v18
	v_cvt_i32_f32_e32 v19, v19
	v_add_f32_e32 v17, v17, v20
	v_exp_f32_e32 v16, v16
	v_cvt_i32_f32_e32 v21, v21
	v_exp_f32_e32 v17, v17
	v_cmp_ngt_f32_e32 vcc, s9, v13
	v_ldexp_f32 v16, v16, v19
	v_ldexp_f32 v17, v17, v21
	v_cndmask_b32_e32 v16, 0, v16, vcc
	v_cmp_ngt_f32_e32 vcc, s9, v15
	s_nop 1
	v_cndmask_b32_e32 v17, 0, v17, vcc
	v_cmp_nlt_f32_e32 vcc, s13, v13
	s_nop 1
	v_cndmask_b32_e32 v16, v12, v16, vcc
	v_cmp_nlt_f32_e32 vcc, s13, v15
	s_nop 1
	v_cndmask_b32_e32 v17, v12, v17, vcc
	v_cmp_le_f32_e32 vcc, s14, v13
	s_nop 1
	v_cndmask_b32_e32 v16, 0, v16, vcc
	v_cmp_le_f32_e32 vcc, s14, v15
	s_nop 1
	v_cndmask_b32_e32 v15, 0, v17, vcc
	v_mul_f32_e32 v13, s3, v15
	v_fmac_f32_e32 v13, v6, v16
	s_waitcnt vmcnt(0)
	v_mul_f32_e32 v14, v14, v15
	v_fmac_f32_e32 v14, v5, v16
	s_cbranch_execnz .LBB45_19
.LBB45_18:
	s_add_i32 s7, s12, -1
	s_mov_b64 s[0:1], 0
	v_mov_b32_e32 v0, v8
	v_mov_b32_e32 v13, v6
	;; [unrolled: 1-line block ×3, first 2 shown]
	s_waitcnt vmcnt(0)
	v_mov_b32_e32 v14, v5
.LBB45_19:
	s_andn2_b64 vcc, exec, s[0:1]
	s_cbranch_vccz .LBB45_23
; %bb.20:
	v_mov_b32_e32 v8, v0
	s_mov_b32 s12, s7
	v_mov_b32_e32 v6, v13
	v_mov_b32_e32 v7, v1
	s_waitcnt vmcnt(0)
	v_mov_b32_e32 v5, v14
	s_mul_hi_i32 s7, s12, s15
	s_cmp_lg_u64 s[6:7], 0
	s_mul_i32 s2, s12, s15
	s_cbranch_scc1 .LBB45_9
	s_branch .LBB45_15
.LBB45_21:
                                        ; implicit-def: $sgpr20_sgpr21
	s_load_dwordx4 s[16:19], s[0:1], 0x44
	s_branch .LBB45_2
.LBB45_22:
                                        ; implicit-def: $vgpr2_vgpr3
	s_branch .LBB45_5
.LBB45_23:
	v_div_scale_f32 v0, s[0:1], v13, v13, v14
	v_rcp_f32_e32 v1, v0
	v_div_scale_f32 v4, vcc, v14, v13, v14
	s_waitcnt vmcnt(0)
	v_fma_f32 v5, -v0, v1, 1.0
	v_fmac_f32_e32 v1, v5, v1
	v_mul_f32_e32 v5, v4, v1
	v_fma_f32 v6, -v0, v5, v4
	v_fmac_f32_e32 v5, v6, v1
	v_fma_f32 v0, -v0, v5, v4
	v_div_fmas_f32 v0, v0, v1, v5
	v_div_fixup_f32 v0, v0, v13, v14
	global_store_dword v[2:3], v0, off
.LBB45_24:
	s_endpgm
	.section	.rodata,"a",@progbits
	.p2align	6, 0x0
	.amdhsa_kernel _ZL33flash_attn_stream_k_fixup_generalILi112ELi4ELi2EEvPfPK15HIP_vector_typeIfLj2EEiiiiS1_IjLj3EES5_S5_S5_
		.amdhsa_group_segment_fixed_size 0
		.amdhsa_private_segment_fixed_size 0
		.amdhsa_kernarg_size 336
		.amdhsa_user_sgpr_count 2
		.amdhsa_user_sgpr_dispatch_ptr 0
		.amdhsa_user_sgpr_queue_ptr 0
		.amdhsa_user_sgpr_kernarg_segment_ptr 1
		.amdhsa_user_sgpr_dispatch_id 0
		.amdhsa_user_sgpr_kernarg_preload_length 0
		.amdhsa_user_sgpr_kernarg_preload_offset 0
		.amdhsa_user_sgpr_private_segment_size 0
		.amdhsa_uses_dynamic_stack 0
		.amdhsa_enable_private_segment 0
		.amdhsa_system_sgpr_workgroup_id_x 1
		.amdhsa_system_sgpr_workgroup_id_y 1
		.amdhsa_system_sgpr_workgroup_id_z 1
		.amdhsa_system_sgpr_workgroup_info 0
		.amdhsa_system_vgpr_workitem_id 0
		.amdhsa_next_free_vgpr 22
		.amdhsa_next_free_sgpr 32
		.amdhsa_accum_offset 24
		.amdhsa_reserve_vcc 1
		.amdhsa_float_round_mode_32 0
		.amdhsa_float_round_mode_16_64 0
		.amdhsa_float_denorm_mode_32 3
		.amdhsa_float_denorm_mode_16_64 3
		.amdhsa_dx10_clamp 1
		.amdhsa_ieee_mode 1
		.amdhsa_fp16_overflow 0
		.amdhsa_tg_split 0
		.amdhsa_exception_fp_ieee_invalid_op 0
		.amdhsa_exception_fp_denorm_src 0
		.amdhsa_exception_fp_ieee_div_zero 0
		.amdhsa_exception_fp_ieee_overflow 0
		.amdhsa_exception_fp_ieee_underflow 0
		.amdhsa_exception_fp_ieee_inexact 0
		.amdhsa_exception_int_div_zero 0
	.end_amdhsa_kernel
	.section	.text._ZL33flash_attn_stream_k_fixup_generalILi112ELi4ELi2EEvPfPK15HIP_vector_typeIfLj2EEiiiiS1_IjLj3EES5_S5_S5_,"axG",@progbits,_ZL33flash_attn_stream_k_fixup_generalILi112ELi4ELi2EEvPfPK15HIP_vector_typeIfLj2EEiiiiS1_IjLj3EES5_S5_S5_,comdat
.Lfunc_end45:
	.size	_ZL33flash_attn_stream_k_fixup_generalILi112ELi4ELi2EEvPfPK15HIP_vector_typeIfLj2EEiiiiS1_IjLj3EES5_S5_S5_, .Lfunc_end45-_ZL33flash_attn_stream_k_fixup_generalILi112ELi4ELi2EEvPfPK15HIP_vector_typeIfLj2EEiiiiS1_IjLj3EES5_S5_S5_
                                        ; -- End function
	.section	.AMDGPU.csdata,"",@progbits
; Kernel info:
; codeLenInByte = 2868
; NumSgprs: 38
; NumVgprs: 22
; NumAgprs: 0
; TotalNumVgprs: 22
; ScratchSize: 0
; MemoryBound: 0
; FloatMode: 240
; IeeeMode: 1
; LDSByteSize: 0 bytes/workgroup (compile time only)
; SGPRBlocks: 4
; VGPRBlocks: 2
; NumSGPRsForWavesPerEU: 38
; NumVGPRsForWavesPerEU: 22
; AccumOffset: 24
; Occupancy: 8
; WaveLimiterHint : 0
; COMPUTE_PGM_RSRC2:SCRATCH_EN: 0
; COMPUTE_PGM_RSRC2:USER_SGPR: 2
; COMPUTE_PGM_RSRC2:TRAP_HANDLER: 0
; COMPUTE_PGM_RSRC2:TGID_X_EN: 1
; COMPUTE_PGM_RSRC2:TGID_Y_EN: 1
; COMPUTE_PGM_RSRC2:TGID_Z_EN: 1
; COMPUTE_PGM_RSRC2:TIDIG_COMP_CNT: 0
; COMPUTE_PGM_RSRC3_GFX90A:ACCUM_OFFSET: 5
; COMPUTE_PGM_RSRC3_GFX90A:TG_SPLIT: 0
	.section	.text._ZL15flash_attn_tileILi112ELi112ELi2ELi2ELb0EEvPKcS1_S1_S1_S1_PKiPfP15HIP_vector_typeIfLj2EEffffjfiS5_IjLj3EEiiiiiiiiiiiliiliiiiil,"axG",@progbits,_ZL15flash_attn_tileILi112ELi112ELi2ELi2ELb0EEvPKcS1_S1_S1_S1_PKiPfP15HIP_vector_typeIfLj2EEffffjfiS5_IjLj3EEiiiiiiiiiiiliiliiiiil,comdat
	.globl	_ZL15flash_attn_tileILi112ELi112ELi2ELi2ELb0EEvPKcS1_S1_S1_S1_PKiPfP15HIP_vector_typeIfLj2EEffffjfiS5_IjLj3EEiiiiiiiiiiiliiliiiiil ; -- Begin function _ZL15flash_attn_tileILi112ELi112ELi2ELi2ELb0EEvPKcS1_S1_S1_S1_PKiPfP15HIP_vector_typeIfLj2EEffffjfiS5_IjLj3EEiiiiiiiiiiiliiliiiiil
	.p2align	8
	.type	_ZL15flash_attn_tileILi112ELi112ELi2ELi2ELb0EEvPKcS1_S1_S1_S1_PKiPfP15HIP_vector_typeIfLj2EEffffjfiS5_IjLj3EEiiiiiiiiiiiliiliiiiil,@function
_ZL15flash_attn_tileILi112ELi112ELi2ELi2ELb0EEvPKcS1_S1_S1_S1_PKiPfP15HIP_vector_typeIfLj2EEffffjfiS5_IjLj3EEiiiiiiiiiiiliiliiiiil: ; @_ZL15flash_attn_tileILi112ELi112ELi2ELi2ELb0EEvPKcS1_S1_S1_S1_PKiPfP15HIP_vector_typeIfLj2EEffffjfiS5_IjLj3EEiiiiiiiiiiiliiliiiiil
; %bb.0:
	s_load_dwordx4 s[24:27], s[0:1], 0x5c
	s_load_dwordx2 s[28:29], s[0:1], 0x80
	s_mov_b64 s[30:31], 0
	s_waitcnt lgkmcnt(0)
	s_lshr_b32 s5, s27, 31
	s_add_i32 s5, s27, s5
	s_ashr_i32 s5, s5, 1
	v_cvt_f32_u32_e32 v1, s5
	s_sub_i32 s6, 0, s5
	v_rcp_iflag_f32_e32 v1, v1
	s_nop 0
	v_mul_f32_e32 v1, 0x4f7ffffe, v1
	v_cvt_u32_f32_e32 v1, v1
	s_nop 0
	v_readfirstlane_b32 s7, v1
	s_mul_i32 s6, s6, s7
	s_mul_hi_u32 s6, s7, s6
	s_add_i32 s7, s7, s6
	s_mul_hi_u32 s6, s4, s7
	s_mul_i32 s7, s6, s5
	s_sub_i32 s7, s4, s7
	s_add_i32 s8, s6, 1
	s_sub_i32 s9, s7, s5
	s_cmp_ge_u32 s7, s5
	s_cselect_b32 s6, s8, s6
	s_cselect_b32 s7, s9, s7
	s_add_i32 s8, s6, 1
	s_cmp_ge_u32 s7, s5
	s_cselect_b32 s33, s8, s6
	s_abs_i32 s5, s29
	v_cvt_f32_u32_e32 v1, s5
	s_sub_i32 s8, 0, s5
	s_abs_i32 s7, s27
	s_lshl_b32 s6, s4, 1
	v_rcp_iflag_f32_e32 v1, v1
	s_xor_b32 s4, s27, s29
	s_ashr_i32 s4, s4, 31
	v_mul_f32_e32 v1, 0x4f7ffffe, v1
	v_cvt_u32_f32_e32 v1, v1
	s_nop 0
	v_readfirstlane_b32 s9, v1
	s_mul_i32 s8, s8, s9
	s_mul_hi_u32 s8, s9, s8
	s_add_i32 s9, s9, s8
	s_mul_hi_u32 s8, s7, s9
	s_mul_i32 s9, s8, s5
	s_sub_i32 s7, s7, s9
	s_add_i32 s10, s8, 1
	s_sub_i32 s9, s7, s5
	s_cmp_ge_u32 s7, s5
	s_cselect_b32 s8, s10, s8
	s_cselect_b32 s7, s9, s7
	s_add_i32 s9, s8, 1
	s_cmp_ge_u32 s7, s5
	s_cselect_b32 s5, s9, s8
	s_xor_b32 s5, s5, s4
	s_sub_i32 s35, s5, s4
	s_abs_i32 s34, s35
	v_cvt_f32_u32_e32 v1, s34
	s_load_dwordx16 s[8:23], s[0:1], 0x0
	s_load_dwordx2 s[4:5], s[0:1], 0xb8
	s_mul_i32 s7, s33, s27
	v_rcp_iflag_f32_e32 v1, v1
	s_waitcnt lgkmcnt(0)
	s_cmp_eq_u64 s[14:15], 0
	v_mul_f32_e32 v1, 0x4f7ffffe, v1
	v_cvt_u32_f32_e32 v1, v1
	s_nop 0
	v_readfirstlane_b32 s36, v1
	s_cbranch_scc1 .LBB46_2
; %bb.1:
	s_abs_i32 s4, s4
	v_cvt_f32_u32_e32 v1, s4
	s_sub_i32 s38, 0, s4
	s_abs_i32 s37, s33
	s_ashr_i32 s29, s33, 31
	v_rcp_iflag_f32_e32 v1, v1
	s_load_dwordx2 s[30:31], s[0:1], 0xc8
	v_mul_f32_e32 v1, 0x4f7ffffe, v1
	v_cvt_u32_f32_e32 v1, v1
	s_nop 0
	v_readfirstlane_b32 s39, v1
	s_mul_i32 s38, s38, s39
	s_mul_hi_u32 s38, s39, s38
	s_add_i32 s39, s39, s38
	s_mul_hi_u32 s38, s37, s39
	s_mul_i32 s38, s38, s4
	s_sub_i32 s37, s37, s38
	s_sub_i32 s38, s37, s4
	s_cmp_ge_u32 s37, s4
	s_cselect_b32 s37, s38, s37
	s_sub_i32 s38, s37, s4
	s_cmp_ge_u32 s37, s4
	s_cselect_b32 s4, s38, s37
	s_xor_b32 s4, s4, s29
	s_sub_i32 s4, s4, s29
	s_ashr_i32 s29, s4, 31
	s_waitcnt lgkmcnt(0)
	s_mul_i32 s31, s4, s31
	s_mul_hi_u32 s37, s4, s30
	s_add_i32 s31, s37, s31
	s_mul_i32 s29, s29, s30
	s_add_i32 s31, s31, s29
	s_mul_i32 s4, s4, s30
	s_add_u32 s30, s14, s4
	s_addc_u32 s31, s15, s31
.LBB46_2:
	v_bfe_u32 v1, v0, 10, 10
	s_lshl_b32 s4, s2, 1
	v_lshrrev_b32_e32 v2, 1, v1
	v_and_b32_e32 v40, 0x3ff, v0
	v_add_u32_e32 v66, s4, v2
	s_sub_i32 s29, s6, s7
	v_and_b32_e32 v41, 1, v1
	v_cmp_gt_u32_e64 s[14:15], 28, v40
	v_mul_hi_u32 v0, s24, v66
	s_and_saveexec_b64 s[6:7], s[14:15]
	s_cbranch_execz .LBB46_4
; %bb.3:
	s_load_dwordx4 s[40:43], s[0:1], 0x70
	v_add_u32_e32 v4, v66, v0
	v_lshrrev_b32_e32 v4, s25, v4
	v_mul_lo_u32 v4, v4, s26
	v_sub_u32_e32 v7, v66, v4
	s_waitcnt lgkmcnt(0)
	s_mul_i32 s4, s33, s42
	s_ashr_i32 s37, s4, 31
	s_mul_i32 s24, s29, s41
	s_add_u32 s4, s8, s4
	s_addc_u32 s9, s9, s37
	s_ashr_i32 s37, s24, 31
	s_add_u32 s8, s4, s24
	v_mov_b32_e32 v2, s41
	s_addc_u32 s9, s9, s37
	s_ashr_i32 s4, s41, 31
	v_alignbit_b32 v2, s4, v2, 2
	s_lshr_b32 s4, s4, 2
	v_mul_lo_u32 v3, s4, v41
	s_ashr_i32 s4, s40, 31
	v_mov_b32_e32 v4, s40
	v_alignbit_b32 v4, s4, v4, 2
	v_mad_u64_u32 v[4:5], s[38:39], v4, v7, 0
	v_mov_b32_e32 v6, v5
	s_lshr_b32 s4, s4, 2
	v_mul_lo_u32 v2, v2, v41
	v_mad_u64_u32 v[6:7], s[38:39], s4, v7, v[6:7]
	v_mov_b32_e32 v5, v6
	v_lshl_add_u64 v[2:3], v[2:3], 2, s[8:9]
	v_lshl_add_u64 v[2:3], v[4:5], 2, v[2:3]
	v_lshlrev_b32_e32 v4, 4, v40
	v_mov_b32_e32 v5, 0
	v_lshl_add_u64 v[2:3], v[2:3], 0, v[4:5]
	global_load_dwordx4 v[2:5], v[2:3], off
	s_load_dword s4, s[0:1], 0x40
	v_mul_u32_u24_e32 v6, 56, v1
	s_waitcnt vmcnt(0) lgkmcnt(0)
	v_pk_mul_f32 v[2:3], v[2:3], s[4:5] op_sel_hi:[1,0]
	v_pk_mul_f32 v[4:5], v[4:5], s[4:5] op_sel_hi:[1,0]
	v_cvt_f16_f32_e32 v7, v3
	v_cvt_f16_f32_e32 v3, v5
	;; [unrolled: 1-line block ×4, first 2 shown]
	v_lshlrev_b32_e32 v5, 1, v40
	v_add_lshl_u32 v5, v6, v5, 2
	v_pack_b32_f16 v3, v4, v3
	v_pack_b32_f16 v2, v2, v7
	ds_write_b64 v5, v[2:3] offset:4160
.LBB46_4:
	s_or_b64 exec, exec, s[6:7]
	s_cmp_eq_u64 s[18:19], 0
	s_waitcnt lgkmcnt(0)
	s_barrier
	s_cbranch_scc1 .LBB46_6
; %bb.5:
	s_load_dword s4, s[0:1], 0xd0
	s_mov_b32 s7, 0
	s_waitcnt lgkmcnt(0)
	s_mul_i32 s4, s4, s33
	s_add_i32 s6, s4, s2
	s_lshl_b64 s[6:7], s[6:7], 2
	s_add_u32 s6, s18, s6
	s_addc_u32 s7, s19, s7
	s_load_dword s28, s[6:7], 0x0
.LBB46_6:
	s_lshl_b32 s2, s3, 5
	s_waitcnt lgkmcnt(0)
	s_cmp_lt_i32 s2, s28
	v_mbcnt_lo_u32_b32 v2, -1, 0
	s_cbranch_scc1 .LBB46_8
; %bb.7:
	v_mbcnt_hi_u32_b32 v51, -1, v2
	v_and_b32_e32 v3, 0x60, v51
	s_mov_b32 s4, 0
	v_add_u32_e32 v81, 32, v3
	v_xor_b32_e32 v82, 16, v51
	v_xor_b32_e32 v83, 8, v51
	;; [unrolled: 1-line block ×5, first 2 shown]
	s_mov_b64 s[6:7], 0
	s_mov_b32 s8, 0xfeffffff
	s_branch .LBB46_9
.LBB46_8:
	s_mov_b64 s[6:7], -1
                                        ; implicit-def: $sgpr8
                                        ; implicit-def: $sgpr4
                                        ; implicit-def: $vgpr51
                                        ; implicit-def: $vgpr81
                                        ; implicit-def: $vgpr82
                                        ; implicit-def: $vgpr83
                                        ; implicit-def: $vgpr84
                                        ; implicit-def: $vgpr85
                                        ; implicit-def: $vgpr86
.LBB46_9:
	s_andn2_b64 vcc, exec, s[6:7]
	v_mov_b32_e32 v64, s8
	v_mov_b32_e32 v87, s4
	;; [unrolled: 1-line block ×4, first 2 shown]
	s_cbranch_vccnz .LBB46_29
; %bb.10:
	s_load_dwordx2 s[6:7], s[0:1], 0x8c
	s_load_dwordx4 s[40:43], s[0:1], 0x98
	s_sub_i32 s4, 0, s34
	s_mul_i32 s4, s4, s36
	s_mul_hi_u32 s4, s36, s4
	s_ashr_i32 s24, s35, 31
	s_waitcnt lgkmcnt(0)
	s_ashr_i32 s37, s6, 2
	s_ashr_i32 s6, s5, 1
	;; [unrolled: 1-line block ×3, first 2 shown]
	s_mul_i32 s35, s33, s41
	s_mul_hi_u32 s38, s33, s40
	s_abs_i32 s18, s29
	s_add_i32 s36, s36, s4
	s_add_i32 s35, s38, s35
	s_mul_i32 s38, s5, s40
	s_mul_hi_u32 s4, s18, s36
	s_ashr_i32 s19, s29, 31
	s_ashr_i32 s36, s42, 2
	s_add_i32 s35, s35, s38
	s_mul_i32 s38, s33, s40
	s_add_u32 s10, s10, s38
	s_addc_u32 s11, s11, s35
	s_xor_b32 s19, s19, s24
	s_mul_i32 s24, s4, s34
	s_sub_i32 s18, s18, s24
	s_add_i32 s24, s4, 1
	s_sub_i32 s35, s18, s34
	s_cmp_ge_u32 s18, s34
	s_cselect_b32 s4, s24, s4
	s_cselect_b32 s18, s35, s18
	s_add_i32 s24, s4, 1
	s_cmp_ge_u32 s18, s34
	s_load_dwordx2 s[8:9], s[0:1], 0xa8
	s_cselect_b32 s4, s24, s4
	s_xor_b32 s4, s4, s19
	s_sub_i32 s4, s4, s19
	s_mul_i32 s7, s4, s7
	s_ashr_i32 s18, s7, 31
	s_add_u32 s38, s10, s7
	s_waitcnt lgkmcnt(0)
	s_mul_i32 s7, s33, s9
	s_mul_hi_u32 s9, s33, s8
	s_addc_u32 s39, s11, s18
	s_add_i32 s7, s9, s7
	s_mul_i32 s5, s5, s8
	s_add_i32 s7, s7, s5
	s_mul_i32 s5, s33, s8
	v_add_u32_e32 v0, v66, v0
	s_add_u32 s5, s12, s5
	s_mul_i32 s4, s4, s43
	v_lshrrev_b32_e32 v0, s25, v0
	s_addc_u32 s7, s13, s7
	s_ashr_i32 s8, s4, 31
	v_mul_lo_u32 v0, v0, s26
	s_add_u32 s40, s5, s4
	v_sub_u32_e32 v0, v66, v0
	s_addc_u32 s41, s7, s8
	v_lshrrev_b32_e32 v4, 1, v40
	v_lshlrev_b32_e32 v6, 2, v40
	s_movk_i32 s10, 0xe0
	v_mov_b32_e32 v8, 0x1040
	v_mad_u64_u32 v[50:51], s[6:7], v0, s6, v[40:41]
	v_mov_b32_e32 v0, 0x13c0
	v_lshl_add_u32 v5, v1, 4, v4
	v_lshrrev_b32_e32 v4, 2, v40
	v_mad_u32_u24 v69, v1, s10, v8
	v_and_b32_e32 v8, 4, v6
	v_lshl_add_u32 v73, v1, 6, v0
	v_lshrrev_b32_e32 v0, 3, v40
	v_lshl_add_u32 v3, v1, 5, v40
	v_lshl_add_u32 v7, v1, 3, v4
	v_lshlrev_b32_e32 v10, 2, v8
	v_lshl_add_u32 v1, v1, 2, v0
	v_mul_u32_u24_e32 v0, 0xe0, v5
	v_and_b32_e32 v4, 12, v6
	v_or_b32_e32 v0, v0, v10
	v_lshlrev_b32_e32 v9, 2, v4
	v_add_u32_e32 v76, 0xc0, v0
	v_mul_u32_u24_e32 v0, 0xe0, v7
	s_movk_i32 s11, 0x80
	v_cmp_gt_u32_e32 vcc, 32, v3
	v_mul_lo_u32 v46, s37, v3
	v_lshlrev_b32_e32 v3, 7, v5
	v_add3_u32 v77, v0, v9, s11
	v_and_b32_e32 v0, 28, v6
	v_mov_b32_e32 v43, 0
	v_mul_lo_u32 v44, s37, v7
	v_lshlrev_b32_e32 v70, 7, v40
	v_or3_b32 v72, v3, v10, 64
	v_mul_lo_u32 v48, s37, v5
	v_mul_lo_u32 v52, s36, v1
	;; [unrolled: 1-line block ×4, first 2 shown]
	v_lshlrev_b32_e32 v3, 2, v0
	s_add_u32 s18, s0, 0xd0
	v_lshlrev_b32_e32 v58, 2, v4
	v_cmp_gt_u32_e64 s[4:5], 32, v5
	v_lshl_or_b32 v65, v7, 7, v9
	v_ashrrev_i32_e32 v45, 31, v44
	v_or_b32_e32 v71, 0x60, v70
	v_ashrrev_i32_e32 v47, 31, v46
	v_ashrrev_i32_e32 v49, 31, v48
	v_lshl_add_u32 v74, v40, 1, v73
	v_cmp_gt_u32_e64 s[6:7], 16, v5
	v_cmp_gt_u32_e64 s[8:9], 16, v7
	v_ashrrev_i32_e32 v53, 31, v52
	v_lshlrev_b32_e32 v75, 3, v40
	v_ashrrev_i32_e32 v55, 31, v54
	v_ashrrev_i32_e32 v57, 31, v56
	v_mad_u32_u24 v78, v1, s10, v3
	s_addc_u32 s19, s1, 0
	v_mov_b32_e32 v6, 0xfeffffff
	v_mbcnt_hi_u32_b32 v51, -1, v2
	s_mov_b32 s42, 0x3fb8aa3b
	s_mov_b32 s43, 0xc2ce8ed0
	;; [unrolled: 1-line block ×3, first 2 shown]
	v_lshlrev_b32_e32 v42, 2, v0
	v_lshlrev_b32_e32 v60, 2, v8
	v_mov_b32_e32 v62, v58
	v_mov_b32_e32 v63, v43
	;; [unrolled: 1-line block ×6, first 2 shown]
.LBB46_11:                              ; =>This Inner Loop Header: Depth=1
	s_mul_hi_i32 s11, s2, s37
	s_mul_i32 s10, s2, s37
	s_lshl_b64 s[10:11], s[10:11], 2
	s_add_u32 s10, s38, s10
	s_addc_u32 s11, s39, s11
	v_lshl_add_u64 v[2:3], v[46:47], 2, s[10:11]
	s_and_saveexec_b64 s[12:13], vcc
	s_cbranch_execz .LBB46_13
; %bb.12:                               ;   in Loop: Header=BB46_11 Depth=1
	global_load_dwordx4 v[8:11], v[2:3], off offset:96
	s_waitcnt vmcnt(0)
	ds_write_b128 v71, v[8:11]
.LBB46_13:                              ;   in Loop: Header=BB46_11 Depth=1
	s_or_b64 exec, exec, s[12:13]
	v_lshl_add_u64 v[0:1], v[48:49], 2, s[10:11]
	s_and_saveexec_b64 s[12:13], s[4:5]
	s_cbranch_execz .LBB46_15
; %bb.14:                               ;   in Loop: Header=BB46_11 Depth=1
	v_mov_b32_e32 v61, v43
	v_lshl_add_u64 v[4:5], v[0:1], 0, v[60:61]
	global_load_dwordx4 v[8:11], v[4:5], off offset:64
	s_waitcnt vmcnt(0)
	ds_write_b128 v72, v[8:11]
.LBB46_15:                              ;   in Loop: Header=BB46_11 Depth=1
	s_or_b64 exec, exec, s[12:13]
	v_lshl_add_u64 v[4:5], v[44:45], 2, s[10:11]
	v_lshl_add_u64 v[4:5], v[4:5], 0, v[62:63]
	global_load_dwordx4 v[8:11], v[4:5], off
	v_mov_b32_e32 v7, 0
	s_waitcnt vmcnt(0)
	ds_write_b128 v65, v[8:11]
	s_waitcnt lgkmcnt(0)
	s_barrier
	ds_read_b128 v[8:11], v70
	ds_read_b128 v[12:15], v69
	s_waitcnt lgkmcnt(0)
	;;#ASMSTART
	v_dot2_f32_f16 v7, v8, v12, v7
	;;#ASMEND
	s_nop 0
	;;#ASMSTART
	v_dot2_f32_f16 v7, v9, v13, v7
	;;#ASMEND
	s_nop 0
	;;#ASMSTART
	v_dot2_f32_f16 v7, v10, v14, v7
	;;#ASMEND
	s_nop 0
	;;#ASMSTART
	v_dot2_f32_f16 v7, v11, v15, v7
	;;#ASMEND
	ds_read_b128 v[8:11], v70 offset:16
	ds_read_b128 v[12:15], v69 offset:16
	s_waitcnt lgkmcnt(0)
	;;#ASMSTART
	v_dot2_f32_f16 v7, v8, v12, v7
	;;#ASMEND
	s_nop 0
	;;#ASMSTART
	v_dot2_f32_f16 v7, v9, v13, v7
	;;#ASMEND
	s_nop 0
	;;#ASMSTART
	v_dot2_f32_f16 v7, v10, v14, v7
	;;#ASMEND
	s_nop 0
	;;#ASMSTART
	v_dot2_f32_f16 v7, v11, v15, v7
	;;#ASMEND
	ds_read_b128 v[8:11], v70 offset:32
	ds_read_b128 v[12:15], v69 offset:32
	;; [unrolled: 18-line block ×6, first 2 shown]
	s_waitcnt lgkmcnt(0)
	;;#ASMSTART
	v_dot2_f32_f16 v7, v8, v12, v7
	;;#ASMEND
	s_nop 0
	;;#ASMSTART
	v_dot2_f32_f16 v7, v9, v13, v7
	;;#ASMEND
	s_nop 0
	;; [unrolled: 4-line block ×3, first 2 shown]
	;;#ASMSTART
	v_dot2_f32_f16 v7, v11, v15, v7
	;;#ASMEND
	s_barrier
	s_and_saveexec_b64 s[10:11], vcc
	s_cbranch_execz .LBB46_17
; %bb.16:                               ;   in Loop: Header=BB46_11 Depth=1
	global_load_dwordx4 v[8:11], v[2:3], off offset:208
	s_waitcnt vmcnt(0)
	ds_write_b128 v71, v[8:11]
.LBB46_17:                              ;   in Loop: Header=BB46_11 Depth=1
	s_or_b64 exec, exec, s[10:11]
	s_and_saveexec_b64 s[10:11], s[4:5]
	s_cbranch_execz .LBB46_19
; %bb.18:                               ;   in Loop: Header=BB46_11 Depth=1
	v_mov_b32_e32 v61, v43
	v_lshl_add_u64 v[0:1], v[0:1], 0, v[60:61]
	global_load_dwordx4 v[0:3], v[0:1], off offset:176
	s_waitcnt vmcnt(0)
	ds_write_b128 v72, v[0:3]
.LBB46_19:                              ;   in Loop: Header=BB46_11 Depth=1
	s_or_b64 exec, exec, s[10:11]
	global_load_dwordx4 v[0:3], v[4:5], off offset:112
	v_add_u32_e32 v4, s2, v50
	v_ashrrev_i32_e32 v5, 31, v4
	v_lshl_add_u64 v[4:5], v[4:5], 1, s[30:31]
	v_xor_b32_e32 v82, 16, v51
	v_xor_b32_e32 v83, 8, v51
	;; [unrolled: 1-line block ×5, first 2 shown]
	s_waitcnt vmcnt(0)
	ds_write_b128 v65, v[0:3]
	s_waitcnt lgkmcnt(0)
	s_barrier
	ds_read_b128 v[0:3], v70
	ds_read_b128 v[8:11], v69 offset:112
	s_waitcnt lgkmcnt(0)
	;;#ASMSTART
	v_dot2_f32_f16 v7, v0, v8, v7
	;;#ASMEND
	s_nop 0
	;;#ASMSTART
	v_dot2_f32_f16 v7, v1, v9, v7
	;;#ASMEND
	s_nop 0
	;;#ASMSTART
	v_dot2_f32_f16 v7, v2, v10, v7
	;;#ASMEND
	s_nop 0
	;;#ASMSTART
	v_dot2_f32_f16 v7, v3, v11, v7
	;;#ASMEND
	ds_read_b128 v[0:3], v70 offset:16
	ds_read_b128 v[8:11], v69 offset:128
	s_waitcnt lgkmcnt(0)
	;;#ASMSTART
	v_dot2_f32_f16 v7, v0, v8, v7
	;;#ASMEND
	s_nop 0
	;;#ASMSTART
	v_dot2_f32_f16 v7, v1, v9, v7
	;;#ASMEND
	s_nop 0
	;;#ASMSTART
	v_dot2_f32_f16 v7, v2, v10, v7
	;;#ASMEND
	s_nop 0
	;;#ASMSTART
	v_dot2_f32_f16 v7, v3, v11, v7
	;;#ASMEND
	ds_read_b128 v[0:3], v70 offset:32
	;; [unrolled: 18-line block ×6, first 2 shown]
	ds_read_b128 v[8:11], v69 offset:208
	s_waitcnt lgkmcnt(0)
	;;#ASMSTART
	v_dot2_f32_f16 v7, v0, v8, v7
	;;#ASMEND
	s_nop 0
	;;#ASMSTART
	v_dot2_f32_f16 v7, v1, v9, v7
	;;#ASMEND
	v_max_f32_e32 v1, v6, v6
	;;#ASMSTART
	v_dot2_f32_f16 v7, v2, v10, v7
	;;#ASMEND
	v_and_b32_e32 v2, 0x60, v51
	;;#ASMSTART
	v_dot2_f32_f16 v7, v3, v11, v7
	;;#ASMEND
	flat_load_ushort v0, v[4:5]
	v_add_u32_e32 v81, 32, v2
	v_cmp_lt_i32_e64 s[10:11], v82, v81
	s_waitcnt lgkmcnt(0)
	s_barrier
	v_cndmask_b32_e64 v2, v51, v82, s[10:11]
	v_lshlrev_b32_e32 v2, 2, v2
	v_cmp_lt_i32_e64 s[10:11], v83, v81
	s_waitcnt vmcnt(0)
	v_cvt_f32_f16_e32 v0, v0
	v_add_f32_e32 v0, v7, v0
	v_add_f32_e32 v3, 0x40051340, v0
	v_max_f32_e32 v1, v1, v3
	ds_bpermute_b32 v2, v2, v1
	v_cndmask_b32_e64 v3, v51, v83, s[10:11]
	v_lshlrev_b32_e32 v3, 2, v3
	v_cmp_lt_i32_e64 s[10:11], v84, v81
	s_waitcnt lgkmcnt(0)
	v_max_f32_e32 v2, v2, v2
	v_max_f32_e32 v1, v1, v2
	ds_bpermute_b32 v2, v3, v1
	v_cndmask_b32_e64 v3, v51, v84, s[10:11]
	v_lshlrev_b32_e32 v3, 2, v3
	v_cmp_lt_i32_e64 s[10:11], v85, v81
	s_waitcnt lgkmcnt(0)
	v_max_f32_e32 v2, v2, v2
	v_max_f32_e32 v1, v1, v2
	ds_bpermute_b32 v2, v3, v1
	v_cndmask_b32_e64 v3, v51, v85, s[10:11]
	v_lshlrev_b32_e32 v3, 2, v3
	v_cmp_lt_i32_e64 s[10:11], v86, v81
	s_waitcnt lgkmcnt(0)
	v_max_f32_e32 v2, v2, v2
	v_max_f32_e32 v1, v1, v2
	ds_bpermute_b32 v2, v3, v1
	v_cndmask_b32_e64 v3, v51, v86, s[10:11]
	v_lshlrev_b32_e32 v3, 2, v3
	s_mul_hi_i32 s11, s2, s36
	s_mul_i32 s10, s2, s36
	s_waitcnt lgkmcnt(0)
	v_max_f32_e32 v2, v2, v2
	v_max_f32_e32 v1, v1, v2
	ds_bpermute_b32 v2, v3, v1
	s_lshl_b64 s[12:13], s[10:11], 2
	s_add_u32 s12, s40, s12
	s_addc_u32 s13, s41, s13
	s_waitcnt lgkmcnt(0)
	v_max_f32_e32 v2, v2, v2
	v_max_f32_e32 v64, v1, v2
	v_sub_f32_e32 v0, v0, v64
	v_mul_f32_e32 v1, 0x3fb8aa3b, v0
	v_fma_f32 v2, v0, s42, -v1
	v_rndne_f32_e32 v3, v1
	v_fmac_f32_e32 v2, 0x32a5705f, v0
	v_sub_f32_e32 v1, v1, v3
	v_add_f32_e32 v1, v1, v2
	v_cvt_i32_f32_e32 v3, v3
	v_exp_f32_e32 v1, v1
	v_cmp_ngt_f32_e64 s[10:11], s43, v0
	v_ldexp_f32 v1, v1, v3
	s_nop 0
	v_cndmask_b32_e64 v1, 0, v1, s[10:11]
	v_cmp_nlt_f32_e64 s[10:11], s44, v0
	s_nop 1
	v_cndmask_b32_e64 v87, v79, v1, s[10:11]
	v_cvt_f16_f32_e32 v0, v87
	ds_write_b16 v74, v0
	s_and_saveexec_b64 s[10:11], s[6:7]
	s_cbranch_execz .LBB46_21
; %bb.20:                               ;   in Loop: Header=BB46_11 Depth=1
	v_lshl_add_u64 v[0:1], v[54:55], 2, s[12:13]
	v_mov_b32_e32 v61, v43
	v_lshl_add_u64 v[0:1], v[0:1], 0, v[60:61]
	global_load_dwordx4 v[0:3], v[0:1], off offset:192
	s_waitcnt vmcnt(0)
	ds_write_b128 v76, v[0:3]
.LBB46_21:                              ;   in Loop: Header=BB46_11 Depth=1
	s_or_b64 exec, exec, s[10:11]
	s_and_saveexec_b64 s[10:11], s[8:9]
	s_cbranch_execz .LBB46_23
; %bb.22:                               ;   in Loop: Header=BB46_11 Depth=1
	v_lshl_add_u64 v[0:1], v[56:57], 2, s[12:13]
	v_mov_b32_e32 v59, v43
	v_lshl_add_u64 v[0:1], v[0:1], 0, v[58:59]
	global_load_dwordx4 v[0:3], v[0:1], off offset:128
	s_waitcnt vmcnt(0)
	ds_write_b128 v77, v[0:3]
.LBB46_23:                              ;   in Loop: Header=BB46_11 Depth=1
	s_or_b64 exec, exec, s[10:11]
	v_lshl_add_u64 v[0:1], v[52:53], 2, s[12:13]
	v_lshl_add_u64 v[0:1], v[0:1], 0, v[42:43]
	global_load_dwordx4 v[0:3], v[0:1], off
	v_sub_f32_e32 v89, v6, v64
	v_add_u32_e32 v88, 0x800, v75
	s_or_b32 s24, s2, 16
	s_mul_hi_i32 s25, s24, s36
	s_mul_i32 s24, s24, s36
	s_lshl_b64 s[24:25], s[24:25], 2
	s_add_u32 s24, s40, s24
	v_cmp_ngt_f32_e64 s[10:11], s43, v89
	v_cmp_nlt_f32_e64 s[12:13], s44, v89
	s_addc_u32 s25, s41, s25
	s_waitcnt vmcnt(0)
	ds_write_b128 v78, v[0:3]
	s_waitcnt lgkmcnt(0)
	s_barrier
	ds_read2_b64 v[36:39], v75 offset1:28
	ds_read_b128 v[16:19], v73
	ds_read_b128 v[0:3], v73 offset:16
	ds_read2_b64 v[32:35], v75 offset0:56 offset1:84
	ds_read2_b64 v[28:31], v75 offset0:112 offset1:140
	;; [unrolled: 1-line block ×7, first 2 shown]
	s_waitcnt lgkmcnt(0)
	s_barrier
	s_and_saveexec_b64 s[34:35], s[6:7]
	s_cbranch_execz .LBB46_25
; %bb.24:                               ;   in Loop: Header=BB46_11 Depth=1
	v_lshl_add_u64 v[90:91], v[54:55], 2, s[24:25]
	v_mov_b32_e32 v61, v43
	v_lshl_add_u64 v[90:91], v[90:91], 0, v[60:61]
	global_load_dwordx4 v[90:93], v[90:91], off offset:192
	s_waitcnt vmcnt(0)
	ds_write_b128 v76, v[90:93]
.LBB46_25:                              ;   in Loop: Header=BB46_11 Depth=1
	s_or_b64 exec, exec, s[34:35]
	s_and_saveexec_b64 s[34:35], s[8:9]
	s_cbranch_execz .LBB46_27
; %bb.26:                               ;   in Loop: Header=BB46_11 Depth=1
	v_lshl_add_u64 v[90:91], v[56:57], 2, s[24:25]
	v_mov_b32_e32 v59, v43
	v_lshl_add_u64 v[90:91], v[90:91], 0, v[58:59]
	global_load_dwordx4 v[90:93], v[90:91], off offset:128
	s_waitcnt vmcnt(0)
	ds_write_b128 v77, v[90:93]
.LBB46_27:                              ;   in Loop: Header=BB46_11 Depth=1
	s_or_b64 exec, exec, s[34:35]
	v_lshl_add_u64 v[90:91], v[52:53], 2, s[24:25]
	v_lshl_add_u64 v[90:91], v[90:91], 0, v[42:43]
	global_load_dwordx4 v[90:93], v[90:91], off
	v_mul_f32_e32 v59, 0x3fb8aa3b, v89
	v_fma_f32 v61, v89, s42, -v59
	v_rndne_f32_e32 v94, v59
	v_fmac_f32_e32 v61, 0x32a5705f, v89
	v_sub_f32_e32 v59, v59, v94
	v_add_f32_e32 v59, v59, v61
	v_cvt_i32_f32_e32 v89, v94
	v_exp_f32_e32 v59, v59
	v_pk_mul_f16 v36, v36, v16 op_sel_hi:[1,0]
	v_pk_mul_f16 v37, v37, v16 op_sel_hi:[1,0]
	v_ldexp_f32 v59, v59, v89
	v_cndmask_b32_e64 v59, 0, v59, s[10:11]
	v_cndmask_b32_e64 v59, v79, v59, s[12:13]
	v_cvt_f16_f32_e32 v61, v59
	v_fmac_f32_e32 v87, v80, v59
	v_pk_fma_f16 v36, v68, v61, v36 op_sel_hi:[1,0,1]
	v_pk_fma_f16 v37, v67, v61, v37 op_sel_hi:[1,0,1]
	v_pk_fma_f16 v36, v38, v16, v36 op_sel:[0,1,0]
	v_pk_fma_f16 v16, v39, v16, v37 op_sel:[0,1,0]
	v_pk_fma_f16 v32, v32, v17, v36 op_sel_hi:[1,0,1]
	v_pk_fma_f16 v16, v33, v17, v16 op_sel_hi:[1,0,1]
	v_pk_fma_f16 v32, v34, v17, v32 op_sel:[0,1,0]
	v_pk_fma_f16 v16, v35, v17, v16 op_sel:[0,1,0]
	;; [unrolled: 4-line block ×8, first 2 shown]
	s_waitcnt vmcnt(0)
	ds_write_b128 v78, v[90:93]
	s_waitcnt lgkmcnt(0)
	s_barrier
	ds_read2_b64 v[8:11], v75 offset1:28
	ds_read_b128 v[12:15], v73 offset:32
	ds_read_b128 v[16:19], v73 offset:48
	ds_read2_b64 v[20:23], v75 offset0:56 offset1:84
	ds_read2_b64 v[24:27], v75 offset0:112 offset1:140
	;; [unrolled: 1-line block ×7, first 2 shown]
	s_waitcnt lgkmcnt(8)
	v_pk_fma_f16 v1, v8, v12, v1 op_sel_hi:[1,0,1]
	v_pk_fma_f16 v0, v9, v12, v0 op_sel_hi:[1,0,1]
	v_pk_fma_f16 v1, v10, v12, v1 op_sel:[0,1,0]
	v_pk_fma_f16 v0, v11, v12, v0 op_sel:[0,1,0]
	s_waitcnt lgkmcnt(6)
	v_pk_fma_f16 v1, v20, v13, v1 op_sel_hi:[1,0,1]
	v_pk_fma_f16 v0, v21, v13, v0 op_sel_hi:[1,0,1]
	v_pk_fma_f16 v1, v22, v13, v1 op_sel:[0,1,0]
	v_pk_fma_f16 v0, v23, v13, v0 op_sel:[0,1,0]
	;; [unrolled: 5-line block ×4, first 2 shown]
	s_waitcnt lgkmcnt(0)
	s_barrier
	s_load_dword s10, s[18:19], 0x4
	v_pk_fma_f16 v1, v32, v16, v1 op_sel_hi:[1,0,1]
	v_pk_fma_f16 v0, v33, v16, v0 op_sel_hi:[1,0,1]
	v_pk_fma_f16 v1, v34, v16, v1 op_sel:[0,1,0]
	v_pk_fma_f16 v0, v35, v16, v0 op_sel:[0,1,0]
	v_pk_fma_f16 v1, v36, v17, v1 op_sel_hi:[1,0,1]
	v_pk_fma_f16 v0, v37, v17, v0 op_sel_hi:[1,0,1]
	v_pk_fma_f16 v1, v38, v17, v1 op_sel:[0,1,0]
	v_pk_fma_f16 v0, v39, v17, v0 op_sel:[0,1,0]
	v_pk_fma_f16 v1, v90, v18, v1 op_sel_hi:[1,0,1]
	v_pk_fma_f16 v0, v91, v18, v0 op_sel_hi:[1,0,1]
	s_waitcnt lgkmcnt(0)
	s_lshl_b32 s10, s10, 5
	v_pk_fma_f16 v1, v92, v18, v1 op_sel:[0,1,0]
	v_pk_fma_f16 v0, v93, v18, v0 op_sel:[0,1,0]
	s_add_i32 s2, s10, s2
	v_pk_fma_f16 v1, v94, v19, v1 op_sel_hi:[1,0,1]
	v_pk_fma_f16 v0, v95, v19, v0 op_sel_hi:[1,0,1]
	s_cmp_lt_i32 s2, s28
	v_pk_fma_f16 v68, v96, v19, v1 op_sel:[0,1,0]
	v_pk_fma_f16 v67, v97, v19, v0 op_sel:[0,1,0]
	s_cbranch_scc0 .LBB46_29
; %bb.28:                               ;   in Loop: Header=BB46_11 Depth=1
	v_mov_b32_e32 v6, v64
	v_mov_b32_e32 v80, v87
	s_branch .LBB46_11
.LBB46_29:
	v_cmp_lt_i32_e32 vcc, v82, v81
	s_cmp_eq_u64 s[16:17], 0
	s_cselect_b64 s[4:5], -1, 0
	v_cndmask_b32_e32 v0, v51, v82, vcc
	v_lshlrev_b32_e32 v0, 2, v0
	ds_bpermute_b32 v0, v0, v87
	v_cmp_lt_i32_e32 vcc, v83, v81
	s_cmp_lg_u32 s3, 0
	s_cselect_b64 s[6:7], -1, 0
	v_cndmask_b32_e32 v1, v51, v83, vcc
	v_lshlrev_b32_e32 v1, 2, v1
	s_waitcnt lgkmcnt(0)
	v_add_f32_e32 v0, v87, v0
	ds_bpermute_b32 v1, v1, v0
	v_cmp_lt_i32_e32 vcc, v84, v81
	s_or_b64 s[4:5], s[6:7], s[4:5]
	s_waitcnt lgkmcnt(0)
	v_add_f32_e32 v0, v0, v1
	v_cndmask_b32_e32 v2, v51, v84, vcc
	v_lshlrev_b32_e32 v2, 2, v2
	ds_bpermute_b32 v1, v2, v0
	v_cmp_lt_i32_e32 vcc, v85, v81
	s_waitcnt lgkmcnt(0)
	v_add_f32_e32 v0, v0, v1
	v_cndmask_b32_e32 v2, v51, v85, vcc
	v_lshlrev_b32_e32 v2, 2, v2
	ds_bpermute_b32 v1, v2, v0
	v_cmp_lt_i32_e32 vcc, v86, v81
	s_waitcnt lgkmcnt(0)
	v_add_f32_e32 v0, v0, v1
	v_cndmask_b32_e32 v2, v51, v86, vcc
	v_lshlrev_b32_e32 v2, 2, v2
	ds_bpermute_b32 v1, v2, v0
	s_and_b64 vcc, exec, s[4:5]
	s_waitcnt lgkmcnt(0)
	v_add_f32_e32 v65, v0, v1
	s_cbranch_vccnz .LBB46_32
; %bb.30:
	v_add_u32_e32 v0, s29, v41
	v_ashrrev_i32_e32 v1, 31, v0
	v_lshl_add_u64 v[0:1], v[0:1], 2, s[16:17]
	global_load_dword v1, v[0:1], off
	v_max_f32_e32 v0, v64, v64
	s_mov_b32 s2, 0x3fb8aa3b
	s_mov_b32 s4, 0xc2ce8ed0
	s_waitcnt vmcnt(0)
	v_max_f32_e32 v2, v1, v1
	v_max_f32_e32 v0, v0, v2
	v_sub_f32_e32 v2, v64, v0
	v_sub_f32_e32 v1, v1, v0
	v_mul_f32_e32 v3, 0x3fb8aa3b, v2
	v_mul_f32_e32 v4, 0x3fb8aa3b, v1
	v_fma_f32 v5, v2, s2, -v3
	v_rndne_f32_e32 v6, v3
	v_fma_f32 v7, v1, s2, -v4
	v_rndne_f32_e32 v8, v4
	v_fmac_f32_e32 v5, 0x32a5705f, v2
	v_sub_f32_e32 v3, v3, v6
	v_fmac_f32_e32 v7, 0x32a5705f, v1
	v_sub_f32_e32 v4, v4, v8
	v_add_f32_e32 v3, v3, v5
	v_cvt_i32_f32_e32 v6, v6
	v_add_f32_e32 v4, v4, v7
	v_exp_f32_e32 v3, v3
	v_cvt_i32_f32_e32 v8, v8
	v_exp_f32_e32 v4, v4
	v_cmp_ngt_f32_e32 vcc, s4, v2
	v_ldexp_f32 v3, v3, v6
	s_mov_b32 s2, 0x42b17218
	v_ldexp_f32 v4, v4, v8
	v_cndmask_b32_e32 v3, 0, v3, vcc
	v_cmp_ngt_f32_e32 vcc, s4, v1
	v_mov_b32_e32 v5, 0x7f800000
	s_nop 0
	v_cndmask_b32_e32 v4, 0, v4, vcc
	v_cmp_nlt_f32_e32 vcc, s2, v2
	s_nop 1
	v_cndmask_b32_e32 v2, v5, v3, vcc
	v_cvt_f16_f32_e32 v3, v2
	v_cmp_nlt_f32_e32 vcc, s2, v1
	v_pk_mul_f16 v68, v3, v68 op_sel_hi:[0,1]
	s_nop 0
	v_cndmask_b32_e32 v1, v5, v4, vcc
	v_fmac_f32_e32 v1, v65, v2
	v_pk_mul_f16 v67, v3, v67 op_sel_hi:[0,1]
	v_mov_b64_e32 v[64:65], v[0:1]
	v_cmp_gt_i32_e32 vcc, s26, v66
	s_and_saveexec_b64 s[4:5], vcc
	s_cbranch_execnz .LBB46_33
.LBB46_31:
	s_endpgm
.LBB46_32:
	v_mov_b32_e32 v1, v65
	v_cmp_gt_i32_e32 vcc, s26, v66
	s_and_saveexec_b64 s[4:5], vcc
	s_cbranch_execz .LBB46_31
.LBB46_33:
	s_load_dword s2, s[0:1], 0xd4
	s_mul_i32 s33, s33, s26
	v_add_u32_e32 v0, s33, v66
	v_mul_lo_u32 v0, v0, s27
	v_add3_u32 v0, s29, v41, v0
	s_waitcnt lgkmcnt(0)
	s_cmp_lg_u32 s2, 1
	v_mul_lo_u32 v0, s2, v0
	s_cselect_b64 s[0:1], -1, 0
	v_add_u32_e32 v0, s3, v0
	s_and_saveexec_b64 s[2:3], s[14:15]
	s_cbranch_execz .LBB46_35
; %bb.34:
	v_div_scale_f32 v4, s[4:5], v1, v1, 1.0
	v_rcp_f32_e32 v5, v4
	v_cvt_f32_f16_sdwa v9, v68 dst_sel:DWORD dst_unused:UNUSED_PAD src0_sel:WORD_1
	v_cvt_f32_f16_sdwa v11, v67 dst_sel:DWORD dst_unused:UNUSED_PAD src0_sel:WORD_1
	v_cvt_f32_f16_e32 v10, v67
	v_fma_f32 v6, -v4, v5, 1.0
	v_fmac_f32_e32 v5, v6, v5
	v_div_scale_f32 v6, vcc, 1.0, v1, 1.0
	v_mul_f32_e32 v7, v6, v5
	v_fma_f32 v8, -v4, v7, v6
	v_fmac_f32_e32 v7, v8, v5
	v_fma_f32 v4, -v4, v7, v6
	v_div_fmas_f32 v4, v4, v5, v7
	v_cvt_f32_f16_e32 v8, v68
	v_div_fixup_f32 v1, v4, v1, 1.0
	s_movk_i32 s4, 0x70
	v_cndmask_b32_e64 v4, v1, 1.0, s[0:1]
	v_mul_lo_u32 v1, v0, s4
	v_mov_b32_e32 v2, s20
	v_mov_b32_e32 v3, s21
	v_lshl_add_u32 v6, v40, 2, v1
	v_mov_b32_e32 v7, 0
	v_lshl_add_u64 v[6:7], v[6:7], 2, v[2:3]
	v_pk_mul_f32 v[2:3], v[4:5], v[8:9] op_sel_hi:[0,1]
	v_pk_mul_f32 v[4:5], v[4:5], v[10:11] op_sel_hi:[0,1]
	global_store_dwordx4 v[6:7], v[2:5], off
.LBB46_35:
	s_or_b64 exec, exec, s[2:3]
	v_cmp_eq_u32_e32 vcc, 0, v40
	s_and_b64 s[0:1], vcc, s[0:1]
	s_and_b64 exec, exec, s[0:1]
	s_cbranch_execz .LBB46_31
; %bb.36:
	v_mov_b32_e32 v2, s22
	v_mov_b32_e32 v3, s23
	v_ashrrev_i32_e32 v1, 31, v0
	v_lshl_add_u64 v[0:1], v[0:1], 3, v[2:3]
	global_store_dwordx2 v[0:1], v[64:65], off
	s_endpgm
	.section	.rodata,"a",@progbits
	.p2align	6, 0x0
	.amdhsa_kernel _ZL15flash_attn_tileILi112ELi112ELi2ELi2ELb0EEvPKcS1_S1_S1_S1_PKiPfP15HIP_vector_typeIfLj2EEffffjfiS5_IjLj3EEiiiiiiiiiiiliiliiiiil
		.amdhsa_group_segment_fixed_size 5312
		.amdhsa_private_segment_fixed_size 0
		.amdhsa_kernarg_size 464
		.amdhsa_user_sgpr_count 2
		.amdhsa_user_sgpr_dispatch_ptr 0
		.amdhsa_user_sgpr_queue_ptr 0
		.amdhsa_user_sgpr_kernarg_segment_ptr 1
		.amdhsa_user_sgpr_dispatch_id 0
		.amdhsa_user_sgpr_kernarg_preload_length 0
		.amdhsa_user_sgpr_kernarg_preload_offset 0
		.amdhsa_user_sgpr_private_segment_size 0
		.amdhsa_uses_dynamic_stack 0
		.amdhsa_enable_private_segment 0
		.amdhsa_system_sgpr_workgroup_id_x 1
		.amdhsa_system_sgpr_workgroup_id_y 1
		.amdhsa_system_sgpr_workgroup_id_z 1
		.amdhsa_system_sgpr_workgroup_info 0
		.amdhsa_system_vgpr_workitem_id 1
		.amdhsa_next_free_vgpr 98
		.amdhsa_next_free_sgpr 45
		.amdhsa_accum_offset 100
		.amdhsa_reserve_vcc 1
		.amdhsa_float_round_mode_32 0
		.amdhsa_float_round_mode_16_64 0
		.amdhsa_float_denorm_mode_32 3
		.amdhsa_float_denorm_mode_16_64 3
		.amdhsa_dx10_clamp 1
		.amdhsa_ieee_mode 1
		.amdhsa_fp16_overflow 0
		.amdhsa_tg_split 0
		.amdhsa_exception_fp_ieee_invalid_op 0
		.amdhsa_exception_fp_denorm_src 0
		.amdhsa_exception_fp_ieee_div_zero 0
		.amdhsa_exception_fp_ieee_overflow 0
		.amdhsa_exception_fp_ieee_underflow 0
		.amdhsa_exception_fp_ieee_inexact 0
		.amdhsa_exception_int_div_zero 0
	.end_amdhsa_kernel
	.section	.text._ZL15flash_attn_tileILi112ELi112ELi2ELi2ELb0EEvPKcS1_S1_S1_S1_PKiPfP15HIP_vector_typeIfLj2EEffffjfiS5_IjLj3EEiiiiiiiiiiiliiliiiiil,"axG",@progbits,_ZL15flash_attn_tileILi112ELi112ELi2ELi2ELb0EEvPKcS1_S1_S1_S1_PKiPfP15HIP_vector_typeIfLj2EEffffjfiS5_IjLj3EEiiiiiiiiiiiliiliiiiil,comdat
.Lfunc_end46:
	.size	_ZL15flash_attn_tileILi112ELi112ELi2ELi2ELb0EEvPKcS1_S1_S1_S1_PKiPfP15HIP_vector_typeIfLj2EEffffjfiS5_IjLj3EEiiiiiiiiiiiliiliiiiil, .Lfunc_end46-_ZL15flash_attn_tileILi112ELi112ELi2ELi2ELb0EEvPKcS1_S1_S1_S1_PKiPfP15HIP_vector_typeIfLj2EEffffjfiS5_IjLj3EEiiiiiiiiiiiliiliiiiil
                                        ; -- End function
	.section	.AMDGPU.csdata,"",@progbits
; Kernel info:
; codeLenInByte = 5112
; NumSgprs: 51
; NumVgprs: 98
; NumAgprs: 0
; TotalNumVgprs: 98
; ScratchSize: 0
; MemoryBound: 0
; FloatMode: 240
; IeeeMode: 1
; LDSByteSize: 5312 bytes/workgroup (compile time only)
; SGPRBlocks: 6
; VGPRBlocks: 12
; NumSGPRsForWavesPerEU: 51
; NumVGPRsForWavesPerEU: 98
; AccumOffset: 100
; Occupancy: 4
; WaveLimiterHint : 1
; COMPUTE_PGM_RSRC2:SCRATCH_EN: 0
; COMPUTE_PGM_RSRC2:USER_SGPR: 2
; COMPUTE_PGM_RSRC2:TRAP_HANDLER: 0
; COMPUTE_PGM_RSRC2:TGID_X_EN: 1
; COMPUTE_PGM_RSRC2:TGID_Y_EN: 1
; COMPUTE_PGM_RSRC2:TGID_Z_EN: 1
; COMPUTE_PGM_RSRC2:TIDIG_COMP_CNT: 1
; COMPUTE_PGM_RSRC3_GFX90A:ACCUM_OFFSET: 24
; COMPUTE_PGM_RSRC3_GFX90A:TG_SPLIT: 0
	.section	.text._ZL33flash_attn_stream_k_fixup_uniformILi112ELi2ELi2EEvPfPK15HIP_vector_typeIfLj2EEiiiiiiS1_IjLj3EES5_S5_,"axG",@progbits,_ZL33flash_attn_stream_k_fixup_uniformILi112ELi2ELi2EEvPfPK15HIP_vector_typeIfLj2EEiiiiiiS1_IjLj3EES5_S5_,comdat
	.globl	_ZL33flash_attn_stream_k_fixup_uniformILi112ELi2ELi2EEvPfPK15HIP_vector_typeIfLj2EEiiiiiiS1_IjLj3EES5_S5_ ; -- Begin function _ZL33flash_attn_stream_k_fixup_uniformILi112ELi2ELi2EEvPfPK15HIP_vector_typeIfLj2EEiiiiiiS1_IjLj3EES5_S5_
	.p2align	8
	.type	_ZL33flash_attn_stream_k_fixup_uniformILi112ELi2ELi2EEvPfPK15HIP_vector_typeIfLj2EEiiiiiiS1_IjLj3EES5_S5_,@function
_ZL33flash_attn_stream_k_fixup_uniformILi112ELi2ELi2EEvPfPK15HIP_vector_typeIfLj2EEiiiiiiS1_IjLj3EES5_S5_: ; @_ZL33flash_attn_stream_k_fixup_uniformILi112ELi2ELi2EEvPfPK15HIP_vector_typeIfLj2EEiiiiiiS1_IjLj3EES5_S5_
; %bb.0:
	s_load_dwordx8 s[8:15], s[0:1], 0x1c
	s_load_dwordx2 s[6:7], s[0:1], 0x10
	s_load_dwordx4 s[16:19], s[0:1], 0x3c
	s_waitcnt lgkmcnt(0)
	s_mul_hi_u32 s5, s11, s2
	s_add_i32 s5, s2, s5
	s_lshr_b32 s5, s5, s12
	s_mul_i32 s11, s5, s13
	s_sub_i32 s12, s2, s11
	s_mul_hi_u32 s11, s12, s14
	s_add_i32 s11, s12, s11
	s_lshr_b32 s11, s11, s15
	s_mul_i32 s13, s11, s16
	s_sub_i32 s12, s12, s13
	;; [unrolled: 5-line block ×3, first 2 shown]
	s_lshl_b32 s12, s16, 1
	s_lshl_b32 s17, s13, 1
	s_add_i32 s12, s12, s3
	s_cmp_lt_i32 s12, s6
	s_cselect_b64 s[12:13], -1, 0
	s_add_i32 s17, s17, s4
	s_cmp_lt_i32 s17, s9
	s_cselect_b64 s[14:15], -1, 0
	s_and_b64 s[12:13], s[12:13], s[14:15]
	s_andn2_b64 vcc, exec, s[12:13]
	s_cbranch_vccnz .LBB47_6
; %bb.1:
	s_load_dwordx4 s[12:15], s[0:1], 0x0
	s_mul_i32 s0, s5, s6
	s_mul_i32 s11, s11, s9
	s_add_i32 s0, s0, s3
	s_mul_i32 s0, s0, s7
	s_add_i32 s5, s17, s11
	;; [unrolled: 2-line block ×3, first 2 shown]
	s_mulk_i32 s1, 0xe0
	s_mulk_i32 s0, 0x70
	s_add_i32 s0, s0, s1
	v_add_u32_e32 v4, s0, v0
	s_waitcnt lgkmcnt(0)
	v_mov_b32_e32 v2, s12
	v_mov_b32_e32 v3, s13
	v_ashrrev_i32_e32 v5, 31, v4
	v_lshl_add_u64 v[2:3], v[4:5], 2, v[2:3]
	global_load_dword v7, v[2:3], off
	s_mul_i32 s5, s2, s10
	s_lshl_b32 s11, s3, 1
	s_add_i32 s9, s5, s10
	s_add_i32 s0, s11, s4
	s_lshl_b32 s1, s9, 2
	s_add_i32 s0, s0, s1
	s_add_i32 s0, s0, -4
	s_ashr_i32 s1, s0, 31
	s_lshl_b64 s[0:1], s[0:1], 3
	s_add_u32 s0, s14, s0
	s_addc_u32 s1, s15, s1
	s_load_dword s12, s[0:1], 0x4
	s_add_i32 s6, s9, -2
	s_cmp_lt_i32 s6, s5
	s_cbranch_scc1 .LBB47_4
; %bb.2:
	s_lshl_b32 s6, s8, 4
	s_ashr_i32 s7, s6, 31
	s_lshl_b64 s[6:7], s[6:7], 2
	s_add_u32 s6, s14, s6
	s_addc_u32 s7, s15, s7
	s_add_i32 s2, s2, 1
	s_load_dword s0, s[0:1], 0x0
	s_mul_i32 s1, s10, s2
	s_lshl_b32 s2, s1, 2
	s_add_i32 s2, s4, s2
	s_mulk_i32 s3, 0xe0
	s_mulk_i32 s4, 0x70
	s_lshl_b32 s8, s8, 2
	s_mulk_i32 s1, 0x1c0
	s_add_i32 s3, s4, s3
	s_add_i32 s2, s2, s8
	;; [unrolled: 1-line block ×4, first 2 shown]
	v_add_u32_e32 v0, s3, v0
	s_add_i32 s9, s9, -1
	s_add_i32 s2, s2, -8
	v_add_u32_e32 v0, 0xfffffc80, v0
	s_waitcnt lgkmcnt(0)
	v_mov_b32_e32 v6, s12
	v_mov_b32_e32 v5, s0
	s_mov_b32 s4, 0x3fb8aa3b
	s_mov_b32 s8, 0xc2ce8ed0
	;; [unrolled: 1-line block ×3, first 2 shown]
	v_mov_b32_e32 v4, 0x7f800000
	s_mov_b32 s11, 0xc1a00000
.LBB47_3:                               ; =>This Inner Loop Header: Depth=1
	v_ashrrev_i32_e32 v1, 31, v0
	v_lshl_add_u64 v[8:9], v[0:1], 2, s[6:7]
	global_load_dword v1, v[8:9], off
	s_ashr_i32 s3, s2, 31
	s_lshl_b64 s[0:1], s[2:3], 3
	s_add_u32 s0, s14, s0
	s_addc_u32 s1, s15, s1
	s_load_dwordx2 s[12:13], s[0:1], 0x0
	s_waitcnt vmcnt(1)
	v_mov_b32_e32 v8, v7
	v_max_f32_e32 v7, v5, v5
	v_mov_b32_e32 v9, v6
	s_add_i32 s9, s9, -1
	s_waitcnt lgkmcnt(0)
	v_max_f32_e64 v6, s12, s12
	v_max_f32_e32 v6, v7, v6
	v_sub_f32_e32 v10, s12, v6
	v_sub_f32_e32 v7, v5, v6
	v_mul_f32_e32 v11, 0x3fb8aa3b, v10
	v_mov_b32_e32 v5, v6
	v_mul_f32_e32 v6, 0x3fb8aa3b, v7
	v_fma_f32 v14, v10, s4, -v11
	v_rndne_f32_e32 v15, v11
	v_fma_f32 v12, v7, s4, -v6
	v_rndne_f32_e32 v13, v6
	v_fmac_f32_e32 v14, 0x32a5705f, v10
	v_sub_f32_e32 v11, v11, v15
	v_fmac_f32_e32 v12, 0x32a5705f, v7
	v_sub_f32_e32 v6, v6, v13
	v_add_f32_e32 v11, v11, v14
	v_cvt_i32_f32_e32 v15, v15
	v_add_f32_e32 v6, v6, v12
	v_exp_f32_e32 v11, v11
	v_cvt_i32_f32_e32 v13, v13
	v_exp_f32_e32 v6, v6
	v_cmp_ngt_f32_e32 vcc, s8, v10
	v_ldexp_f32 v11, v11, v15
	v_cmp_ngt_f32_e64 s[0:1], s8, v7
	v_ldexp_f32 v6, v6, v13
	v_cndmask_b32_e32 v11, 0, v11, vcc
	v_cmp_nlt_f32_e32 vcc, s10, v10
	v_cndmask_b32_e64 v6, 0, v6, s[0:1]
	v_cmp_nlt_f32_e64 s[0:1], s10, v7
	v_cndmask_b32_e32 v11, v4, v11, vcc
	v_cmp_le_f32_e32 vcc, s11, v10
	v_cndmask_b32_e64 v6, v4, v6, s[0:1]
	v_cmp_le_f32_e64 s[0:1], s11, v7
	v_cndmask_b32_e32 v7, 0, v11, vcc
	s_add_i32 s2, s2, -4
	v_cndmask_b32_e64 v10, 0, v6, s[0:1]
	v_mul_f32_e32 v6, s13, v7
	v_add_u32_e32 v0, 0xfffffe40, v0
	s_cmp_le_i32 s9, s5
	v_fmac_f32_e32 v6, v9, v10
	s_waitcnt vmcnt(0)
	v_mul_f32_e32 v7, v1, v7
	v_fmac_f32_e32 v7, v8, v10
	s_cbranch_scc0 .LBB47_3
	s_branch .LBB47_5
.LBB47_4:
	s_waitcnt lgkmcnt(0)
	v_mov_b32_e32 v6, s12
.LBB47_5:
	s_waitcnt vmcnt(0)
	v_div_scale_f32 v0, s[0:1], v6, v6, v7
	v_rcp_f32_e32 v1, v0
	v_div_scale_f32 v4, vcc, v7, v6, v7
	v_fma_f32 v5, -v0, v1, 1.0
	v_fmac_f32_e32 v1, v5, v1
	v_mul_f32_e32 v5, v4, v1
	v_fma_f32 v8, -v0, v5, v4
	v_fmac_f32_e32 v5, v8, v1
	v_fma_f32 v0, -v0, v5, v4
	v_div_fmas_f32 v0, v0, v1, v5
	v_div_fixup_f32 v0, v0, v6, v7
	global_store_dword v[2:3], v0, off
.LBB47_6:
	s_endpgm
	.section	.rodata,"a",@progbits
	.p2align	6, 0x0
	.amdhsa_kernel _ZL33flash_attn_stream_k_fixup_uniformILi112ELi2ELi2EEvPfPK15HIP_vector_typeIfLj2EEiiiiiiS1_IjLj3EES5_S5_
		.amdhsa_group_segment_fixed_size 0
		.amdhsa_private_segment_fixed_size 0
		.amdhsa_kernarg_size 76
		.amdhsa_user_sgpr_count 2
		.amdhsa_user_sgpr_dispatch_ptr 0
		.amdhsa_user_sgpr_queue_ptr 0
		.amdhsa_user_sgpr_kernarg_segment_ptr 1
		.amdhsa_user_sgpr_dispatch_id 0
		.amdhsa_user_sgpr_kernarg_preload_length 0
		.amdhsa_user_sgpr_kernarg_preload_offset 0
		.amdhsa_user_sgpr_private_segment_size 0
		.amdhsa_uses_dynamic_stack 0
		.amdhsa_enable_private_segment 0
		.amdhsa_system_sgpr_workgroup_id_x 1
		.amdhsa_system_sgpr_workgroup_id_y 1
		.amdhsa_system_sgpr_workgroup_id_z 1
		.amdhsa_system_sgpr_workgroup_info 0
		.amdhsa_system_vgpr_workitem_id 0
		.amdhsa_next_free_vgpr 16
		.amdhsa_next_free_sgpr 20
		.amdhsa_accum_offset 16
		.amdhsa_reserve_vcc 1
		.amdhsa_float_round_mode_32 0
		.amdhsa_float_round_mode_16_64 0
		.amdhsa_float_denorm_mode_32 3
		.amdhsa_float_denorm_mode_16_64 3
		.amdhsa_dx10_clamp 1
		.amdhsa_ieee_mode 1
		.amdhsa_fp16_overflow 0
		.amdhsa_tg_split 0
		.amdhsa_exception_fp_ieee_invalid_op 0
		.amdhsa_exception_fp_denorm_src 0
		.amdhsa_exception_fp_ieee_div_zero 0
		.amdhsa_exception_fp_ieee_overflow 0
		.amdhsa_exception_fp_ieee_underflow 0
		.amdhsa_exception_fp_ieee_inexact 0
		.amdhsa_exception_int_div_zero 0
	.end_amdhsa_kernel
	.section	.text._ZL33flash_attn_stream_k_fixup_uniformILi112ELi2ELi2EEvPfPK15HIP_vector_typeIfLj2EEiiiiiiS1_IjLj3EES5_S5_,"axG",@progbits,_ZL33flash_attn_stream_k_fixup_uniformILi112ELi2ELi2EEvPfPK15HIP_vector_typeIfLj2EEiiiiiiS1_IjLj3EES5_S5_,comdat
.Lfunc_end47:
	.size	_ZL33flash_attn_stream_k_fixup_uniformILi112ELi2ELi2EEvPfPK15HIP_vector_typeIfLj2EEiiiiiiS1_IjLj3EES5_S5_, .Lfunc_end47-_ZL33flash_attn_stream_k_fixup_uniformILi112ELi2ELi2EEvPfPK15HIP_vector_typeIfLj2EEiiiiiiS1_IjLj3EES5_S5_
                                        ; -- End function
	.section	.AMDGPU.csdata,"",@progbits
; Kernel info:
; codeLenInByte = 836
; NumSgprs: 26
; NumVgprs: 16
; NumAgprs: 0
; TotalNumVgprs: 16
; ScratchSize: 0
; MemoryBound: 0
; FloatMode: 240
; IeeeMode: 1
; LDSByteSize: 0 bytes/workgroup (compile time only)
; SGPRBlocks: 3
; VGPRBlocks: 1
; NumSGPRsForWavesPerEU: 26
; NumVGPRsForWavesPerEU: 16
; AccumOffset: 16
; Occupancy: 8
; WaveLimiterHint : 0
; COMPUTE_PGM_RSRC2:SCRATCH_EN: 0
; COMPUTE_PGM_RSRC2:USER_SGPR: 2
; COMPUTE_PGM_RSRC2:TRAP_HANDLER: 0
; COMPUTE_PGM_RSRC2:TGID_X_EN: 1
; COMPUTE_PGM_RSRC2:TGID_Y_EN: 1
; COMPUTE_PGM_RSRC2:TGID_Z_EN: 1
; COMPUTE_PGM_RSRC2:TIDIG_COMP_CNT: 0
; COMPUTE_PGM_RSRC3_GFX90A:ACCUM_OFFSET: 3
; COMPUTE_PGM_RSRC3_GFX90A:TG_SPLIT: 0
	.section	.text._ZL33flash_attn_stream_k_fixup_generalILi112ELi2ELi2EEvPfPK15HIP_vector_typeIfLj2EEiiiiS1_IjLj3EES5_S5_S5_,"axG",@progbits,_ZL33flash_attn_stream_k_fixup_generalILi112ELi2ELi2EEvPfPK15HIP_vector_typeIfLj2EEiiiiS1_IjLj3EES5_S5_S5_,comdat
	.globl	_ZL33flash_attn_stream_k_fixup_generalILi112ELi2ELi2EEvPfPK15HIP_vector_typeIfLj2EEiiiiS1_IjLj3EES5_S5_S5_ ; -- Begin function _ZL33flash_attn_stream_k_fixup_generalILi112ELi2ELi2EEvPfPK15HIP_vector_typeIfLj2EEiiiiS1_IjLj3EES5_S5_S5_
	.p2align	8
	.type	_ZL33flash_attn_stream_k_fixup_generalILi112ELi2ELi2EEvPfPK15HIP_vector_typeIfLj2EEiiiiS1_IjLj3EES5_S5_S5_,@function
_ZL33flash_attn_stream_k_fixup_generalILi112ELi2ELi2EEvPfPK15HIP_vector_typeIfLj2EEiiiiS1_IjLj3EES5_S5_S5_: ; @_ZL33flash_attn_stream_k_fixup_generalILi112ELi2ELi2EEvPfPK15HIP_vector_typeIfLj2EEiiiiS1_IjLj3EES5_S5_S5_
; %bb.0:
	s_load_dwordx4 s[12:15], s[0:1], 0x10
	s_load_dword s22, s[0:1], 0x50
	s_mov_b32 s8, 0
	s_waitcnt lgkmcnt(0)
	s_mul_hi_i32 s9, s15, s2
	s_cmp_lg_u64 s[8:9], 0
	s_mul_i32 s5, s15, s2
	s_cbranch_scc0 .LBB48_21
; %bb.1:
	v_cvt_f32_u32_e32 v1, s22
	v_cvt_f32_ubyte0_e32 v2, 0
	s_sub_u32 s8, 0, s22
	s_subb_u32 s10, 0, 0
	v_fmamk_f32 v1, v2, 0x4f800000, v1
	v_rcp_f32_e32 v1, v1
	s_nop 0
	v_mul_f32_e32 v1, 0x5f7ffffc, v1
	v_mul_f32_e32 v2, 0x2f800000, v1
	v_trunc_f32_e32 v2, v2
	v_fmamk_f32 v1, v2, 0xcf800000, v1
	v_cvt_u32_f32_e32 v2, v2
	v_cvt_u32_f32_e32 v1, v1
	v_readfirstlane_b32 s11, v2
	v_readfirstlane_b32 s16, v1
	s_mul_i32 s17, s8, s11
	s_mul_hi_u32 s19, s8, s16
	s_mul_i32 s18, s10, s16
	s_add_i32 s17, s19, s17
	s_add_i32 s17, s17, s18
	s_mul_i32 s20, s8, s16
	s_mul_hi_u32 s18, s16, s17
	s_mul_i32 s19, s16, s17
	s_mul_hi_u32 s16, s16, s20
	s_add_u32 s16, s16, s19
	s_addc_u32 s18, 0, s18
	s_mul_hi_u32 s21, s11, s20
	s_mul_i32 s20, s11, s20
	s_add_u32 s16, s16, s20
	s_mul_hi_u32 s19, s11, s17
	s_addc_u32 s16, s18, s21
	s_addc_u32 s18, s19, 0
	s_mul_i32 s17, s11, s17
	s_add_u32 s16, s16, s17
	s_addc_u32 s17, 0, s18
	v_add_co_u32_e32 v1, vcc, s16, v1
	s_cmp_lg_u64 vcc, 0
	s_addc_u32 s11, s11, s17
	v_readfirstlane_b32 s17, v1
	s_mul_i32 s16, s8, s11
	s_mul_hi_u32 s18, s8, s17
	s_add_i32 s16, s18, s16
	s_mul_i32 s10, s10, s17
	s_add_i32 s16, s16, s10
	s_mul_i32 s8, s8, s17
	s_mul_hi_u32 s18, s11, s8
	s_mul_i32 s19, s11, s8
	s_mul_i32 s21, s17, s16
	s_mul_hi_u32 s8, s17, s8
	s_mul_hi_u32 s20, s17, s16
	s_add_u32 s8, s8, s21
	s_addc_u32 s17, 0, s20
	s_add_u32 s8, s8, s19
	s_mul_hi_u32 s10, s11, s16
	s_addc_u32 s8, s17, s18
	s_addc_u32 s10, s10, 0
	s_mul_i32 s16, s11, s16
	s_add_u32 s8, s8, s16
	s_addc_u32 s10, 0, s10
	v_add_co_u32_e32 v1, vcc, s8, v1
	s_cmp_lg_u64 vcc, 0
	s_addc_u32 s16, s11, s10
	s_ashr_i32 s10, s9, 31
	s_add_u32 s8, s5, s10
	s_mov_b32 s11, s10
	s_addc_u32 s9, s9, s10
	s_xor_b64 s[8:9], s[8:9], s[10:11]
	v_readfirstlane_b32 s19, v1
	s_mul_i32 s18, s8, s16
	s_mul_hi_u32 s20, s8, s19
	s_mul_hi_u32 s17, s8, s16
	s_add_u32 s18, s20, s18
	s_addc_u32 s17, 0, s17
	s_mul_hi_u32 s21, s9, s19
	s_mul_i32 s19, s9, s19
	s_add_u32 s18, s18, s19
	s_mul_hi_u32 s20, s9, s16
	s_addc_u32 s17, s17, s21
	s_addc_u32 s18, s20, 0
	s_mul_i32 s16, s9, s16
	s_add_u32 s16, s17, s16
	s_addc_u32 s17, 0, s18
	s_add_u32 s18, s16, 1
	s_addc_u32 s19, s17, 0
	s_add_u32 s20, s16, 2
	s_mul_i32 s23, s22, s17
	s_mul_hi_u32 s24, s22, s16
	s_addc_u32 s21, s17, 0
	s_add_i32 s24, s24, s23
	s_mul_i32 s23, s22, s16
	v_mov_b32_e32 v1, s23
	v_sub_co_u32_e32 v1, vcc, s8, v1
	s_cmp_lg_u64 vcc, 0
	s_subb_u32 s8, s9, s24
	v_subrev_co_u32_e32 v2, vcc, s22, v1
	s_cmp_lg_u64 vcc, 0
	s_subb_u32 s9, s8, 0
	v_readfirstlane_b32 s23, v2
	s_cmp_ge_u32 s23, s22
	s_cselect_b32 s23, -1, 0
	s_cmp_eq_u32 s9, 0
	s_cselect_b32 s9, s23, -1
	s_cmp_lg_u32 s9, 0
	s_cselect_b32 s9, s21, s19
	v_readfirstlane_b32 s19, v1
	s_cselect_b32 s18, s20, s18
	s_cmp_ge_u32 s19, s22
	s_cselect_b32 s19, -1, 0
	s_cmp_eq_u32 s8, 0
	s_cselect_b32 s8, s19, -1
	s_cmp_lg_u32 s8, 0
	s_cselect_b32 s9, s9, s17
	s_cselect_b32 s8, s18, s16
	s_xor_b64 s[8:9], s[8:9], s[10:11]
	s_sub_u32 s20, s8, s10
	s_load_dwordx4 s[16:19], s[0:1], 0x44
	s_cbranch_execnz .LBB48_3
.LBB48_2:
	v_cvt_f32_u32_e32 v1, s22
	s_sub_i32 s6, 0, s22
	v_rcp_iflag_f32_e32 v1, v1
	s_nop 0
	v_mul_f32_e32 v1, 0x4f7ffffe, v1
	v_cvt_u32_f32_e32 v1, v1
	s_nop 0
	v_readfirstlane_b32 s7, v1
	s_mul_i32 s6, s6, s7
	s_mul_hi_u32 s6, s7, s6
	s_add_i32 s7, s7, s6
	s_mul_hi_u32 s6, s5, s7
	s_mul_i32 s8, s6, s22
	s_sub_i32 s5, s5, s8
	s_add_i32 s7, s6, 1
	s_sub_i32 s8, s5, s22
	s_cmp_ge_u32 s5, s22
	s_cselect_b32 s6, s7, s6
	s_cselect_b32 s5, s8, s5
	s_add_i32 s7, s6, 1
	s_cmp_ge_u32 s5, s22
	s_cselect_b32 s20, s7, s6
.LBB48_3:
	s_add_i32 s5, s2, 1
	s_mul_hi_i32 s9, s15, s5
	s_mov_b32 s8, 0
	s_cmp_lg_u64 s[8:9], 0
	s_mul_i32 s5, s15, s5
	s_cbranch_scc0 .LBB48_22
; %bb.4:
	v_cvt_f32_u32_e32 v1, s22
	v_cvt_f32_ubyte0_e32 v2, 0
	s_sub_u32 s8, 0, s22
	s_subb_u32 s10, 0, 0
	v_fmamk_f32 v1, v2, 0x4f800000, v1
	v_rcp_f32_e32 v1, v1
	s_nop 0
	v_mul_f32_e32 v1, 0x5f7ffffc, v1
	v_mul_f32_e32 v2, 0x2f800000, v1
	v_trunc_f32_e32 v2, v2
	v_fmamk_f32 v1, v2, 0xcf800000, v1
	v_cvt_u32_f32_e32 v2, v2
	v_cvt_u32_f32_e32 v1, v1
	v_readfirstlane_b32 s11, v2
	s_waitcnt lgkmcnt(0)
	v_readfirstlane_b32 s19, v1
	s_mul_i32 s21, s8, s11
	s_mul_hi_u32 s24, s8, s19
	s_mul_i32 s23, s10, s19
	s_add_i32 s21, s24, s21
	s_add_i32 s21, s21, s23
	s_mul_i32 s25, s8, s19
	s_mul_hi_u32 s23, s19, s21
	s_mul_i32 s24, s19, s21
	s_mul_hi_u32 s19, s19, s25
	s_add_u32 s19, s19, s24
	s_addc_u32 s23, 0, s23
	s_mul_hi_u32 s26, s11, s25
	s_mul_i32 s25, s11, s25
	s_add_u32 s19, s19, s25
	s_mul_hi_u32 s24, s11, s21
	s_addc_u32 s19, s23, s26
	s_addc_u32 s23, s24, 0
	s_mul_i32 s21, s11, s21
	s_add_u32 s19, s19, s21
	s_addc_u32 s21, 0, s23
	v_add_co_u32_e32 v1, vcc, s19, v1
	s_cmp_lg_u64 vcc, 0
	s_addc_u32 s11, s11, s21
	v_readfirstlane_b32 s21, v1
	s_mul_i32 s19, s8, s11
	s_mul_hi_u32 s23, s8, s21
	s_add_i32 s19, s23, s19
	s_mul_i32 s10, s10, s21
	s_add_i32 s19, s19, s10
	s_mul_i32 s8, s8, s21
	s_mul_hi_u32 s23, s11, s8
	s_mul_i32 s24, s11, s8
	s_mul_i32 s26, s21, s19
	s_mul_hi_u32 s8, s21, s8
	s_mul_hi_u32 s25, s21, s19
	s_add_u32 s8, s8, s26
	s_addc_u32 s21, 0, s25
	s_add_u32 s8, s8, s24
	s_mul_hi_u32 s10, s11, s19
	s_addc_u32 s8, s21, s23
	s_addc_u32 s10, s10, 0
	s_mul_i32 s19, s11, s19
	s_add_u32 s8, s8, s19
	s_addc_u32 s10, 0, s10
	v_add_co_u32_e32 v1, vcc, s8, v1
	s_cmp_lg_u64 vcc, 0
	s_addc_u32 s19, s11, s10
	s_ashr_i32 s10, s9, 31
	s_add_u32 s8, s5, s10
	s_mov_b32 s11, s10
	s_addc_u32 s9, s9, s10
	s_xor_b64 s[8:9], s[8:9], s[10:11]
	v_readfirstlane_b32 s23, v1
	s_mul_i32 s21, s8, s19
	s_mul_hi_u32 s24, s8, s23
	s_mul_hi_u32 s11, s8, s19
	s_add_u32 s21, s24, s21
	s_addc_u32 s11, 0, s11
	s_mul_hi_u32 s25, s9, s23
	s_mul_i32 s23, s9, s23
	s_add_u32 s21, s21, s23
	s_mul_hi_u32 s24, s9, s19
	s_addc_u32 s11, s11, s25
	s_addc_u32 s21, s24, 0
	s_mul_i32 s19, s9, s19
	s_add_u32 s11, s11, s19
	s_addc_u32 s19, 0, s21
	s_mul_i32 s19, s22, s19
	s_mul_hi_u32 s24, s22, s11
	s_add_i32 s24, s24, s19
	s_mul_i32 s19, s22, s11
	v_mov_b32_e32 v1, s19
	s_add_u32 s21, s11, 1
	s_add_u32 s23, s11, 2
	v_sub_co_u32_e32 v1, vcc, s8, v1
	s_cmp_lg_u64 vcc, 0
	s_subb_u32 s8, s9, s24
	v_subrev_co_u32_e32 v2, vcc, s22, v1
	s_cmp_lg_u64 vcc, 0
	s_subb_u32 s9, s8, 0
	v_cmp_le_u32_e32 vcc, s22, v2
	s_cmp_eq_u32 s9, 0
	v_mov_b32_e32 v3, s21
	v_cndmask_b32_e64 v2, 0, -1, vcc
	s_cselect_b64 vcc, -1, 0
	v_cndmask_b32_e32 v2, -1, v2, vcc
	v_mov_b32_e32 v4, s23
	v_cmp_ne_u32_e32 vcc, 0, v2
	s_cmp_eq_u32 s8, 0
	s_nop 0
	v_cndmask_b32_e32 v2, v3, v4, vcc
	v_cmp_le_u32_e32 vcc, s22, v1
	v_mov_b32_e32 v3, s11
	s_nop 0
	v_cndmask_b32_e64 v1, 0, -1, vcc
	s_cselect_b64 vcc, -1, 0
	v_cndmask_b32_e32 v1, -1, v1, vcc
	v_cmp_ne_u32_e32 vcc, 0, v1
	s_nop 1
	v_cndmask_b32_e32 v1, v3, v2, vcc
	v_xor_b32_e32 v1, s10, v1
	v_subrev_co_u32_e32 v2, vcc, s10, v1
	s_cbranch_execnz .LBB48_6
.LBB48_5:
	v_cvt_f32_u32_e32 v1, s22
	s_sub_i32 s6, 0, s22
	s_mov_b32 s7, 0
	v_rcp_iflag_f32_e32 v1, v1
	s_nop 0
	v_mul_f32_e32 v1, 0x4f7ffffe, v1
	v_cvt_u32_f32_e32 v1, v1
	s_nop 0
	v_readfirstlane_b32 s8, v1
	s_mul_i32 s6, s6, s8
	s_mul_hi_u32 s6, s8, s6
	s_add_i32 s8, s8, s6
	s_mul_hi_u32 s6, s5, s8
	s_mul_i32 s9, s6, s22
	s_sub_i32 s5, s5, s9
	s_add_i32 s8, s6, 1
	s_sub_i32 s9, s5, s22
	s_cmp_ge_u32 s5, s22
	s_cselect_b32 s6, s8, s6
	s_cselect_b32 s5, s9, s5
	s_add_i32 s8, s6, 1
	s_cmp_ge_u32 s5, s22
	s_cselect_b32 s6, s8, s6
	v_mov_b64_e32 v[2:3], s[6:7]
.LBB48_6:
	s_waitcnt lgkmcnt(0)
	s_mul_hi_u32 s5, s20, s16
	s_add_i32 s5, s5, s20
	v_mul_hi_u32 v1, v2, s16
	s_lshr_b32 s19, s5, s17
	v_add_u32_e32 v1, v1, v2
	s_mul_i32 s5, s19, s18
	v_lshrrev_b32_e32 v1, s17, v1
	s_cmp_eq_u32 s5, s20
	v_cmp_eq_u32_e64 s[6:7], s19, v1
	v_mul_lo_u32 v1, v1, s18
	v_cmp_eq_u32_e32 vcc, s20, v2
	s_cselect_b64 s[10:11], -1, 0
	v_cmp_ne_u32_e64 s[8:9], v1, v2
	s_and_b64 s[6:7], s[6:7], s[8:9]
	s_or_b64 s[8:9], vcc, s[10:11]
	s_or_b64 s[6:7], s[8:9], s[6:7]
	s_and_b64 vcc, exec, s[6:7]
	s_cbranch_vccnz .LBB48_24
; %bb.7:
	s_load_dwordx8 s[24:31], s[0:1], 0x20
	s_load_dword s5, s[0:1], 0x40
	s_waitcnt lgkmcnt(0)
	s_mul_hi_u32 s6, s20, s24
	s_add_i32 s6, s6, s20
	s_lshr_b32 s7, s6, s25
	s_mul_i32 s6, s7, s26
	s_sub_i32 s6, s20, s6
	s_mul_hi_u32 s8, s6, s27
	s_add_i32 s8, s6, s8
	s_lshr_b32 s23, s8, s28
	s_mul_i32 s8, s23, s29
	s_sub_i32 s6, s6, s8
	;; [unrolled: 5-line block ×3, first 2 shown]
	s_mul_hi_u32 s6, s5, s16
	s_add_i32 s5, s5, s6
	s_lshr_b32 s24, s5, s17
	s_lshl_b32 s5, s24, 1
	s_lshl_b32 s25, s8, 1
	s_add_i32 s5, s5, s3
	s_cmp_lt_i32 s5, s12
	s_cselect_b64 s[8:9], -1, 0
	s_add_i32 s25, s25, s4
	s_cmp_lt_i32 s25, s14
	s_cselect_b64 s[10:11], -1, 0
	s_and_b64 s[8:9], s[8:9], s[10:11]
	s_andn2_b64 vcc, exec, s[8:9]
	s_mov_b32 s6, 0
	s_cbranch_vccnz .LBB48_24
; %bb.8:
	s_load_dwordx4 s[8:11], s[0:1], 0x0
	s_lshl_b32 s21, s3, 1
	s_lshl_b32 s0, s22, 4
	s_mov_b32 s1, s6
	s_add_i32 s21, s21, s4
	s_lshl_b64 s[0:1], s[0:1], 2
	s_waitcnt lgkmcnt(0)
	s_add_u32 s4, s10, s0
	s_mul_i32 s0, s7, s12
	s_addc_u32 s5, s11, s1
	s_mul_i32 s23, s23, s14
	s_add_i32 s0, s0, s3
	s_mul_i32 s0, s0, s13
	s_add_i32 s3, s25, s23
	s_mul_i32 s1, s13, s24
	s_add_i32 s0, s3, s0
	s_mulk_i32 s1, 0xe0
	s_mulk_i32 s0, 0x70
	s_add_i32 s1, s1, s0
	v_add_u32_e32 v4, s1, v0
	v_mov_b32_e32 v2, s8
	v_mov_b32_e32 v3, s9
	v_ashrrev_i32_e32 v5, 31, v4
	v_lshl_add_u64 v[2:3], v[4:5], 2, v[2:3]
	global_load_dword v5, v[2:3], off
	s_lshl_b32 s0, s2, 2
	s_add_i32 s0, s21, s0
	s_ashr_i32 s1, s0, 31
	s_lshl_b64 s[0:1], s[0:1], 3
	s_add_u32 s0, s10, s0
	s_addc_u32 s1, s11, s1
	s_add_i32 s12, s2, -1
	s_mul_i32 s2, s21, 0x70
	v_add_u32_e32 v4, s2, v0
	v_cvt_f32_u32_e32 v0, s22
	v_cvt_f32_ubyte0_e32 v1, 0
	s_load_dwordx2 s[0:1], s[0:1], 0x0
	v_mov_b32_e32 v8, s20
	v_fmac_f32_e32 v0, 0x4f800000, v1
	v_rcp_f32_e32 v0, v0
	v_cvt_f32_u32_e32 v1, s22
	s_waitcnt lgkmcnt(0)
	v_mov_b32_e32 v6, s1
	v_mov_b32_e32 v7, s0
	v_mul_f32_e32 v0, 0x5f7ffffc, v0
	v_rcp_iflag_f32_e32 v1, v1
	v_mul_f32_e32 v9, 0x2f800000, v0
	v_trunc_f32_e32 v10, v9
	v_fmac_f32_e32 v0, 0xcf800000, v10
	v_cvt_u32_f32_e32 v9, v0
	v_mul_f32_e32 v0, 0x4f7ffffe, v1
	v_cvt_u32_f32_e32 v10, v10
	v_cvt_u32_f32_e32 v11, v0
	s_mov_b32 s8, 0x3fb8aa3b
	s_mov_b32 s9, 0xc2ce8ed0
	;; [unrolled: 1-line block ×4, first 2 shown]
	v_mov_b32_e32 v12, 0x7f800000
	s_mul_hi_i32 s7, s12, s15
	s_cmp_lg_u64 s[6:7], 0
	s_mul_i32 s2, s12, s15
	s_cbranch_scc0 .LBB48_15
.LBB48_9:
	s_sub_u32 s0, 0, s22
	v_readfirstlane_b32 s3, v9
	v_readfirstlane_b32 s24, v10
	s_subb_u32 s1, 0, 0
	s_mul_hi_u32 s23, s0, s3
	s_mul_i32 s25, s0, s24
	s_mul_i32 s20, s1, s3
	s_add_i32 s23, s23, s25
	s_add_i32 s23, s23, s20
	s_mul_i32 s26, s0, s3
	s_mul_hi_u32 s20, s3, s23
	s_mul_i32 s25, s3, s23
	s_mul_hi_u32 s3, s3, s26
	s_add_u32 s3, s3, s25
	s_addc_u32 s20, 0, s20
	s_mul_hi_u32 s27, s24, s26
	s_mul_i32 s26, s24, s26
	s_add_u32 s3, s3, s26
	s_mul_hi_u32 s25, s24, s23
	s_addc_u32 s3, s20, s27
	s_addc_u32 s20, s25, 0
	s_mul_i32 s23, s24, s23
	s_add_u32 s3, s3, s23
	s_addc_u32 s20, 0, s20
	v_add_co_u32_e32 v0, vcc, s3, v9
	s_cmp_lg_u64 vcc, 0
	s_addc_u32 s3, s24, s20
	v_readfirstlane_b32 s23, v0
	s_mul_i32 s20, s0, s3
	s_mul_hi_u32 s24, s0, s23
	s_add_i32 s20, s24, s20
	s_mul_i32 s1, s1, s23
	s_add_i32 s20, s20, s1
	s_mul_i32 s0, s0, s23
	s_mul_hi_u32 s24, s3, s0
	s_mul_i32 s25, s3, s0
	s_mul_i32 s27, s23, s20
	s_mul_hi_u32 s0, s23, s0
	s_mul_hi_u32 s26, s23, s20
	s_add_u32 s0, s0, s27
	s_addc_u32 s23, 0, s26
	s_add_u32 s0, s0, s25
	s_mul_hi_u32 s1, s3, s20
	s_addc_u32 s0, s23, s24
	s_addc_u32 s1, s1, 0
	s_mul_i32 s20, s3, s20
	s_add_u32 s0, s0, s20
	s_addc_u32 s1, 0, s1
	v_add_co_u32_e32 v0, vcc, s0, v0
	s_cmp_lg_u64 vcc, 0
	s_addc_u32 s3, s3, s1
	s_ashr_i32 s0, s7, 31
	s_add_u32 s24, s2, s0
	s_mov_b32 s1, s0
	s_addc_u32 s25, s7, s0
	s_xor_b64 s[24:25], s[24:25], s[0:1]
	v_readfirstlane_b32 s20, v0
	s_mul_i32 s7, s24, s3
	s_mul_hi_u32 s23, s24, s20
	s_mul_hi_u32 s1, s24, s3
	s_add_u32 s7, s23, s7
	s_addc_u32 s1, 0, s1
	s_mul_hi_u32 s26, s25, s20
	s_mul_i32 s20, s25, s20
	s_add_u32 s7, s7, s20
	s_mul_hi_u32 s23, s25, s3
	s_addc_u32 s1, s1, s26
	s_addc_u32 s7, s23, 0
	s_mul_i32 s3, s25, s3
	s_add_u32 s1, s1, s3
	s_addc_u32 s3, 0, s7
	s_mul_i32 s3, s22, s3
	s_mul_hi_u32 s23, s22, s1
	s_add_i32 s23, s23, s3
	s_mul_i32 s3, s22, s1
	v_mov_b32_e32 v0, s3
	s_add_u32 s7, s1, 1
	s_add_u32 s20, s1, 2
	v_sub_co_u32_e32 v0, vcc, s24, v0
	s_cmp_lg_u64 vcc, 0
	s_subb_u32 s3, s25, s23
	v_subrev_co_u32_e32 v1, vcc, s22, v0
	s_cmp_lg_u64 vcc, 0
	s_subb_u32 s23, s3, 0
	v_cmp_le_u32_e32 vcc, s22, v1
	s_cmp_eq_u32 s23, 0
	v_mov_b32_e32 v13, s7
	v_cndmask_b32_e64 v1, 0, -1, vcc
	s_cselect_b64 vcc, -1, 0
	v_cndmask_b32_e32 v1, -1, v1, vcc
	v_mov_b32_e32 v14, s20
	v_cmp_ne_u32_e32 vcc, 0, v1
	s_cmp_eq_u32 s3, 0
	s_nop 0
	v_cndmask_b32_e32 v1, v13, v14, vcc
	v_cmp_le_u32_e32 vcc, s22, v0
	v_mov_b32_e32 v13, s1
	s_nop 0
	v_cndmask_b32_e64 v0, 0, -1, vcc
	s_cselect_b64 vcc, -1, 0
	v_cndmask_b32_e32 v0, -1, v0, vcc
	v_cmp_ne_u32_e32 vcc, 0, v0
	s_nop 1
	v_cndmask_b32_e32 v0, v13, v1, vcc
	v_xor_b32_e32 v0, s0, v0
	v_subrev_co_u32_e32 v0, vcc, s0, v0
	s_cbranch_execnz .LBB48_11
.LBB48_10:
	s_sub_i32 s0, 0, s22
	v_mul_lo_u32 v0, s0, v11
	v_mul_hi_u32 v0, v11, v0
	v_add_u32_e32 v0, v11, v0
	v_mul_hi_u32 v0, s2, v0
	v_mul_lo_u32 v13, v0, s22
	v_sub_u32_e32 v13, s2, v13
	v_add_u32_e32 v1, 1, v0
	v_subrev_u32_e32 v14, s22, v13
	v_cmp_le_u32_e32 vcc, s22, v13
	s_nop 1
	v_cndmask_b32_e32 v13, v13, v14, vcc
	v_cndmask_b32_e32 v0, v0, v1, vcc
	v_add_u32_e32 v1, 1, v0
	v_cmp_le_u32_e32 vcc, s22, v13
	s_nop 1
	v_cndmask_b32_e32 v0, v0, v1, vcc
.LBB48_11:
	v_cmp_ne_u32_e32 vcc, v8, v0
	s_cbranch_vccz .LBB48_14
; %bb.12:
	s_add_i32 s0, s12, s22
	s_lshl_b32 s0, s0, 2
	v_mul_hi_u32 v1, v0, s16
	s_add_i32 s0, s0, s21
	s_mov_b32 s1, s6
	v_add_u32_e32 v1, v1, v0
	s_lshl_b64 s[0:1], s[0:1], 3
	v_lshrrev_b32_e32 v1, s17, v1
	s_add_u32 s2, s10, s0
	v_mul_lo_u32 v13, v1, s18
	s_addc_u32 s3, s11, s1
	v_cmp_eq_u32_e32 vcc, v13, v0
	v_cmp_gt_u32_e64 s[0:1], s19, v1
	s_or_b64 s[0:1], s[0:1], vcc
	s_and_b64 vcc, exec, s[0:1]
	s_cbranch_vccnz .LBB48_16
; %bb.13:
	s_add_i32 s7, s12, -1
	s_mov_b64 s[0:1], 0
	s_branch .LBB48_17
.LBB48_14:
                                        ; implicit-def: $sgpr0_sgpr1
                                        ; implicit-def: $vgpr14
                                        ; implicit-def: $vgpr1
                                        ; implicit-def: $vgpr13
                                        ; implicit-def: $sgpr7
                                        ; implicit-def: $vgpr0
	s_branch .LBB48_18
.LBB48_15:
                                        ; implicit-def: $vgpr0_vgpr1
	s_branch .LBB48_10
.LBB48_16:
	s_mov_b64 s[0:1], -1
	s_mov_b32 s7, s12
	v_mov_b32_e32 v0, v8
.LBB48_17:
	s_mul_i32 s20, s12, 0x1c0
	v_add_u32_e32 v14, s20, v4
	v_ashrrev_i32_e32 v15, 31, v14
	v_lshl_add_u64 v[14:15], v[14:15], 2, s[4:5]
	global_load_dword v14, v[14:15], off
	s_load_dwordx2 s[2:3], s[2:3], 0x0
	v_max_f32_e32 v1, v7, v7
	s_waitcnt lgkmcnt(0)
	v_max_f32_e64 v13, s2, s2
	v_max_f32_e32 v1, v1, v13
	v_sub_f32_e32 v13, v7, v1
	v_sub_f32_e32 v15, s2, v1
	v_mul_f32_e32 v16, 0x3fb8aa3b, v13
	v_mul_f32_e32 v17, 0x3fb8aa3b, v15
	v_fma_f32 v18, v13, s8, -v16
	v_rndne_f32_e32 v19, v16
	v_fma_f32 v20, v15, s8, -v17
	v_rndne_f32_e32 v21, v17
	v_fmac_f32_e32 v18, 0x32a5705f, v13
	v_sub_f32_e32 v16, v16, v19
	v_fmac_f32_e32 v20, 0x32a5705f, v15
	v_sub_f32_e32 v17, v17, v21
	v_add_f32_e32 v16, v16, v18
	v_cvt_i32_f32_e32 v19, v19
	v_add_f32_e32 v17, v17, v20
	v_exp_f32_e32 v16, v16
	v_cvt_i32_f32_e32 v21, v21
	v_exp_f32_e32 v17, v17
	v_cmp_ngt_f32_e32 vcc, s9, v13
	v_ldexp_f32 v16, v16, v19
	v_ldexp_f32 v17, v17, v21
	v_cndmask_b32_e32 v16, 0, v16, vcc
	v_cmp_ngt_f32_e32 vcc, s9, v15
	s_nop 1
	v_cndmask_b32_e32 v17, 0, v17, vcc
	v_cmp_nlt_f32_e32 vcc, s13, v13
	s_nop 1
	v_cndmask_b32_e32 v16, v12, v16, vcc
	v_cmp_nlt_f32_e32 vcc, s13, v15
	s_nop 1
	v_cndmask_b32_e32 v17, v12, v17, vcc
	v_cmp_le_f32_e32 vcc, s14, v13
	s_nop 1
	v_cndmask_b32_e32 v16, 0, v16, vcc
	v_cmp_le_f32_e32 vcc, s14, v15
	s_nop 1
	v_cndmask_b32_e32 v15, 0, v17, vcc
	v_mul_f32_e32 v13, s3, v15
	v_fmac_f32_e32 v13, v6, v16
	s_waitcnt vmcnt(0)
	v_mul_f32_e32 v14, v14, v15
	v_fmac_f32_e32 v14, v5, v16
	s_cbranch_execnz .LBB48_19
.LBB48_18:
	s_add_i32 s7, s12, -1
	s_mov_b64 s[0:1], 0
	v_mov_b32_e32 v0, v8
	v_mov_b32_e32 v13, v6
	;; [unrolled: 1-line block ×3, first 2 shown]
	s_waitcnt vmcnt(0)
	v_mov_b32_e32 v14, v5
.LBB48_19:
	s_andn2_b64 vcc, exec, s[0:1]
	s_cbranch_vccz .LBB48_23
; %bb.20:
	v_mov_b32_e32 v8, v0
	s_mov_b32 s12, s7
	v_mov_b32_e32 v6, v13
	v_mov_b32_e32 v7, v1
	s_waitcnt vmcnt(0)
	v_mov_b32_e32 v5, v14
	s_mul_hi_i32 s7, s12, s15
	s_cmp_lg_u64 s[6:7], 0
	s_mul_i32 s2, s12, s15
	s_cbranch_scc1 .LBB48_9
	s_branch .LBB48_15
.LBB48_21:
                                        ; implicit-def: $sgpr20_sgpr21
	s_load_dwordx4 s[16:19], s[0:1], 0x44
	s_branch .LBB48_2
.LBB48_22:
                                        ; implicit-def: $vgpr2_vgpr3
	s_branch .LBB48_5
.LBB48_23:
	v_div_scale_f32 v0, s[0:1], v13, v13, v14
	v_rcp_f32_e32 v1, v0
	v_div_scale_f32 v4, vcc, v14, v13, v14
	s_waitcnt vmcnt(0)
	v_fma_f32 v5, -v0, v1, 1.0
	v_fmac_f32_e32 v1, v5, v1
	v_mul_f32_e32 v5, v4, v1
	v_fma_f32 v6, -v0, v5, v4
	v_fmac_f32_e32 v5, v6, v1
	v_fma_f32 v0, -v0, v5, v4
	v_div_fmas_f32 v0, v0, v1, v5
	v_div_fixup_f32 v0, v0, v13, v14
	global_store_dword v[2:3], v0, off
.LBB48_24:
	s_endpgm
	.section	.rodata,"a",@progbits
	.p2align	6, 0x0
	.amdhsa_kernel _ZL33flash_attn_stream_k_fixup_generalILi112ELi2ELi2EEvPfPK15HIP_vector_typeIfLj2EEiiiiS1_IjLj3EES5_S5_S5_
		.amdhsa_group_segment_fixed_size 0
		.amdhsa_private_segment_fixed_size 0
		.amdhsa_kernarg_size 336
		.amdhsa_user_sgpr_count 2
		.amdhsa_user_sgpr_dispatch_ptr 0
		.amdhsa_user_sgpr_queue_ptr 0
		.amdhsa_user_sgpr_kernarg_segment_ptr 1
		.amdhsa_user_sgpr_dispatch_id 0
		.amdhsa_user_sgpr_kernarg_preload_length 0
		.amdhsa_user_sgpr_kernarg_preload_offset 0
		.amdhsa_user_sgpr_private_segment_size 0
		.amdhsa_uses_dynamic_stack 0
		.amdhsa_enable_private_segment 0
		.amdhsa_system_sgpr_workgroup_id_x 1
		.amdhsa_system_sgpr_workgroup_id_y 1
		.amdhsa_system_sgpr_workgroup_id_z 1
		.amdhsa_system_sgpr_workgroup_info 0
		.amdhsa_system_vgpr_workitem_id 0
		.amdhsa_next_free_vgpr 22
		.amdhsa_next_free_sgpr 32
		.amdhsa_accum_offset 24
		.amdhsa_reserve_vcc 1
		.amdhsa_float_round_mode_32 0
		.amdhsa_float_round_mode_16_64 0
		.amdhsa_float_denorm_mode_32 3
		.amdhsa_float_denorm_mode_16_64 3
		.amdhsa_dx10_clamp 1
		.amdhsa_ieee_mode 1
		.amdhsa_fp16_overflow 0
		.amdhsa_tg_split 0
		.amdhsa_exception_fp_ieee_invalid_op 0
		.amdhsa_exception_fp_denorm_src 0
		.amdhsa_exception_fp_ieee_div_zero 0
		.amdhsa_exception_fp_ieee_overflow 0
		.amdhsa_exception_fp_ieee_underflow 0
		.amdhsa_exception_fp_ieee_inexact 0
		.amdhsa_exception_int_div_zero 0
	.end_amdhsa_kernel
	.section	.text._ZL33flash_attn_stream_k_fixup_generalILi112ELi2ELi2EEvPfPK15HIP_vector_typeIfLj2EEiiiiS1_IjLj3EES5_S5_S5_,"axG",@progbits,_ZL33flash_attn_stream_k_fixup_generalILi112ELi2ELi2EEvPfPK15HIP_vector_typeIfLj2EEiiiiS1_IjLj3EES5_S5_S5_,comdat
.Lfunc_end48:
	.size	_ZL33flash_attn_stream_k_fixup_generalILi112ELi2ELi2EEvPfPK15HIP_vector_typeIfLj2EEiiiiS1_IjLj3EES5_S5_S5_, .Lfunc_end48-_ZL33flash_attn_stream_k_fixup_generalILi112ELi2ELi2EEvPfPK15HIP_vector_typeIfLj2EEiiiiS1_IjLj3EES5_S5_S5_
                                        ; -- End function
	.section	.AMDGPU.csdata,"",@progbits
; Kernel info:
; codeLenInByte = 2868
; NumSgprs: 38
; NumVgprs: 22
; NumAgprs: 0
; TotalNumVgprs: 22
; ScratchSize: 0
; MemoryBound: 0
; FloatMode: 240
; IeeeMode: 1
; LDSByteSize: 0 bytes/workgroup (compile time only)
; SGPRBlocks: 4
; VGPRBlocks: 2
; NumSGPRsForWavesPerEU: 38
; NumVGPRsForWavesPerEU: 22
; AccumOffset: 24
; Occupancy: 8
; WaveLimiterHint : 0
; COMPUTE_PGM_RSRC2:SCRATCH_EN: 0
; COMPUTE_PGM_RSRC2:USER_SGPR: 2
; COMPUTE_PGM_RSRC2:TRAP_HANDLER: 0
; COMPUTE_PGM_RSRC2:TGID_X_EN: 1
; COMPUTE_PGM_RSRC2:TGID_Y_EN: 1
; COMPUTE_PGM_RSRC2:TGID_Z_EN: 1
; COMPUTE_PGM_RSRC2:TIDIG_COMP_CNT: 0
; COMPUTE_PGM_RSRC3_GFX90A:ACCUM_OFFSET: 5
; COMPUTE_PGM_RSRC3_GFX90A:TG_SPLIT: 0
	.section	.text._ZL15flash_attn_tileILi112ELi112ELi1ELi2ELb0EEvPKcS1_S1_S1_S1_PKiPfP15HIP_vector_typeIfLj2EEffffjfiS5_IjLj3EEiiiiiiiiiiiliiliiiiil,"axG",@progbits,_ZL15flash_attn_tileILi112ELi112ELi1ELi2ELb0EEvPKcS1_S1_S1_S1_PKiPfP15HIP_vector_typeIfLj2EEffffjfiS5_IjLj3EEiiiiiiiiiiiliiliiiiil,comdat
	.globl	_ZL15flash_attn_tileILi112ELi112ELi1ELi2ELb0EEvPKcS1_S1_S1_S1_PKiPfP15HIP_vector_typeIfLj2EEffffjfiS5_IjLj3EEiiiiiiiiiiiliiliiiiil ; -- Begin function _ZL15flash_attn_tileILi112ELi112ELi1ELi2ELb0EEvPKcS1_S1_S1_S1_PKiPfP15HIP_vector_typeIfLj2EEffffjfiS5_IjLj3EEiiiiiiiiiiiliiliiiiil
	.p2align	8
	.type	_ZL15flash_attn_tileILi112ELi112ELi1ELi2ELb0EEvPKcS1_S1_S1_S1_PKiPfP15HIP_vector_typeIfLj2EEffffjfiS5_IjLj3EEiiiiiiiiiiiliiliiiiil,@function
_ZL15flash_attn_tileILi112ELi112ELi1ELi2ELb0EEvPKcS1_S1_S1_S1_PKiPfP15HIP_vector_typeIfLj2EEffffjfiS5_IjLj3EEiiiiiiiiiiiliiliiiiil: ; @_ZL15flash_attn_tileILi112ELi112ELi1ELi2ELb0EEvPKcS1_S1_S1_S1_PKiPfP15HIP_vector_typeIfLj2EEffffjfiS5_IjLj3EEiiiiiiiiiiiliiliiiiil
; %bb.0:
	s_load_dwordx4 s[20:23], s[0:1], 0x5c
	s_load_dwordx2 s[24:25], s[0:1], 0x80
	s_load_dwordx2 s[28:29], s[0:1], 0xb8
	s_mov_b64 s[26:27], 0
	s_waitcnt lgkmcnt(0)
	s_lshr_b32 s5, s23, 31
	s_add_i32 s5, s23, s5
	s_ashr_i32 s5, s5, 1
	v_cvt_f32_u32_e32 v1, s5
	s_sub_i32 s6, 0, s5
	v_rcp_iflag_f32_e32 v1, v1
	s_nop 0
	v_mul_f32_e32 v1, 0x4f7ffffe, v1
	v_cvt_u32_f32_e32 v1, v1
	s_nop 0
	v_readfirstlane_b32 s7, v1
	s_mul_i32 s6, s6, s7
	s_mul_hi_u32 s6, s7, s6
	s_add_i32 s7, s7, s6
	s_mul_hi_u32 s6, s4, s7
	s_mul_i32 s7, s6, s5
	s_sub_i32 s7, s4, s7
	s_add_i32 s8, s6, 1
	s_sub_i32 s9, s7, s5
	s_cmp_ge_u32 s7, s5
	s_cselect_b32 s6, s8, s6
	s_cselect_b32 s7, s9, s7
	s_add_i32 s8, s6, 1
	s_cmp_ge_u32 s7, s5
	s_cselect_b32 s33, s8, s6
	s_abs_i32 s5, s25
	v_cvt_f32_u32_e32 v1, s5
	s_sub_i32 s7, 0, s5
	s_abs_i32 s6, s23
	s_lshl_b32 s30, s4, 1
	v_rcp_iflag_f32_e32 v1, v1
	s_xor_b32 s4, s23, s25
	s_ashr_i32 s4, s4, 31
	s_mul_i32 s25, s33, s23
	v_mul_f32_e32 v1, 0x4f7ffffe, v1
	v_cvt_u32_f32_e32 v1, v1
	s_nop 0
	v_readfirstlane_b32 s8, v1
	s_mul_i32 s7, s7, s8
	s_mul_hi_u32 s7, s8, s7
	s_add_i32 s8, s8, s7
	s_mul_hi_u32 s7, s6, s8
	s_mul_i32 s8, s7, s5
	s_sub_i32 s6, s6, s8
	s_add_i32 s9, s7, 1
	s_sub_i32 s8, s6, s5
	s_cmp_ge_u32 s6, s5
	s_cselect_b32 s7, s9, s7
	s_cselect_b32 s6, s8, s6
	s_add_i32 s8, s7, 1
	s_cmp_ge_u32 s6, s5
	s_cselect_b32 s5, s8, s7
	s_xor_b32 s5, s5, s4
	s_sub_i32 s34, s5, s4
	s_abs_i32 s35, s34
	v_cvt_f32_u32_e32 v1, s35
	s_load_dwordx16 s[4:19], s[0:1], 0x0
	v_rcp_iflag_f32_e32 v1, v1
	s_waitcnt lgkmcnt(0)
	s_cmp_eq_u64 s[10:11], 0
	v_mul_f32_e32 v1, 0x4f7ffffe, v1
	v_cvt_u32_f32_e32 v1, v1
	s_nop 0
	v_readfirstlane_b32 s36, v1
	s_cbranch_scc1 .LBB49_2
; %bb.1:
	s_abs_i32 s28, s28
	v_cvt_f32_u32_e32 v1, s28
	s_sub_i32 s38, 0, s28
	s_abs_i32 s37, s33
	s_ashr_i32 s31, s33, 31
	v_rcp_iflag_f32_e32 v1, v1
	s_load_dwordx2 s[26:27], s[0:1], 0xc8
	v_mul_f32_e32 v1, 0x4f7ffffe, v1
	v_cvt_u32_f32_e32 v1, v1
	s_nop 0
	v_readfirstlane_b32 s39, v1
	s_mul_i32 s38, s38, s39
	s_mul_hi_u32 s38, s39, s38
	s_add_i32 s39, s39, s38
	s_mul_hi_u32 s38, s37, s39
	s_mul_i32 s38, s38, s28
	s_sub_i32 s37, s37, s38
	s_sub_i32 s38, s37, s28
	s_cmp_ge_u32 s37, s28
	s_cselect_b32 s37, s38, s37
	s_sub_i32 s38, s37, s28
	s_cmp_ge_u32 s37, s28
	s_cselect_b32 s28, s38, s37
	s_xor_b32 s28, s28, s31
	s_sub_i32 s28, s28, s31
	s_ashr_i32 s31, s28, 31
	s_waitcnt lgkmcnt(0)
	s_mul_i32 s27, s28, s27
	s_mul_hi_u32 s37, s28, s26
	s_add_i32 s27, s37, s27
	s_mul_i32 s31, s31, s26
	s_add_i32 s27, s27, s31
	s_mul_i32 s28, s28, s26
	s_add_u32 s26, s10, s28
	s_addc_u32 s27, s11, s27
.LBB49_2:
	v_bfe_u32 v1, v0, 10, 10
	v_lshrrev_b32_e32 v41, 1, v1
	v_and_b32_e32 v40, 0x3ff, v0
	v_add_u32_e32 v0, s2, v41
	s_sub_i32 s25, s30, s25
	v_and_b32_e32 v69, 1, v1
	v_cmp_gt_u32_e64 s[10:11], 28, v40
	v_mul_hi_u32 v2, s20, v0
	s_and_saveexec_b64 s[30:31], s[10:11]
	s_cbranch_execz .LBB49_4
; %bb.3:
	s_load_dwordx4 s[40:43], s[0:1], 0x70
	s_waitcnt lgkmcnt(0)
	s_mul_i32 s20, s33, s42
	s_ashr_i32 s37, s20, 31
	s_mul_i32 s28, s25, s41
	s_add_u32 s4, s4, s20
	s_addc_u32 s5, s5, s37
	s_ashr_i32 s20, s28, 31
	s_add_u32 s4, s4, s28
	v_mov_b32_e32 v3, s41
	s_addc_u32 s5, s5, s20
	s_ashr_i32 s20, s41, 31
	v_alignbit_b32 v3, s20, v3, 2
	v_mul_lo_u32 v4, v3, v69
	v_add_u32_e32 v3, v0, v2
	s_lshr_b32 s20, s20, 2
	v_lshrrev_b32_e32 v3, s21, v3
	v_mul_lo_u32 v5, s20, v69
	v_mul_lo_u32 v3, v3, s22
	s_ashr_i32 s20, s40, 31
	v_mov_b32_e32 v6, s40
	v_sub_u32_e32 v3, v0, v3
	v_alignbit_b32 v6, s20, v6, 2
	v_mad_u64_u32 v[6:7], s[38:39], v6, v3, 0
	v_mov_b32_e32 v8, v7
	s_lshr_b32 s20, s20, 2
	v_mad_u64_u32 v[8:9], s[38:39], s20, v3, v[8:9]
	v_mov_b32_e32 v7, v8
	v_lshl_add_u64 v[4:5], v[4:5], 2, s[4:5]
	v_lshl_add_u64 v[4:5], v[6:7], 2, v[4:5]
	v_lshlrev_b32_e32 v6, 4, v40
	v_mov_b32_e32 v7, 0
	v_lshl_add_u64 v[4:5], v[4:5], 0, v[6:7]
	global_load_dwordx4 v[4:7], v[4:5], off
	s_load_dword s4, s[0:1], 0x40
	v_mul_u32_u24_e32 v3, 56, v1
	s_waitcnt vmcnt(0) lgkmcnt(0)
	v_pk_mul_f32 v[4:5], v[4:5], s[4:5] op_sel_hi:[1,0]
	v_pk_mul_f32 v[6:7], v[6:7], s[4:5] op_sel_hi:[1,0]
	v_cvt_f16_f32_e32 v8, v5
	v_cvt_f16_f32_e32 v5, v7
	;; [unrolled: 1-line block ×4, first 2 shown]
	v_lshlrev_b32_e32 v7, 1, v40
	v_add_lshl_u32 v3, v3, v7, 2
	v_pack_b32_f16 v5, v6, v5
	v_pack_b32_f16 v4, v4, v8
	ds_write_b64 v3, v[4:5] offset:4160
.LBB49_4:
	s_or_b64 exec, exec, s[30:31]
	s_cmp_eq_u64 s[14:15], 0
	s_waitcnt lgkmcnt(0)
	; wave barrier
	s_waitcnt lgkmcnt(0)
	s_cbranch_scc1 .LBB49_6
; %bb.5:
	s_load_dword s4, s[0:1], 0xd0
	s_mov_b32 s5, 0
	s_waitcnt lgkmcnt(0)
	s_mul_i32 s4, s4, s33
	s_add_i32 s4, s4, s2
	s_lshl_b64 s[4:5], s[4:5], 2
	s_add_u32 s4, s14, s4
	s_addc_u32 s5, s15, s5
	s_load_dword s24, s[4:5], 0x0
.LBB49_6:
	s_lshl_b32 s30, s3, 5
	s_waitcnt lgkmcnt(0)
	s_cmp_lt_i32 s30, s24
	v_mbcnt_lo_u32_b32 v3, -1, 0
	s_cbranch_scc1 .LBB49_8
; %bb.7:
	v_mbcnt_hi_u32_b32 v53, -1, v3
	v_and_b32_e32 v4, 0x60, v53
	s_mov_b32 s14, 0
	v_add_u32_e32 v87, 32, v4
	v_xor_b32_e32 v88, 16, v53
	v_xor_b32_e32 v89, 8, v53
	;; [unrolled: 1-line block ×5, first 2 shown]
	s_mov_b64 s[4:5], 0
	s_mov_b32 s15, 0xfeffffff
	s_branch .LBB49_9
.LBB49_8:
	s_mov_b64 s[4:5], -1
                                        ; implicit-def: $sgpr15
                                        ; implicit-def: $sgpr14
                                        ; implicit-def: $vgpr53
                                        ; implicit-def: $vgpr87
                                        ; implicit-def: $vgpr88
                                        ; implicit-def: $vgpr89
                                        ; implicit-def: $vgpr90
                                        ; implicit-def: $vgpr91
                                        ; implicit-def: $vgpr92
.LBB49_9:
	s_andn2_b64 vcc, exec, s[4:5]
	v_mov_b32_e32 v68, s15
	v_mov_b32_e32 v93, s14
	;; [unrolled: 1-line block ×4, first 2 shown]
	s_cbranch_vccnz .LBB49_21
; %bb.10:
	s_sub_i32 s4, 0, s35
	s_mul_i32 s4, s4, s36
	s_mul_hi_u32 s4, s36, s4
	s_add_i32 s14, s36, s4
	s_load_dwordx2 s[4:5], s[0:1], 0x8c
	s_load_dwordx4 s[36:39], s[0:1], 0x98
	s_ashr_i32 s41, s34, 31
	s_abs_i32 s20, s25
	s_ashr_i32 s40, s25, 31
	s_waitcnt lgkmcnt(0)
	s_ashr_i32 s34, s4, 2
	s_ashr_i32 s31, s38, 2
	;; [unrolled: 1-line block ×4, first 2 shown]
	s_mul_i32 s37, s33, s37
	s_mul_hi_u32 s38, s33, s36
	s_add_i32 s37, s38, s37
	s_mul_i32 s38, s29, s36
	s_add_i32 s37, s37, s38
	s_mul_i32 s36, s33, s36
	s_mul_hi_u32 s28, s20, s14
	s_add_u32 s6, s6, s36
	s_addc_u32 s7, s7, s37
	s_mul_i32 s37, s28, s35
	s_sub_i32 s20, s20, s37
	s_xor_b32 s36, s40, s41
	s_add_i32 s37, s28, 1
	s_sub_i32 s38, s20, s35
	s_cmp_ge_u32 s20, s35
	s_cselect_b32 s28, s37, s28
	s_cselect_b32 s20, s38, s20
	s_add_i32 s37, s28, 1
	s_cmp_ge_u32 s20, s35
	s_load_dwordx2 s[14:15], s[0:1], 0xa8
	s_cselect_b32 s20, s37, s28
	s_xor_b32 s20, s20, s36
	s_sub_i32 s20, s20, s36
	s_mul_i32 s5, s20, s5
	s_ashr_i32 s28, s5, 31
	s_add_u32 s35, s6, s5
	s_waitcnt lgkmcnt(0)
	s_mul_i32 s5, s33, s15
	s_mul_hi_u32 s6, s33, s14
	s_addc_u32 s36, s7, s28
	s_add_i32 s5, s6, s5
	s_mul_i32 s29, s29, s14
	s_add_i32 s5, s5, s29
	s_mul_i32 s6, s33, s14
	v_lshrrev_b32_e32 v4, 1, v40
	v_lshlrev_b32_e32 v8, 2, v40
	v_add_u32_e32 v2, v0, v2
	s_add_u32 s6, s8, s6
	s_mul_i32 s20, s20, s39
	v_lshl_add_u32 v7, v1, 4, v4
	v_and_b32_e32 v4, 4, v8
	v_lshrrev_b32_e32 v2, s21, v2
	s_addc_u32 s5, s9, s5
	s_ashr_i32 s7, s20, 31
	v_lshlrev_b32_e32 v6, 7, v7
	v_lshlrev_b32_e32 v9, 2, v4
	v_mul_lo_u32 v2, v2, s22
	s_add_u32 s37, s6, s20
	v_or3_b32 v73, v6, v9, 64
	v_lshrrev_b32_e32 v6, 2, v40
	v_sub_u32_e32 v0, v0, v2
	s_addc_u32 s38, s5, s7
	v_lshl_add_u32 v10, v1, 3, v6
	v_and_b32_e32 v6, 12, v8
	s_movk_i32 s6, 0xe0
	v_mov_b32_e32 v12, 0x1040
	v_mad_u64_u32 v[52:53], s[4:5], v0, s4, v[40:41]
	v_mov_b32_e32 v0, 0x1200
	v_lshrrev_b32_e32 v2, 3, v40
	v_lshl_add_u32 v5, v1, 5, v40
	v_lshlrev_b32_e32 v11, 2, v6
	v_mad_u32_u24 v76, v1, s6, v12
	v_lshl_add_u32 v78, v1, 6, v0
	v_mul_u32_u24_e32 v0, 0xe0, v10
	v_lshl_add_u32 v1, v1, 2, v2
	v_mul_u32_u24_e32 v2, 0xe0, v7
	s_movk_i32 s7, 0x80
	v_or_b32_e32 v2, v2, v9
	v_add3_u32 v82, v0, v11, s7
	v_and_b32_e32 v0, 28, v8
	v_mul_lo_u32 v46, s34, v10
	v_mul_lo_u32 v56, s31, v1
	v_add_u32_e32 v81, 0xc0, v2
	v_lshlrev_b32_e32 v2, 2, v0
	v_lshlrev_b32_e32 v72, 7, v40
	v_mul_lo_u32 v42, s34, v7
	v_mov_b32_e32 v45, 0
	v_lshl_or_b32 v74, v10, 7, v11
	v_lshl_add_u32 v48, s34, 4, v46
	v_mul_lo_u32 v50, s34, v5
	v_mul_lo_u32 v54, s31, v10
	v_lshl_add_u32 v58, s31, 3, v56
	v_mul_lo_u32 v60, s31, v7
	v_mad_u32_u24 v83, v1, s6, v2
	s_add_u32 s14, s0, 0xd0
	v_lshlrev_b32_e32 v62, 2, v6
	v_cmp_gt_u32_e32 vcc, 32, v5
	v_ashrrev_i32_e32 v43, 31, v42
	v_ashrrev_i32_e32 v47, 31, v46
	v_add_u32_e32 v75, 0x800, v74
	v_ashrrev_i32_e32 v49, 31, v48
	v_ashrrev_i32_e32 v51, 31, v50
	v_or_b32_e32 v77, 0x60, v72
	v_lshl_add_u32 v79, v40, 1, v78
	v_cmp_gt_u32_e64 s[4:5], 16, v7
	v_ashrrev_i32_e32 v55, 31, v54
	v_ashrrev_i32_e32 v57, 31, v56
	;; [unrolled: 1-line block ×3, first 2 shown]
	v_lshlrev_b32_e32 v80, 3, v40
	v_ashrrev_i32_e32 v61, 31, v60
	v_add_u32_e32 v84, 0x700, v83
	s_addc_u32 s15, s1, 0
	v_mov_b32_e32 v8, 0xfeffffff
	v_lshlrev_b32_e32 v44, 2, v4
	v_mbcnt_hi_u32_b32 v53, -1, v3
	s_mov_b32 s39, 0x3fb8aa3b
	s_mov_b32 s40, 0xc2ce8ed0
	;; [unrolled: 1-line block ×3, first 2 shown]
	v_lshlrev_b32_e32 v64, 2, v0
	v_mov_b32_e32 v66, v62
	v_mov_b32_e32 v67, v45
	;; [unrolled: 1-line block ×6, first 2 shown]
.LBB49_11:                              ; =>This Inner Loop Header: Depth=1
	s_mul_hi_i32 s7, s30, s34
	s_mul_i32 s6, s30, s34
	s_lshl_b64 s[6:7], s[6:7], 2
	s_add_u32 s6, s35, s6
	s_addc_u32 s7, s36, s7
	v_lshl_add_u64 v[0:1], v[50:51], 2, s[6:7]
	s_and_saveexec_b64 s[8:9], vcc
	s_cbranch_execz .LBB49_13
; %bb.12:                               ;   in Loop: Header=BB49_11 Depth=1
	global_load_dwordx4 v[2:5], v[0:1], off offset:96
	s_waitcnt vmcnt(0)
	ds_write_b128 v77, v[2:5]
.LBB49_13:                              ;   in Loop: Header=BB49_11 Depth=1
	s_or_b64 exec, exec, s[8:9]
	v_lshl_add_u64 v[4:5], v[42:43], 2, s[6:7]
	v_lshl_add_u64 v[2:3], v[4:5], 0, v[44:45]
	global_load_dwordx4 v[10:13], v[2:3], off offset:64
	v_lshl_add_u64 v[2:3], v[46:47], 2, s[6:7]
	v_lshl_add_u64 v[2:3], v[2:3], 0, v[66:67]
	;; [unrolled: 1-line block ×4, first 2 shown]
	global_load_dwordx4 v[14:17], v[2:3], off
	global_load_dwordx4 v[18:21], v[6:7], off
	v_mov_b32_e32 v9, v45
	s_waitcnt vmcnt(2)
	ds_write_b128 v73, v[10:13]
	s_waitcnt vmcnt(1)
	ds_write_b128 v74, v[14:17]
	;; [unrolled: 2-line block ×3, first 2 shown]
	s_waitcnt lgkmcnt(0)
	; wave barrier
	s_waitcnt lgkmcnt(0)
	ds_read_b128 v[10:13], v72
	ds_read_b128 v[14:17], v76
	s_waitcnt lgkmcnt(0)
	;;#ASMSTART
	v_dot2_f32_f16 v9, v10, v14, v9
	;;#ASMEND
	s_nop 0
	;;#ASMSTART
	v_dot2_f32_f16 v9, v11, v15, v9
	;;#ASMEND
	s_nop 0
	;;#ASMSTART
	v_dot2_f32_f16 v9, v12, v16, v9
	;;#ASMEND
	s_nop 0
	;;#ASMSTART
	v_dot2_f32_f16 v9, v13, v17, v9
	;;#ASMEND
	ds_read_b128 v[10:13], v72 offset:16
	ds_read_b128 v[14:17], v76 offset:16
	s_waitcnt lgkmcnt(0)
	;;#ASMSTART
	v_dot2_f32_f16 v9, v10, v14, v9
	;;#ASMEND
	s_nop 0
	;;#ASMSTART
	v_dot2_f32_f16 v9, v11, v15, v9
	;;#ASMEND
	s_nop 0
	;;#ASMSTART
	v_dot2_f32_f16 v9, v12, v16, v9
	;;#ASMEND
	s_nop 0
	;;#ASMSTART
	v_dot2_f32_f16 v9, v13, v17, v9
	;;#ASMEND
	ds_read_b128 v[10:13], v72 offset:32
	ds_read_b128 v[14:17], v76 offset:32
	;; [unrolled: 18-line block ×6, first 2 shown]
	s_waitcnt lgkmcnt(0)
	;;#ASMSTART
	v_dot2_f32_f16 v9, v10, v14, v9
	;;#ASMEND
	s_nop 0
	;;#ASMSTART
	v_dot2_f32_f16 v9, v11, v15, v9
	;;#ASMEND
	s_nop 0
	;; [unrolled: 4-line block ×3, first 2 shown]
	;;#ASMSTART
	v_dot2_f32_f16 v9, v13, v17, v9
	;;#ASMEND
	s_waitcnt lgkmcnt(0)
	; wave barrier
	s_and_saveexec_b64 s[6:7], vcc
	s_cbranch_execz .LBB49_15
; %bb.14:                               ;   in Loop: Header=BB49_11 Depth=1
	global_load_dwordx4 v[10:13], v[0:1], off offset:208
	s_waitcnt vmcnt(0)
	ds_write_b128 v77, v[10:13]
.LBB49_15:                              ;   in Loop: Header=BB49_11 Depth=1
	s_or_b64 exec, exec, s[6:7]
	v_lshl_add_u64 v[0:1], v[4:5], 0, v[44:45]
	global_load_dwordx4 v[10:13], v[0:1], off offset:176
	global_load_dwordx4 v[14:17], v[2:3], off offset:112
	;; [unrolled: 1-line block ×3, first 2 shown]
	v_xor_b32_e32 v88, 16, v53
	v_xor_b32_e32 v89, 8, v53
	;; [unrolled: 1-line block ×5, first 2 shown]
	s_waitcnt vmcnt(2)
	ds_write_b128 v73, v[10:13]
	s_waitcnt vmcnt(1)
	ds_write_b128 v74, v[14:17]
	;; [unrolled: 2-line block ×3, first 2 shown]
	s_waitcnt lgkmcnt(0)
	; wave barrier
	s_waitcnt lgkmcnt(0)
	ds_read_b128 v[0:3], v72
	ds_read_b128 v[4:7], v76 offset:112
	v_add_u32_e32 v10, s30, v52
	s_waitcnt lgkmcnt(0)
	;;#ASMSTART
	v_dot2_f32_f16 v9, v0, v4, v9
	;;#ASMEND
	s_nop 0
	;;#ASMSTART
	v_dot2_f32_f16 v9, v1, v5, v9
	;;#ASMEND
	v_ashrrev_i32_e32 v11, 31, v10
	;;#ASMSTART
	v_dot2_f32_f16 v9, v2, v6, v9
	;;#ASMEND
	v_lshl_add_u64 v[10:11], v[10:11], 1, s[26:27]
	;;#ASMSTART
	v_dot2_f32_f16 v9, v3, v7, v9
	;;#ASMEND
	ds_read_b128 v[0:3], v72 offset:16
	ds_read_b128 v[4:7], v76 offset:128
	s_waitcnt lgkmcnt(0)
	;;#ASMSTART
	v_dot2_f32_f16 v9, v0, v4, v9
	;;#ASMEND
	s_nop 0
	;;#ASMSTART
	v_dot2_f32_f16 v9, v1, v5, v9
	;;#ASMEND
	s_nop 0
	;;#ASMSTART
	v_dot2_f32_f16 v9, v2, v6, v9
	;;#ASMEND
	s_nop 0
	;;#ASMSTART
	v_dot2_f32_f16 v9, v3, v7, v9
	;;#ASMEND
	ds_read_b128 v[0:3], v72 offset:32
	ds_read_b128 v[4:7], v76 offset:144
	s_waitcnt lgkmcnt(0)
	;;#ASMSTART
	v_dot2_f32_f16 v9, v0, v4, v9
	;;#ASMEND
	s_nop 0
	;;#ASMSTART
	v_dot2_f32_f16 v9, v1, v5, v9
	;;#ASMEND
	s_nop 0
	;;#ASMSTART
	v_dot2_f32_f16 v9, v2, v6, v9
	;;#ASMEND
	s_nop 0
	;; [unrolled: 18-line block ×5, first 2 shown]
	;;#ASMSTART
	v_dot2_f32_f16 v9, v3, v7, v9
	;;#ASMEND
	ds_read_b128 v[0:3], v72 offset:96
	ds_read_b128 v[4:7], v76 offset:208
	s_waitcnt lgkmcnt(0)
	;;#ASMSTART
	v_dot2_f32_f16 v9, v0, v4, v9
	;;#ASMEND
	s_nop 0
	;;#ASMSTART
	v_dot2_f32_f16 v9, v1, v5, v9
	;;#ASMEND
	v_max_f32_e32 v1, v8, v8
	;;#ASMSTART
	v_dot2_f32_f16 v9, v2, v6, v9
	;;#ASMEND
	v_and_b32_e32 v2, 0x60, v53
	;;#ASMSTART
	v_dot2_f32_f16 v9, v3, v7, v9
	;;#ASMEND
	flat_load_ushort v0, v[10:11]
	v_add_u32_e32 v87, 32, v2
	v_cmp_lt_i32_e64 s[6:7], v88, v87
	s_waitcnt lgkmcnt(0)
	; wave barrier
	s_waitcnt lgkmcnt(0)
	v_cndmask_b32_e64 v2, v53, v88, s[6:7]
	v_lshlrev_b32_e32 v2, 2, v2
	v_cmp_lt_i32_e64 s[6:7], v89, v87
	s_waitcnt vmcnt(0)
	v_cvt_f32_f16_e32 v0, v0
	v_add_f32_e32 v0, v9, v0
	v_add_f32_e32 v3, 0x40051340, v0
	v_max_f32_e32 v1, v1, v3
	ds_bpermute_b32 v2, v2, v1
	v_cndmask_b32_e64 v3, v53, v89, s[6:7]
	v_lshlrev_b32_e32 v3, 2, v3
	v_cmp_lt_i32_e64 s[6:7], v90, v87
	s_waitcnt lgkmcnt(0)
	v_max_f32_e32 v2, v2, v2
	v_max_f32_e32 v1, v1, v2
	ds_bpermute_b32 v2, v3, v1
	v_cndmask_b32_e64 v3, v53, v90, s[6:7]
	v_lshlrev_b32_e32 v3, 2, v3
	v_cmp_lt_i32_e64 s[6:7], v91, v87
	s_waitcnt lgkmcnt(0)
	v_max_f32_e32 v2, v2, v2
	;; [unrolled: 7-line block ×3, first 2 shown]
	v_max_f32_e32 v1, v1, v2
	ds_bpermute_b32 v2, v3, v1
	v_cndmask_b32_e64 v3, v53, v92, s[6:7]
	v_lshlrev_b32_e32 v3, 2, v3
	s_mul_hi_i32 s7, s30, s31
	s_mul_i32 s6, s30, s31
	s_waitcnt lgkmcnt(0)
	v_max_f32_e32 v2, v2, v2
	v_max_f32_e32 v1, v1, v2
	ds_bpermute_b32 v2, v3, v1
	s_lshl_b64 s[8:9], s[6:7], 2
	s_waitcnt lgkmcnt(0)
	v_max_f32_e32 v2, v2, v2
	v_max_f32_e32 v68, v1, v2
	v_sub_f32_e32 v0, v0, v68
	v_mul_f32_e32 v1, 0x3fb8aa3b, v0
	v_fma_f32 v2, v0, s39, -v1
	v_rndne_f32_e32 v3, v1
	v_fmac_f32_e32 v2, 0x32a5705f, v0
	v_sub_f32_e32 v1, v1, v3
	v_add_f32_e32 v1, v1, v2
	v_cvt_i32_f32_e32 v3, v3
	v_exp_f32_e32 v1, v1
	v_cmp_ngt_f32_e64 s[6:7], s40, v0
	v_ldexp_f32 v1, v1, v3
	s_nop 0
	v_cndmask_b32_e64 v1, 0, v1, s[6:7]
	v_cmp_nlt_f32_e64 s[6:7], s41, v0
	s_nop 1
	v_cndmask_b32_e64 v93, v85, v1, s[6:7]
	v_cvt_f16_f32_e32 v0, v93
	s_add_u32 s6, s37, s8
	s_addc_u32 s7, s38, s9
	ds_write_b16 v79, v0
	s_and_saveexec_b64 s[8:9], s[4:5]
	s_cbranch_execz .LBB49_17
; %bb.16:                               ;   in Loop: Header=BB49_11 Depth=1
	v_lshl_add_u64 v[0:1], v[60:61], 2, s[6:7]
	v_lshl_add_u64 v[0:1], v[0:1], 0, v[44:45]
	global_load_dwordx4 v[0:3], v[0:1], off offset:192
	s_waitcnt vmcnt(0)
	ds_write_b128 v81, v[0:3]
.LBB49_17:                              ;   in Loop: Header=BB49_11 Depth=1
	s_or_b64 exec, exec, s[8:9]
	v_lshl_add_u64 v[0:1], v[54:55], 2, s[6:7]
	v_mov_b32_e32 v63, v45
	v_lshl_add_u64 v[10:11], v[0:1], 0, v[62:63]
	v_lshl_add_u64 v[0:1], v[56:57], 2, s[6:7]
	v_mov_b32_e32 v65, v45
	v_lshl_add_u64 v[12:13], v[0:1], 0, v[64:65]
	global_load_dwordx4 v[0:3], v[10:11], off offset:128
	global_load_dwordx4 v[4:7], v[12:13], off
	v_lshl_add_u64 v[10:11], v[58:59], 2, s[6:7]
	v_lshl_add_u64 v[10:11], v[10:11], 0, v[64:65]
	global_load_dwordx4 v[10:13], v[10:11], off
	v_sub_f32_e32 v95, v8, v68
	v_add_u32_e32 v94, 0x800, v80
	s_or_b32 s20, s30, 16
	s_mul_hi_i32 s21, s20, s31
	s_mul_i32 s20, s20, s31
	s_lshl_b64 s[20:21], s[20:21], 2
	s_add_u32 s20, s37, s20
	v_cmp_ngt_f32_e64 s[6:7], s40, v95
	v_cmp_nlt_f32_e64 s[8:9], s41, v95
	s_addc_u32 s21, s38, s21
	s_waitcnt vmcnt(2)
	ds_write_b128 v82, v[0:3]
	s_waitcnt vmcnt(1)
	ds_write_b128 v83, v[4:7]
	;; [unrolled: 2-line block ×3, first 2 shown]
	s_waitcnt lgkmcnt(0)
	; wave barrier
	s_waitcnt lgkmcnt(0)
	ds_read2_b64 v[36:39], v80 offset1:28
	ds_read_b128 v[16:19], v78
	ds_read_b128 v[0:3], v78 offset:16
	ds_read2_b64 v[32:35], v80 offset0:56 offset1:84
	ds_read2_b64 v[28:31], v80 offset0:112 offset1:140
	;; [unrolled: 1-line block ×7, first 2 shown]
	s_waitcnt lgkmcnt(0)
	; wave barrier
	s_waitcnt lgkmcnt(0)
	s_and_saveexec_b64 s[28:29], s[4:5]
	s_cbranch_execz .LBB49_19
; %bb.18:                               ;   in Loop: Header=BB49_11 Depth=1
	v_lshl_add_u64 v[96:97], v[60:61], 2, s[20:21]
	v_lshl_add_u64 v[96:97], v[96:97], 0, v[44:45]
	global_load_dwordx4 v[96:99], v[96:97], off offset:192
	s_waitcnt vmcnt(0)
	ds_write_b128 v81, v[96:99]
.LBB49_19:                              ;   in Loop: Header=BB49_11 Depth=1
	s_or_b64 exec, exec, s[28:29]
	v_lshl_add_u64 v[96:97], v[54:55], 2, s[20:21]
	v_lshl_add_u64 v[104:105], v[96:97], 0, v[62:63]
	;; [unrolled: 1-line block ×4, first 2 shown]
	global_load_dwordx4 v[96:99], v[104:105], off offset:128
	global_load_dwordx4 v[100:103], v[106:107], off
	v_lshl_add_u64 v[104:105], v[58:59], 2, s[20:21]
	v_lshl_add_u64 v[104:105], v[104:105], 0, v[64:65]
	global_load_dwordx4 v[104:107], v[104:105], off
	v_mul_f32_e32 v63, 0x3fb8aa3b, v95
	v_fma_f32 v65, v95, s39, -v63
	v_rndne_f32_e32 v108, v63
	v_fmac_f32_e32 v65, 0x32a5705f, v95
	v_sub_f32_e32 v63, v63, v108
	v_add_f32_e32 v63, v63, v65
	v_cvt_i32_f32_e32 v95, v108
	v_exp_f32_e32 v63, v63
	v_pk_mul_f16 v36, v36, v16 op_sel_hi:[1,0]
	v_pk_mul_f16 v37, v37, v16 op_sel_hi:[1,0]
	s_waitcnt vmcnt(2)
	ds_write_b128 v82, v[96:99]
	s_waitcnt vmcnt(1)
	ds_write_b128 v83, v[100:103]
	;; [unrolled: 2-line block ×3, first 2 shown]
	v_ldexp_f32 v63, v63, v95
	v_cndmask_b32_e64 v63, 0, v63, s[6:7]
	v_cndmask_b32_e64 v63, v85, v63, s[8:9]
	v_cvt_f16_f32_e32 v65, v63
	v_fmac_f32_e32 v93, v86, v63
	s_waitcnt lgkmcnt(0)
	; wave barrier
	s_waitcnt lgkmcnt(0)
	v_pk_fma_f16 v36, v71, v65, v36 op_sel_hi:[1,0,1]
	v_pk_fma_f16 v37, v70, v65, v37 op_sel_hi:[1,0,1]
	v_pk_fma_f16 v36, v38, v16, v36 op_sel:[0,1,0]
	v_pk_fma_f16 v16, v39, v16, v37 op_sel:[0,1,0]
	v_pk_fma_f16 v32, v32, v17, v36 op_sel_hi:[1,0,1]
	v_pk_fma_f16 v16, v33, v17, v16 op_sel_hi:[1,0,1]
	v_pk_fma_f16 v32, v34, v17, v32 op_sel:[0,1,0]
	v_pk_fma_f16 v16, v35, v17, v16 op_sel:[0,1,0]
	;; [unrolled: 4-line block ×8, first 2 shown]
	ds_read2_b64 v[0:3], v80 offset1:28
	ds_read_b128 v[4:7], v78 offset:32
	ds_read_b128 v[8:11], v78 offset:48
	ds_read2_b64 v[12:15], v80 offset0:56 offset1:84
	ds_read2_b64 v[16:19], v80 offset0:112 offset1:140
	;; [unrolled: 1-line block ×7, first 2 shown]
	s_waitcnt lgkmcnt(8)
	v_pk_fma_f16 v0, v0, v4, v63 op_sel_hi:[1,0,1]
	v_pk_fma_f16 v1, v1, v4, v65 op_sel_hi:[1,0,1]
	v_pk_fma_f16 v0, v2, v4, v0 op_sel:[0,1,0]
	v_pk_fma_f16 v1, v3, v4, v1 op_sel:[0,1,0]
	s_waitcnt lgkmcnt(6)
	v_pk_fma_f16 v0, v12, v5, v0 op_sel_hi:[1,0,1]
	v_pk_fma_f16 v1, v13, v5, v1 op_sel_hi:[1,0,1]
	v_pk_fma_f16 v0, v14, v5, v0 op_sel:[0,1,0]
	v_pk_fma_f16 v1, v15, v5, v1 op_sel:[0,1,0]
	s_waitcnt lgkmcnt(5)
	v_pk_fma_f16 v0, v16, v6, v0 op_sel_hi:[1,0,1]
	v_pk_fma_f16 v1, v17, v6, v1 op_sel_hi:[1,0,1]
	v_pk_fma_f16 v0, v18, v6, v0 op_sel:[0,1,0]
	v_pk_fma_f16 v1, v19, v6, v1 op_sel:[0,1,0]
	s_waitcnt lgkmcnt(4)
	v_pk_fma_f16 v0, v20, v7, v0 op_sel_hi:[1,0,1]
	v_pk_fma_f16 v1, v21, v7, v1 op_sel_hi:[1,0,1]
	v_pk_fma_f16 v0, v22, v7, v0 op_sel:[0,1,0]
	v_pk_fma_f16 v1, v23, v7, v1 op_sel:[0,1,0]
	s_waitcnt lgkmcnt(0)
	; wave barrier
	s_waitcnt lgkmcnt(0)
	s_load_dword s6, s[14:15], 0x4
	v_pk_fma_f16 v0, v24, v8, v0 op_sel_hi:[1,0,1]
	v_pk_fma_f16 v1, v25, v8, v1 op_sel_hi:[1,0,1]
	v_pk_fma_f16 v0, v26, v8, v0 op_sel:[0,1,0]
	v_pk_fma_f16 v1, v27, v8, v1 op_sel:[0,1,0]
	v_pk_fma_f16 v0, v28, v9, v0 op_sel_hi:[1,0,1]
	v_pk_fma_f16 v1, v29, v9, v1 op_sel_hi:[1,0,1]
	v_pk_fma_f16 v0, v30, v9, v0 op_sel:[0,1,0]
	v_pk_fma_f16 v1, v31, v9, v1 op_sel:[0,1,0]
	;; [unrolled: 4-line block ×3, first 2 shown]
	s_waitcnt lgkmcnt(0)
	s_lshl_b32 s6, s6, 5
	v_pk_fma_f16 v0, v36, v11, v0 op_sel_hi:[1,0,1]
	v_pk_fma_f16 v1, v37, v11, v1 op_sel_hi:[1,0,1]
	s_add_i32 s30, s6, s30
	v_pk_fma_f16 v71, v38, v11, v0 op_sel:[0,1,0]
	s_cmp_lt_i32 s30, s24
	v_pk_fma_f16 v70, v39, v11, v1 op_sel:[0,1,0]
	s_cbranch_scc0 .LBB49_21
; %bb.20:                               ;   in Loop: Header=BB49_11 Depth=1
	v_mov_b32_e32 v8, v68
	v_mov_b32_e32 v86, v93
	s_branch .LBB49_11
.LBB49_21:
	v_cmp_lt_i32_e32 vcc, v88, v87
	s_cmp_eq_u64 s[12:13], 0
	s_cselect_b64 s[4:5], -1, 0
	v_cndmask_b32_e32 v0, v53, v88, vcc
	v_lshlrev_b32_e32 v0, 2, v0
	ds_bpermute_b32 v0, v0, v93
	v_cmp_lt_i32_e32 vcc, v89, v87
	s_cmp_lg_u32 s3, 0
	s_cselect_b64 s[6:7], -1, 0
	v_cndmask_b32_e32 v1, v53, v89, vcc
	v_lshlrev_b32_e32 v1, 2, v1
	s_waitcnt lgkmcnt(0)
	v_add_f32_e32 v0, v93, v0
	ds_bpermute_b32 v1, v1, v0
	v_cmp_lt_i32_e32 vcc, v90, v87
	s_or_b64 s[4:5], s[6:7], s[4:5]
	s_waitcnt lgkmcnt(0)
	v_add_f32_e32 v0, v0, v1
	v_cndmask_b32_e32 v2, v53, v90, vcc
	v_lshlrev_b32_e32 v2, 2, v2
	ds_bpermute_b32 v1, v2, v0
	v_cmp_lt_i32_e32 vcc, v91, v87
	s_waitcnt lgkmcnt(0)
	v_add_f32_e32 v1, v0, v1
	v_cndmask_b32_e32 v2, v53, v91, vcc
	v_lshlrev_b32_e32 v2, 2, v2
	ds_bpermute_b32 v2, v2, v1
	v_cmp_lt_i32_e32 vcc, v92, v87
	v_add_u32_e32 v0, s25, v69
	s_waitcnt lgkmcnt(0)
	v_add_f32_e32 v1, v1, v2
	v_cndmask_b32_e32 v3, v53, v92, vcc
	v_lshlrev_b32_e32 v3, 2, v3
	ds_bpermute_b32 v2, v3, v1
	s_and_b64 vcc, exec, s[4:5]
	s_waitcnt lgkmcnt(0)
	v_add_f32_e32 v69, v1, v2
	s_cbranch_vccnz .LBB49_23
; %bb.22:
	v_ashrrev_i32_e32 v1, 31, v0
	v_lshl_add_u64 v[2:3], v[0:1], 2, s[12:13]
	global_load_dword v1, v[2:3], off
	v_max_f32_e32 v2, v68, v68
	s_mov_b32 s4, 0x3fb8aa3b
	s_mov_b32 s5, 0xc2ce8ed0
	s_waitcnt vmcnt(0)
	v_max_f32_e32 v3, v1, v1
	v_max_f32_e32 v2, v2, v3
	v_sub_f32_e32 v3, v68, v2
	v_sub_f32_e32 v1, v1, v2
	v_mul_f32_e32 v4, 0x3fb8aa3b, v3
	v_mul_f32_e32 v5, 0x3fb8aa3b, v1
	v_fma_f32 v6, v3, s4, -v4
	v_rndne_f32_e32 v7, v4
	v_fma_f32 v8, v1, s4, -v5
	v_rndne_f32_e32 v9, v5
	v_fmac_f32_e32 v6, 0x32a5705f, v3
	v_sub_f32_e32 v4, v4, v7
	v_fmac_f32_e32 v8, 0x32a5705f, v1
	v_sub_f32_e32 v5, v5, v9
	v_add_f32_e32 v4, v4, v6
	v_cvt_i32_f32_e32 v7, v7
	v_add_f32_e32 v5, v5, v8
	v_exp_f32_e32 v4, v4
	v_cvt_i32_f32_e32 v9, v9
	v_exp_f32_e32 v5, v5
	v_cmp_ngt_f32_e32 vcc, s5, v3
	v_ldexp_f32 v4, v4, v7
	s_mov_b32 s4, 0x42b17218
	v_ldexp_f32 v5, v5, v9
	v_cndmask_b32_e32 v4, 0, v4, vcc
	v_cmp_ngt_f32_e32 vcc, s5, v1
	v_mov_b32_e32 v6, 0x7f800000
	s_nop 0
	v_cndmask_b32_e32 v5, 0, v5, vcc
	v_cmp_nlt_f32_e32 vcc, s4, v3
	s_nop 1
	v_cndmask_b32_e32 v4, v6, v4, vcc
	v_cvt_f16_f32_e32 v7, v4
	v_cmp_nlt_f32_e32 vcc, s4, v1
	v_pk_mul_f16 v71, v7, v71 op_sel_hi:[0,1]
	s_nop 0
	v_cndmask_b32_e32 v3, v6, v5, vcc
	v_fmac_f32_e32 v3, v69, v4
	v_pk_mul_f16 v70, v7, v70 op_sel_hi:[0,1]
	v_mov_b64_e32 v[68:69], v[2:3]
	s_branch .LBB49_24
.LBB49_23:
	v_mov_b32_e32 v3, v69
.LBB49_24:
	s_load_dword s6, s[0:1], 0xd4
	s_mul_i32 s4, s33, s22
	s_waitcnt lgkmcnt(0)
	s_cmp_lg_u32 s6, 1
	s_cselect_b64 s[0:1], -1, 0
	s_add_i32 s4, s4, s2
	v_add_u32_e32 v1, s4, v41
	v_mad_u64_u32 v[0:1], s[4:5], v1, s23, v[0:1]
	v_mul_lo_u32 v0, s6, v0
	v_add_u32_e32 v0, s3, v0
	s_and_saveexec_b64 s[2:3], s[10:11]
	s_cbranch_execz .LBB49_26
; %bb.25:
	v_div_scale_f32 v1, s[4:5], v3, v3, 1.0
	v_rcp_f32_e32 v2, v1
	v_cvt_f32_f16_sdwa v9, v71 dst_sel:DWORD dst_unused:UNUSED_PAD src0_sel:WORD_1
	v_cvt_f32_f16_sdwa v11, v70 dst_sel:DWORD dst_unused:UNUSED_PAD src0_sel:WORD_1
	v_cvt_f32_f16_e32 v10, v70
	v_fma_f32 v6, -v1, v2, 1.0
	v_fmac_f32_e32 v2, v6, v2
	v_div_scale_f32 v6, vcc, 1.0, v3, 1.0
	v_mul_f32_e32 v7, v6, v2
	v_fma_f32 v8, -v1, v7, v6
	v_fmac_f32_e32 v7, v8, v2
	v_fma_f32 v1, -v1, v7, v6
	v_div_fmas_f32 v1, v1, v2, v7
	v_cvt_f32_f16_e32 v8, v71
	v_div_fixup_f32 v1, v1, v3, 1.0
	s_movk_i32 s4, 0x70
	v_cndmask_b32_e64 v6, v1, 1.0, s[0:1]
	v_mul_lo_u32 v1, v0, s4
	v_mov_b32_e32 v4, s16
	v_mov_b32_e32 v5, s17
	v_lshl_add_u32 v2, v40, 2, v1
	v_mov_b32_e32 v3, 0
	v_lshl_add_u64 v[12:13], v[2:3], 2, v[4:5]
	v_pk_mul_f32 v[2:3], v[6:7], v[8:9] op_sel_hi:[0,1]
	v_pk_mul_f32 v[4:5], v[6:7], v[10:11] op_sel_hi:[0,1]
	global_store_dwordx4 v[12:13], v[2:5], off
.LBB49_26:
	s_or_b64 exec, exec, s[2:3]
	v_cmp_eq_u32_e32 vcc, 0, v40
	s_and_b64 s[0:1], vcc, s[0:1]
	s_and_saveexec_b64 s[2:3], s[0:1]
	s_cbranch_execz .LBB49_28
; %bb.27:
	v_mov_b32_e32 v2, s18
	v_mov_b32_e32 v3, s19
	v_ashrrev_i32_e32 v1, 31, v0
	v_lshl_add_u64 v[0:1], v[0:1], 3, v[2:3]
	global_store_dwordx2 v[0:1], v[68:69], off
.LBB49_28:
	s_endpgm
	.section	.rodata,"a",@progbits
	.p2align	6, 0x0
	.amdhsa_kernel _ZL15flash_attn_tileILi112ELi112ELi1ELi2ELb0EEvPKcS1_S1_S1_S1_PKiPfP15HIP_vector_typeIfLj2EEffffjfiS5_IjLj3EEiiiiiiiiiiiliiliiiiil
		.amdhsa_group_segment_fixed_size 4736
		.amdhsa_private_segment_fixed_size 0
		.amdhsa_kernarg_size 464
		.amdhsa_user_sgpr_count 2
		.amdhsa_user_sgpr_dispatch_ptr 0
		.amdhsa_user_sgpr_queue_ptr 0
		.amdhsa_user_sgpr_kernarg_segment_ptr 1
		.amdhsa_user_sgpr_dispatch_id 0
		.amdhsa_user_sgpr_kernarg_preload_length 0
		.amdhsa_user_sgpr_kernarg_preload_offset 0
		.amdhsa_user_sgpr_private_segment_size 0
		.amdhsa_uses_dynamic_stack 0
		.amdhsa_enable_private_segment 0
		.amdhsa_system_sgpr_workgroup_id_x 1
		.amdhsa_system_sgpr_workgroup_id_y 1
		.amdhsa_system_sgpr_workgroup_id_z 1
		.amdhsa_system_sgpr_workgroup_info 0
		.amdhsa_system_vgpr_workitem_id 1
		.amdhsa_next_free_vgpr 109
		.amdhsa_next_free_sgpr 44
		.amdhsa_accum_offset 112
		.amdhsa_reserve_vcc 1
		.amdhsa_float_round_mode_32 0
		.amdhsa_float_round_mode_16_64 0
		.amdhsa_float_denorm_mode_32 3
		.amdhsa_float_denorm_mode_16_64 3
		.amdhsa_dx10_clamp 1
		.amdhsa_ieee_mode 1
		.amdhsa_fp16_overflow 0
		.amdhsa_tg_split 0
		.amdhsa_exception_fp_ieee_invalid_op 0
		.amdhsa_exception_fp_denorm_src 0
		.amdhsa_exception_fp_ieee_div_zero 0
		.amdhsa_exception_fp_ieee_overflow 0
		.amdhsa_exception_fp_ieee_underflow 0
		.amdhsa_exception_fp_ieee_inexact 0
		.amdhsa_exception_int_div_zero 0
	.end_amdhsa_kernel
	.section	.text._ZL15flash_attn_tileILi112ELi112ELi1ELi2ELb0EEvPKcS1_S1_S1_S1_PKiPfP15HIP_vector_typeIfLj2EEffffjfiS5_IjLj3EEiiiiiiiiiiiliiliiiiil,"axG",@progbits,_ZL15flash_attn_tileILi112ELi112ELi1ELi2ELb0EEvPKcS1_S1_S1_S1_PKiPfP15HIP_vector_typeIfLj2EEffffjfiS5_IjLj3EEiiiiiiiiiiiliiliiiiil,comdat
.Lfunc_end49:
	.size	_ZL15flash_attn_tileILi112ELi112ELi1ELi2ELb0EEvPKcS1_S1_S1_S1_PKiPfP15HIP_vector_typeIfLj2EEffffjfiS5_IjLj3EEiiiiiiiiiiiliiliiiiil, .Lfunc_end49-_ZL15flash_attn_tileILi112ELi112ELi1ELi2ELb0EEvPKcS1_S1_S1_S1_PKiPfP15HIP_vector_typeIfLj2EEffffjfiS5_IjLj3EEiiiiiiiiiiiliiliiiiil
                                        ; -- End function
	.section	.AMDGPU.csdata,"",@progbits
; Kernel info:
; codeLenInByte = 5160
; NumSgprs: 50
; NumVgprs: 109
; NumAgprs: 0
; TotalNumVgprs: 109
; ScratchSize: 0
; MemoryBound: 0
; FloatMode: 240
; IeeeMode: 1
; LDSByteSize: 4736 bytes/workgroup (compile time only)
; SGPRBlocks: 6
; VGPRBlocks: 13
; NumSGPRsForWavesPerEU: 50
; NumVGPRsForWavesPerEU: 109
; AccumOffset: 112
; Occupancy: 4
; WaveLimiterHint : 1
; COMPUTE_PGM_RSRC2:SCRATCH_EN: 0
; COMPUTE_PGM_RSRC2:USER_SGPR: 2
; COMPUTE_PGM_RSRC2:TRAP_HANDLER: 0
; COMPUTE_PGM_RSRC2:TGID_X_EN: 1
; COMPUTE_PGM_RSRC2:TGID_Y_EN: 1
; COMPUTE_PGM_RSRC2:TGID_Z_EN: 1
; COMPUTE_PGM_RSRC2:TIDIG_COMP_CNT: 1
; COMPUTE_PGM_RSRC3_GFX90A:ACCUM_OFFSET: 27
; COMPUTE_PGM_RSRC3_GFX90A:TG_SPLIT: 0
	.section	.text._ZL33flash_attn_stream_k_fixup_uniformILi112ELi1ELi2EEvPfPK15HIP_vector_typeIfLj2EEiiiiiiS1_IjLj3EES5_S5_,"axG",@progbits,_ZL33flash_attn_stream_k_fixup_uniformILi112ELi1ELi2EEvPfPK15HIP_vector_typeIfLj2EEiiiiiiS1_IjLj3EES5_S5_,comdat
	.globl	_ZL33flash_attn_stream_k_fixup_uniformILi112ELi1ELi2EEvPfPK15HIP_vector_typeIfLj2EEiiiiiiS1_IjLj3EES5_S5_ ; -- Begin function _ZL33flash_attn_stream_k_fixup_uniformILi112ELi1ELi2EEvPfPK15HIP_vector_typeIfLj2EEiiiiiiS1_IjLj3EES5_S5_
	.p2align	8
	.type	_ZL33flash_attn_stream_k_fixup_uniformILi112ELi1ELi2EEvPfPK15HIP_vector_typeIfLj2EEiiiiiiS1_IjLj3EES5_S5_,@function
_ZL33flash_attn_stream_k_fixup_uniformILi112ELi1ELi2EEvPfPK15HIP_vector_typeIfLj2EEiiiiiiS1_IjLj3EES5_S5_: ; @_ZL33flash_attn_stream_k_fixup_uniformILi112ELi1ELi2EEvPfPK15HIP_vector_typeIfLj2EEiiiiiiS1_IjLj3EES5_S5_
; %bb.0:
	s_load_dwordx8 s[8:15], s[0:1], 0x1c
	s_load_dwordx2 s[6:7], s[0:1], 0x10
	s_load_dwordx4 s[16:19], s[0:1], 0x3c
	s_waitcnt lgkmcnt(0)
	s_mul_hi_u32 s5, s11, s2
	s_add_i32 s5, s2, s5
	s_lshr_b32 s5, s5, s12
	s_mul_i32 s11, s5, s13
	s_sub_i32 s12, s2, s11
	s_mul_hi_u32 s11, s12, s14
	s_add_i32 s11, s12, s11
	s_lshr_b32 s11, s11, s15
	s_mul_i32 s13, s11, s16
	s_sub_i32 s12, s12, s13
	;; [unrolled: 5-line block ×3, first 2 shown]
	s_lshl_b32 s16, s13, 1
	s_add_i32 s17, s17, s3
	s_cmp_lt_i32 s17, s6
	s_cselect_b64 s[12:13], -1, 0
	s_add_i32 s16, s16, s4
	s_cmp_lt_i32 s16, s9
	s_cselect_b64 s[14:15], -1, 0
	s_and_b64 s[12:13], s[12:13], s[14:15]
	s_andn2_b64 vcc, exec, s[12:13]
	s_cbranch_vccnz .LBB50_6
; %bb.1:
	s_mul_i32 s5, s5, s6
	s_load_dwordx4 s[12:15], s[0:1], 0x0
	s_mul_i32 s11, s11, s9
	s_add_i32 s0, s17, s5
	s_mul_i32 s0, s0, s7
	s_add_i32 s1, s16, s11
	s_add_i32 s0, s1, s0
	s_mulk_i32 s0, 0x70
	v_add_u32_e32 v4, s0, v0
	s_waitcnt lgkmcnt(0)
	v_mov_b32_e32 v2, s12
	v_mov_b32_e32 v3, s13
	v_ashrrev_i32_e32 v5, 31, v4
	v_lshl_add_u64 v[2:3], v[4:5], 2, v[2:3]
	global_load_dword v7, v[2:3], off
	s_mul_i32 s5, s2, s10
	s_add_i32 s11, s5, s10
	s_add_i32 s0, s3, s11
	s_lshl_b32 s0, s0, 1
	s_add_i32 s0, s0, s4
	s_add_i32 s0, s0, -2
	s_ashr_i32 s1, s0, 31
	s_lshl_b64 s[0:1], s[0:1], 3
	s_add_u32 s0, s14, s0
	s_addc_u32 s1, s15, s1
	s_load_dword s12, s[0:1], 0x4
	s_add_i32 s6, s11, -2
	s_cmp_lt_i32 s6, s5
	s_cbranch_scc1 .LBB50_4
; %bb.2:
	s_lshl_b32 s6, s8, 3
	s_ashr_i32 s7, s6, 31
	s_lshl_b64 s[6:7], s[6:7], 2
	s_add_u32 s6, s14, s6
	s_addc_u32 s7, s15, s7
	s_add_i32 s2, s2, 1
	s_load_dword s0, s[0:1], 0x0
	s_mul_i32 s1, s10, s2
	s_mul_i32 s2, s3, 0xe0
	;; [unrolled: 1-line block ×3, first 2 shown]
	s_mulk_i32 s1, 0xe0
	s_add_i32 s2, s10, s2
	s_add_i32 s2, s2, s1
	;; [unrolled: 1-line block ×4, first 2 shown]
	s_lshl_b32 s1, s1, 1
	v_add_u32_e32 v0, s2, v0
	s_add_i32 s1, s4, s1
	s_add_i32 s9, s11, -1
	v_add_u32_e32 v0, 0xfffffe40, v0
	s_add_i32 s2, s1, -4
	s_waitcnt lgkmcnt(0)
	v_mov_b32_e32 v6, s12
	v_mov_b32_e32 v5, s0
	s_mov_b32 s4, 0x3fb8aa3b
	s_mov_b32 s8, 0xc2ce8ed0
	;; [unrolled: 1-line block ×3, first 2 shown]
	v_mov_b32_e32 v4, 0x7f800000
	s_mov_b32 s11, 0xc1a00000
.LBB50_3:                               ; =>This Inner Loop Header: Depth=1
	v_ashrrev_i32_e32 v1, 31, v0
	v_lshl_add_u64 v[8:9], v[0:1], 2, s[6:7]
	global_load_dword v1, v[8:9], off
	s_ashr_i32 s3, s2, 31
	s_lshl_b64 s[0:1], s[2:3], 3
	s_add_u32 s0, s14, s0
	s_addc_u32 s1, s15, s1
	s_load_dwordx2 s[12:13], s[0:1], 0x0
	s_waitcnt vmcnt(1)
	v_mov_b32_e32 v8, v7
	v_max_f32_e32 v7, v5, v5
	v_mov_b32_e32 v9, v6
	s_add_i32 s9, s9, -1
	s_waitcnt lgkmcnt(0)
	v_max_f32_e64 v6, s12, s12
	v_max_f32_e32 v6, v7, v6
	v_sub_f32_e32 v10, s12, v6
	v_sub_f32_e32 v7, v5, v6
	v_mul_f32_e32 v11, 0x3fb8aa3b, v10
	v_mov_b32_e32 v5, v6
	v_mul_f32_e32 v6, 0x3fb8aa3b, v7
	v_fma_f32 v14, v10, s4, -v11
	v_rndne_f32_e32 v15, v11
	v_fma_f32 v12, v7, s4, -v6
	v_rndne_f32_e32 v13, v6
	v_fmac_f32_e32 v14, 0x32a5705f, v10
	v_sub_f32_e32 v11, v11, v15
	v_fmac_f32_e32 v12, 0x32a5705f, v7
	v_sub_f32_e32 v6, v6, v13
	v_add_f32_e32 v11, v11, v14
	v_cvt_i32_f32_e32 v15, v15
	v_add_f32_e32 v6, v6, v12
	v_exp_f32_e32 v11, v11
	v_cvt_i32_f32_e32 v13, v13
	v_exp_f32_e32 v6, v6
	v_cmp_ngt_f32_e32 vcc, s8, v10
	v_ldexp_f32 v11, v11, v15
	v_cmp_ngt_f32_e64 s[0:1], s8, v7
	v_ldexp_f32 v6, v6, v13
	v_cndmask_b32_e32 v11, 0, v11, vcc
	v_cmp_nlt_f32_e32 vcc, s10, v10
	v_cndmask_b32_e64 v6, 0, v6, s[0:1]
	v_cmp_nlt_f32_e64 s[0:1], s10, v7
	v_cndmask_b32_e32 v11, v4, v11, vcc
	v_cmp_le_f32_e32 vcc, s11, v10
	v_cndmask_b32_e64 v6, v4, v6, s[0:1]
	v_cmp_le_f32_e64 s[0:1], s11, v7
	v_cndmask_b32_e32 v7, 0, v11, vcc
	s_add_i32 s2, s2, -2
	v_cndmask_b32_e64 v10, 0, v6, s[0:1]
	v_mul_f32_e32 v6, s13, v7
	v_add_u32_e32 v0, 0xffffff20, v0
	s_cmp_le_i32 s9, s5
	v_fmac_f32_e32 v6, v9, v10
	s_waitcnt vmcnt(0)
	v_mul_f32_e32 v7, v1, v7
	v_fmac_f32_e32 v7, v8, v10
	s_cbranch_scc0 .LBB50_3
	s_branch .LBB50_5
.LBB50_4:
	s_waitcnt lgkmcnt(0)
	v_mov_b32_e32 v6, s12
.LBB50_5:
	s_waitcnt vmcnt(0)
	v_div_scale_f32 v0, s[0:1], v6, v6, v7
	v_rcp_f32_e32 v1, v0
	v_div_scale_f32 v4, vcc, v7, v6, v7
	v_fma_f32 v5, -v0, v1, 1.0
	v_fmac_f32_e32 v1, v5, v1
	v_mul_f32_e32 v5, v4, v1
	v_fma_f32 v8, -v0, v5, v4
	v_fmac_f32_e32 v5, v8, v1
	v_fma_f32 v0, -v0, v5, v4
	v_div_fmas_f32 v0, v0, v1, v5
	v_div_fixup_f32 v0, v0, v6, v7
	global_store_dword v[2:3], v0, off
.LBB50_6:
	s_endpgm
	.section	.rodata,"a",@progbits
	.p2align	6, 0x0
	.amdhsa_kernel _ZL33flash_attn_stream_k_fixup_uniformILi112ELi1ELi2EEvPfPK15HIP_vector_typeIfLj2EEiiiiiiS1_IjLj3EES5_S5_
		.amdhsa_group_segment_fixed_size 0
		.amdhsa_private_segment_fixed_size 0
		.amdhsa_kernarg_size 76
		.amdhsa_user_sgpr_count 2
		.amdhsa_user_sgpr_dispatch_ptr 0
		.amdhsa_user_sgpr_queue_ptr 0
		.amdhsa_user_sgpr_kernarg_segment_ptr 1
		.amdhsa_user_sgpr_dispatch_id 0
		.amdhsa_user_sgpr_kernarg_preload_length 0
		.amdhsa_user_sgpr_kernarg_preload_offset 0
		.amdhsa_user_sgpr_private_segment_size 0
		.amdhsa_uses_dynamic_stack 0
		.amdhsa_enable_private_segment 0
		.amdhsa_system_sgpr_workgroup_id_x 1
		.amdhsa_system_sgpr_workgroup_id_y 1
		.amdhsa_system_sgpr_workgroup_id_z 1
		.amdhsa_system_sgpr_workgroup_info 0
		.amdhsa_system_vgpr_workitem_id 0
		.amdhsa_next_free_vgpr 16
		.amdhsa_next_free_sgpr 20
		.amdhsa_accum_offset 16
		.amdhsa_reserve_vcc 1
		.amdhsa_float_round_mode_32 0
		.amdhsa_float_round_mode_16_64 0
		.amdhsa_float_denorm_mode_32 3
		.amdhsa_float_denorm_mode_16_64 3
		.amdhsa_dx10_clamp 1
		.amdhsa_ieee_mode 1
		.amdhsa_fp16_overflow 0
		.amdhsa_tg_split 0
		.amdhsa_exception_fp_ieee_invalid_op 0
		.amdhsa_exception_fp_denorm_src 0
		.amdhsa_exception_fp_ieee_div_zero 0
		.amdhsa_exception_fp_ieee_overflow 0
		.amdhsa_exception_fp_ieee_underflow 0
		.amdhsa_exception_fp_ieee_inexact 0
		.amdhsa_exception_int_div_zero 0
	.end_amdhsa_kernel
	.section	.text._ZL33flash_attn_stream_k_fixup_uniformILi112ELi1ELi2EEvPfPK15HIP_vector_typeIfLj2EEiiiiiiS1_IjLj3EES5_S5_,"axG",@progbits,_ZL33flash_attn_stream_k_fixup_uniformILi112ELi1ELi2EEvPfPK15HIP_vector_typeIfLj2EEiiiiiiS1_IjLj3EES5_S5_,comdat
.Lfunc_end50:
	.size	_ZL33flash_attn_stream_k_fixup_uniformILi112ELi1ELi2EEvPfPK15HIP_vector_typeIfLj2EEiiiiiiS1_IjLj3EES5_S5_, .Lfunc_end50-_ZL33flash_attn_stream_k_fixup_uniformILi112ELi1ELi2EEvPfPK15HIP_vector_typeIfLj2EEiiiiiiS1_IjLj3EES5_S5_
                                        ; -- End function
	.section	.AMDGPU.csdata,"",@progbits
; Kernel info:
; codeLenInByte = 820
; NumSgprs: 26
; NumVgprs: 16
; NumAgprs: 0
; TotalNumVgprs: 16
; ScratchSize: 0
; MemoryBound: 0
; FloatMode: 240
; IeeeMode: 1
; LDSByteSize: 0 bytes/workgroup (compile time only)
; SGPRBlocks: 3
; VGPRBlocks: 1
; NumSGPRsForWavesPerEU: 26
; NumVGPRsForWavesPerEU: 16
; AccumOffset: 16
; Occupancy: 8
; WaveLimiterHint : 0
; COMPUTE_PGM_RSRC2:SCRATCH_EN: 0
; COMPUTE_PGM_RSRC2:USER_SGPR: 2
; COMPUTE_PGM_RSRC2:TRAP_HANDLER: 0
; COMPUTE_PGM_RSRC2:TGID_X_EN: 1
; COMPUTE_PGM_RSRC2:TGID_Y_EN: 1
; COMPUTE_PGM_RSRC2:TGID_Z_EN: 1
; COMPUTE_PGM_RSRC2:TIDIG_COMP_CNT: 0
; COMPUTE_PGM_RSRC3_GFX90A:ACCUM_OFFSET: 3
; COMPUTE_PGM_RSRC3_GFX90A:TG_SPLIT: 0
	.section	.text._ZL33flash_attn_stream_k_fixup_generalILi112ELi1ELi2EEvPfPK15HIP_vector_typeIfLj2EEiiiiS1_IjLj3EES5_S5_S5_,"axG",@progbits,_ZL33flash_attn_stream_k_fixup_generalILi112ELi1ELi2EEvPfPK15HIP_vector_typeIfLj2EEiiiiS1_IjLj3EES5_S5_S5_,comdat
	.globl	_ZL33flash_attn_stream_k_fixup_generalILi112ELi1ELi2EEvPfPK15HIP_vector_typeIfLj2EEiiiiS1_IjLj3EES5_S5_S5_ ; -- Begin function _ZL33flash_attn_stream_k_fixup_generalILi112ELi1ELi2EEvPfPK15HIP_vector_typeIfLj2EEiiiiS1_IjLj3EES5_S5_S5_
	.p2align	8
	.type	_ZL33flash_attn_stream_k_fixup_generalILi112ELi1ELi2EEvPfPK15HIP_vector_typeIfLj2EEiiiiS1_IjLj3EES5_S5_S5_,@function
_ZL33flash_attn_stream_k_fixup_generalILi112ELi1ELi2EEvPfPK15HIP_vector_typeIfLj2EEiiiiS1_IjLj3EES5_S5_S5_: ; @_ZL33flash_attn_stream_k_fixup_generalILi112ELi1ELi2EEvPfPK15HIP_vector_typeIfLj2EEiiiiS1_IjLj3EES5_S5_S5_
; %bb.0:
	s_load_dwordx4 s[12:15], s[0:1], 0x10
	s_load_dword s5, s[0:1], 0x50
	s_mov_b32 s8, 0
	s_waitcnt lgkmcnt(0)
	s_mul_hi_i32 s9, s15, s2
	s_cmp_lg_u64 s[8:9], 0
	s_mul_i32 s8, s15, s2
	s_cbranch_scc0 .LBB51_21
; %bb.1:
	v_cvt_f32_u32_e32 v1, s5
	v_cvt_f32_ubyte0_e32 v2, 0
	s_sub_u32 s10, 0, s5
	s_subb_u32 s11, 0, 0
	v_fmamk_f32 v1, v2, 0x4f800000, v1
	v_rcp_f32_e32 v1, v1
	s_nop 0
	v_mul_f32_e32 v1, 0x5f7ffffc, v1
	v_mul_f32_e32 v2, 0x2f800000, v1
	v_trunc_f32_e32 v2, v2
	v_fmamk_f32 v1, v2, 0xcf800000, v1
	v_cvt_u32_f32_e32 v2, v2
	v_cvt_u32_f32_e32 v1, v1
	v_readfirstlane_b32 s16, v2
	v_readfirstlane_b32 s17, v1
	s_mul_i32 s18, s10, s16
	s_mul_hi_u32 s20, s10, s17
	s_mul_i32 s19, s11, s17
	s_add_i32 s18, s20, s18
	s_add_i32 s18, s18, s19
	s_mul_i32 s21, s10, s17
	s_mul_hi_u32 s19, s17, s18
	s_mul_i32 s20, s17, s18
	s_mul_hi_u32 s17, s17, s21
	s_add_u32 s17, s17, s20
	s_addc_u32 s19, 0, s19
	s_mul_hi_u32 s22, s16, s21
	s_mul_i32 s21, s16, s21
	s_add_u32 s17, s17, s21
	s_mul_hi_u32 s20, s16, s18
	s_addc_u32 s17, s19, s22
	s_addc_u32 s19, s20, 0
	s_mul_i32 s18, s16, s18
	s_add_u32 s17, s17, s18
	s_addc_u32 s18, 0, s19
	v_add_co_u32_e32 v1, vcc, s17, v1
	s_cmp_lg_u64 vcc, 0
	s_addc_u32 s16, s16, s18
	v_readfirstlane_b32 s18, v1
	s_mul_i32 s17, s10, s16
	s_mul_hi_u32 s19, s10, s18
	s_add_i32 s17, s19, s17
	s_mul_i32 s11, s11, s18
	s_add_i32 s17, s17, s11
	s_mul_i32 s10, s10, s18
	s_mul_hi_u32 s19, s16, s10
	s_mul_i32 s20, s16, s10
	s_mul_i32 s22, s18, s17
	s_mul_hi_u32 s10, s18, s10
	s_mul_hi_u32 s21, s18, s17
	s_add_u32 s10, s10, s22
	s_addc_u32 s18, 0, s21
	s_add_u32 s10, s10, s20
	s_mul_hi_u32 s11, s16, s17
	s_addc_u32 s10, s18, s19
	s_addc_u32 s11, s11, 0
	s_mul_i32 s17, s16, s17
	s_add_u32 s10, s10, s17
	s_addc_u32 s11, 0, s11
	v_add_co_u32_e32 v1, vcc, s10, v1
	s_cmp_lg_u64 vcc, 0
	s_addc_u32 s18, s16, s11
	s_ashr_i32 s10, s9, 31
	s_add_u32 s16, s8, s10
	s_mov_b32 s11, s10
	s_addc_u32 s17, s9, s10
	s_xor_b64 s[16:17], s[16:17], s[10:11]
	v_readfirstlane_b32 s20, v1
	s_mul_i32 s19, s16, s18
	s_mul_hi_u32 s21, s16, s20
	s_mul_hi_u32 s9, s16, s18
	s_add_u32 s19, s21, s19
	s_addc_u32 s9, 0, s9
	s_mul_hi_u32 s22, s17, s20
	s_mul_i32 s20, s17, s20
	s_add_u32 s19, s19, s20
	s_mul_hi_u32 s21, s17, s18
	s_addc_u32 s9, s9, s22
	s_addc_u32 s19, s21, 0
	s_mul_i32 s18, s17, s18
	s_add_u32 s9, s9, s18
	s_addc_u32 s18, 0, s19
	s_add_u32 s19, s9, 1
	s_addc_u32 s20, s18, 0
	s_add_u32 s21, s9, 2
	s_mul_i32 s23, s5, s18
	s_mul_hi_u32 s24, s5, s9
	s_addc_u32 s22, s18, 0
	s_add_i32 s24, s24, s23
	s_mul_i32 s23, s5, s9
	v_mov_b32_e32 v1, s23
	v_sub_co_u32_e32 v1, vcc, s16, v1
	s_cmp_lg_u64 vcc, 0
	s_subb_u32 s16, s17, s24
	v_subrev_co_u32_e32 v2, vcc, s5, v1
	s_cmp_lg_u64 vcc, 0
	s_subb_u32 s17, s16, 0
	v_readfirstlane_b32 s23, v2
	s_cmp_ge_u32 s23, s5
	s_cselect_b32 s23, -1, 0
	s_cmp_eq_u32 s17, 0
	s_cselect_b32 s17, s23, -1
	s_cmp_lg_u32 s17, 0
	s_cselect_b32 s17, s22, s20
	v_readfirstlane_b32 s20, v1
	s_cselect_b32 s19, s21, s19
	s_cmp_ge_u32 s20, s5
	s_cselect_b32 s20, -1, 0
	s_cmp_eq_u32 s16, 0
	s_cselect_b32 s16, s20, -1
	s_cmp_lg_u32 s16, 0
	s_cselect_b32 s17, s17, s18
	s_cselect_b32 s16, s19, s9
	s_xor_b64 s[16:17], s[16:17], s[10:11]
	s_sub_u32 s20, s16, s10
	s_load_dwordx4 s[16:19], s[0:1], 0x44
	s_cbranch_execnz .LBB51_3
.LBB51_2:
	v_cvt_f32_u32_e32 v1, s5
	s_sub_i32 s6, 0, s5
	v_rcp_iflag_f32_e32 v1, v1
	s_nop 0
	v_mul_f32_e32 v1, 0x4f7ffffe, v1
	v_cvt_u32_f32_e32 v1, v1
	s_nop 0
	v_readfirstlane_b32 s7, v1
	s_mul_i32 s6, s6, s7
	s_mul_hi_u32 s6, s7, s6
	s_add_i32 s7, s7, s6
	s_mul_hi_u32 s6, s8, s7
	s_mul_i32 s9, s6, s5
	s_sub_i32 s8, s8, s9
	s_add_i32 s7, s6, 1
	s_sub_i32 s9, s8, s5
	s_cmp_ge_u32 s8, s5
	s_cselect_b32 s6, s7, s6
	s_cselect_b32 s8, s9, s8
	s_add_i32 s7, s6, 1
	s_cmp_ge_u32 s8, s5
	s_cselect_b32 s20, s7, s6
.LBB51_3:
	s_add_i32 s6, s2, 1
	s_mul_hi_i32 s9, s15, s6
	s_mov_b32 s8, 0
	s_cmp_lg_u64 s[8:9], 0
	s_mul_i32 s8, s15, s6
	s_cbranch_scc0 .LBB51_22
; %bb.4:
	v_cvt_f32_u32_e32 v1, s5
	v_cvt_f32_ubyte0_e32 v2, 0
	s_sub_u32 s10, 0, s5
	s_subb_u32 s11, 0, 0
	v_fmamk_f32 v1, v2, 0x4f800000, v1
	v_rcp_f32_e32 v1, v1
	s_nop 0
	v_mul_f32_e32 v1, 0x5f7ffffc, v1
	v_mul_f32_e32 v2, 0x2f800000, v1
	v_trunc_f32_e32 v2, v2
	v_fmamk_f32 v1, v2, 0xcf800000, v1
	v_cvt_u32_f32_e32 v2, v2
	v_cvt_u32_f32_e32 v1, v1
	s_waitcnt lgkmcnt(0)
	v_readfirstlane_b32 s19, v2
	v_readfirstlane_b32 s21, v1
	s_mul_i32 s22, s10, s19
	s_mul_hi_u32 s24, s10, s21
	s_mul_i32 s23, s11, s21
	s_add_i32 s22, s24, s22
	s_add_i32 s22, s22, s23
	s_mul_i32 s25, s10, s21
	s_mul_hi_u32 s23, s21, s22
	s_mul_i32 s24, s21, s22
	s_mul_hi_u32 s21, s21, s25
	s_add_u32 s21, s21, s24
	s_addc_u32 s23, 0, s23
	s_mul_hi_u32 s26, s19, s25
	s_mul_i32 s25, s19, s25
	s_add_u32 s21, s21, s25
	s_mul_hi_u32 s24, s19, s22
	s_addc_u32 s21, s23, s26
	s_addc_u32 s23, s24, 0
	s_mul_i32 s22, s19, s22
	s_add_u32 s21, s21, s22
	s_addc_u32 s22, 0, s23
	v_add_co_u32_e32 v1, vcc, s21, v1
	s_cmp_lg_u64 vcc, 0
	s_addc_u32 s19, s19, s22
	v_readfirstlane_b32 s22, v1
	s_mul_i32 s21, s10, s19
	s_mul_hi_u32 s23, s10, s22
	s_add_i32 s21, s23, s21
	s_mul_i32 s11, s11, s22
	s_add_i32 s21, s21, s11
	s_mul_i32 s10, s10, s22
	s_mul_hi_u32 s23, s19, s10
	s_mul_i32 s24, s19, s10
	s_mul_i32 s26, s22, s21
	s_mul_hi_u32 s10, s22, s10
	s_mul_hi_u32 s25, s22, s21
	s_add_u32 s10, s10, s26
	s_addc_u32 s22, 0, s25
	s_add_u32 s10, s10, s24
	s_mul_hi_u32 s11, s19, s21
	s_addc_u32 s10, s22, s23
	s_addc_u32 s11, s11, 0
	s_mul_i32 s21, s19, s21
	s_add_u32 s10, s10, s21
	s_addc_u32 s11, 0, s11
	v_add_co_u32_e32 v1, vcc, s10, v1
	s_cmp_lg_u64 vcc, 0
	s_addc_u32 s19, s19, s11
	s_ashr_i32 s10, s9, 31
	s_add_u32 s22, s8, s10
	s_mov_b32 s11, s10
	s_addc_u32 s23, s9, s10
	s_xor_b64 s[22:23], s[22:23], s[10:11]
	v_readfirstlane_b32 s21, v1
	s_mul_i32 s11, s22, s19
	s_mul_hi_u32 s24, s22, s21
	s_mul_hi_u32 s9, s22, s19
	s_add_u32 s11, s24, s11
	s_addc_u32 s9, 0, s9
	s_mul_hi_u32 s25, s23, s21
	s_mul_i32 s21, s23, s21
	s_add_u32 s11, s11, s21
	s_mul_hi_u32 s24, s23, s19
	s_addc_u32 s9, s9, s25
	s_addc_u32 s11, s24, 0
	s_mul_i32 s19, s23, s19
	s_add_u32 s9, s9, s19
	s_addc_u32 s11, 0, s11
	s_mul_i32 s11, s5, s11
	s_mul_hi_u32 s24, s5, s9
	s_add_i32 s24, s24, s11
	s_mul_i32 s11, s5, s9
	v_mov_b32_e32 v1, s11
	s_add_u32 s19, s9, 1
	s_add_u32 s21, s9, 2
	v_sub_co_u32_e32 v1, vcc, s22, v1
	s_cmp_lg_u64 vcc, 0
	s_subb_u32 s11, s23, s24
	v_subrev_co_u32_e32 v2, vcc, s5, v1
	s_cmp_lg_u64 vcc, 0
	s_subb_u32 s22, s11, 0
	v_cmp_le_u32_e32 vcc, s5, v2
	s_cmp_eq_u32 s22, 0
	v_mov_b32_e32 v3, s19
	v_cndmask_b32_e64 v2, 0, -1, vcc
	s_cselect_b64 vcc, -1, 0
	v_cndmask_b32_e32 v2, -1, v2, vcc
	v_mov_b32_e32 v4, s21
	v_cmp_ne_u32_e32 vcc, 0, v2
	s_cmp_eq_u32 s11, 0
	s_nop 0
	v_cndmask_b32_e32 v2, v3, v4, vcc
	v_cmp_le_u32_e32 vcc, s5, v1
	v_mov_b32_e32 v3, s9
	s_nop 0
	v_cndmask_b32_e64 v1, 0, -1, vcc
	s_cselect_b64 vcc, -1, 0
	v_cndmask_b32_e32 v1, -1, v1, vcc
	v_cmp_ne_u32_e32 vcc, 0, v1
	s_nop 1
	v_cndmask_b32_e32 v1, v3, v2, vcc
	v_xor_b32_e32 v1, s10, v1
	v_subrev_co_u32_e32 v2, vcc, s10, v1
	s_cbranch_execnz .LBB51_6
.LBB51_5:
	v_cvt_f32_u32_e32 v1, s5
	s_sub_i32 s6, 0, s5
	s_mov_b32 s7, 0
	v_rcp_iflag_f32_e32 v1, v1
	s_nop 0
	v_mul_f32_e32 v1, 0x4f7ffffe, v1
	v_cvt_u32_f32_e32 v1, v1
	s_nop 0
	v_readfirstlane_b32 s9, v1
	s_mul_i32 s6, s6, s9
	s_mul_hi_u32 s6, s9, s6
	s_add_i32 s9, s9, s6
	s_mul_hi_u32 s6, s8, s9
	s_mul_i32 s10, s6, s5
	s_sub_i32 s8, s8, s10
	s_add_i32 s9, s6, 1
	s_sub_i32 s10, s8, s5
	s_cmp_ge_u32 s8, s5
	s_cselect_b32 s6, s9, s6
	s_cselect_b32 s8, s10, s8
	s_add_i32 s9, s6, 1
	s_cmp_ge_u32 s8, s5
	s_cselect_b32 s6, s9, s6
	v_mov_b64_e32 v[2:3], s[6:7]
.LBB51_6:
	s_waitcnt lgkmcnt(0)
	s_mul_hi_u32 s6, s20, s16
	s_add_i32 s6, s6, s20
	v_mul_hi_u32 v1, v2, s16
	s_lshr_b32 s19, s6, s17
	v_add_u32_e32 v1, v1, v2
	s_mul_i32 s6, s19, s18
	v_lshrrev_b32_e32 v1, s17, v1
	s_cmp_eq_u32 s6, s20
	v_cmp_eq_u32_e64 s[6:7], s19, v1
	v_mul_lo_u32 v1, v1, s18
	v_cmp_eq_u32_e32 vcc, s20, v2
	s_cselect_b64 s[10:11], -1, 0
	v_cmp_ne_u32_e64 s[8:9], v1, v2
	s_and_b64 s[6:7], s[6:7], s[8:9]
	s_or_b64 s[8:9], vcc, s[10:11]
	s_or_b64 s[6:7], s[8:9], s[6:7]
	s_and_b64 vcc, exec, s[6:7]
	s_cbranch_vccnz .LBB51_24
; %bb.7:
	s_load_dwordx8 s[24:31], s[0:1], 0x20
	s_load_dword s6, s[0:1], 0x40
	s_waitcnt lgkmcnt(0)
	s_mul_hi_u32 s7, s20, s24
	s_add_i32 s7, s7, s20
	s_lshr_b32 s7, s7, s25
	s_mul_i32 s8, s7, s26
	s_sub_i32 s8, s20, s8
	s_mul_hi_u32 s9, s8, s27
	s_add_i32 s9, s8, s9
	s_lshr_b32 s21, s9, s28
	s_mul_i32 s9, s21, s29
	s_sub_i32 s8, s8, s9
	;; [unrolled: 5-line block ×3, first 2 shown]
	s_mul_hi_u32 s8, s6, s16
	s_add_i32 s6, s6, s8
	s_lshr_b32 s22, s6, s17
	s_lshl_b32 s23, s9, 1
	s_add_i32 s22, s22, s3
	s_cmp_lt_i32 s22, s12
	s_cselect_b64 s[8:9], -1, 0
	s_add_i32 s23, s23, s4
	s_cmp_lt_i32 s23, s14
	s_cselect_b64 s[10:11], -1, 0
	s_and_b64 s[8:9], s[8:9], s[10:11]
	s_andn2_b64 vcc, exec, s[8:9]
	s_mov_b32 s6, 0
	s_cbranch_vccnz .LBB51_24
; %bb.8:
	s_load_dwordx4 s[8:11], s[0:1], 0x0
	s_lshl_b32 s1, s3, 1
	s_lshl_b32 s0, s5, 3
	s_add_i32 s24, s1, s4
	s_mov_b32 s1, s6
	s_lshl_b64 s[0:1], s[0:1], 2
	s_waitcnt lgkmcnt(0)
	v_mov_b32_e32 v2, s8
	s_add_u32 s8, s10, s0
	s_mul_i32 s7, s7, s12
	v_mov_b32_e32 v3, s9
	s_addc_u32 s9, s11, s1
	s_mul_i32 s21, s21, s14
	s_add_i32 s0, s22, s7
	s_mul_i32 s0, s0, s13
	s_add_i32 s1, s23, s21
	s_add_i32 s0, s1, s0
	s_mulk_i32 s0, 0x70
	v_add_u32_e32 v4, s0, v0
	v_ashrrev_i32_e32 v5, 31, v4
	v_lshl_add_u64 v[2:3], v[4:5], 2, v[2:3]
	global_load_dword v5, v[2:3], off
	s_mulk_i32 s24, 0x70
	v_add_u32_e32 v4, s24, v0
	v_cvt_f32_u32_e32 v0, s5
	v_cvt_f32_ubyte0_e32 v1, 0
	s_add_i32 s0, s3, s2
	s_lshl_b32 s0, s0, 1
	v_fmamk_f32 v0, v1, 0x4f800000, v0
	v_rcp_f32_e32 v0, v0
	v_cvt_f32_u32_e32 v1, s5
	s_add_i32 s0, s0, s4
	s_ashr_i32 s1, s0, 31
	s_lshl_b64 s[0:1], s[0:1], 3
	v_mul_f32_e32 v0, 0x5f7ffffc, v0
	v_rcp_iflag_f32_e32 v1, v1
	s_add_u32 s0, s10, s0
	v_mul_f32_e32 v6, 0x2f800000, v0
	s_addc_u32 s1, s11, s1
	v_trunc_f32_e32 v7, v6
	s_load_dwordx2 s[0:1], s[0:1], 0x0
	v_fmamk_f32 v0, v7, 0xcf800000, v0
	v_cvt_u32_f32_e32 v6, v0
	v_mul_f32_e32 v0, 0x4f7ffffe, v1
	v_cvt_u32_f32_e32 v7, v7
	v_cvt_u32_f32_e32 v9, v0
	s_add_i32 s13, s2, -1
	s_add_i32 s12, s5, s3
	s_waitcnt lgkmcnt(0)
	v_mov_b32_e32 v8, s1
	v_mov_b32_e32 v10, s0
	;; [unrolled: 1-line block ×3, first 2 shown]
	s_mov_b32 s14, 0x3fb8aa3b
	s_mov_b32 s20, 0xc2ce8ed0
	;; [unrolled: 1-line block ×4, first 2 shown]
	v_mov_b32_e32 v12, 0x7f800000
	s_mul_hi_i32 s7, s13, s15
	s_cmp_lg_u64 s[6:7], 0
	s_mul_i32 s2, s13, s15
	s_cbranch_scc0 .LBB51_15
.LBB51_9:
	s_sub_u32 s0, 0, s5
	v_readfirstlane_b32 s3, v6
	v_readfirstlane_b32 s25, v7
	s_subb_u32 s1, 0, 0
	s_mul_hi_u32 s24, s0, s3
	s_mul_i32 s26, s0, s25
	s_mul_i32 s23, s1, s3
	s_add_i32 s24, s24, s26
	s_add_i32 s24, s24, s23
	s_mul_i32 s27, s0, s3
	s_mul_hi_u32 s23, s3, s24
	s_mul_i32 s26, s3, s24
	s_mul_hi_u32 s3, s3, s27
	s_add_u32 s3, s3, s26
	s_addc_u32 s23, 0, s23
	s_mul_hi_u32 s28, s25, s27
	s_mul_i32 s27, s25, s27
	s_add_u32 s3, s3, s27
	s_mul_hi_u32 s26, s25, s24
	s_addc_u32 s3, s23, s28
	s_addc_u32 s23, s26, 0
	s_mul_i32 s24, s25, s24
	s_add_u32 s3, s3, s24
	s_addc_u32 s23, 0, s23
	v_add_co_u32_e32 v0, vcc, s3, v6
	s_cmp_lg_u64 vcc, 0
	s_addc_u32 s3, s25, s23
	v_readfirstlane_b32 s24, v0
	s_mul_i32 s23, s0, s3
	s_mul_hi_u32 s25, s0, s24
	s_add_i32 s23, s25, s23
	s_mul_i32 s1, s1, s24
	s_add_i32 s23, s23, s1
	s_mul_i32 s0, s0, s24
	s_mul_hi_u32 s25, s3, s0
	s_mul_i32 s26, s3, s0
	s_mul_i32 s28, s24, s23
	s_mul_hi_u32 s0, s24, s0
	s_mul_hi_u32 s27, s24, s23
	s_add_u32 s0, s0, s28
	s_addc_u32 s24, 0, s27
	s_add_u32 s0, s0, s26
	s_mul_hi_u32 s1, s3, s23
	s_addc_u32 s0, s24, s25
	s_addc_u32 s1, s1, 0
	s_mul_i32 s23, s3, s23
	s_add_u32 s0, s0, s23
	s_addc_u32 s1, 0, s1
	v_add_co_u32_e32 v0, vcc, s0, v0
	s_cmp_lg_u64 vcc, 0
	s_addc_u32 s3, s3, s1
	s_ashr_i32 s0, s7, 31
	s_add_u32 s24, s2, s0
	s_mov_b32 s1, s0
	s_addc_u32 s25, s7, s0
	s_xor_b64 s[24:25], s[24:25], s[0:1]
	v_readfirstlane_b32 s23, v0
	s_mul_i32 s7, s24, s3
	s_mul_hi_u32 s26, s24, s23
	s_mul_hi_u32 s1, s24, s3
	s_add_u32 s7, s26, s7
	s_addc_u32 s1, 0, s1
	s_mul_hi_u32 s27, s25, s23
	s_mul_i32 s23, s25, s23
	s_add_u32 s7, s7, s23
	s_mul_hi_u32 s26, s25, s3
	s_addc_u32 s1, s1, s27
	s_addc_u32 s7, s26, 0
	s_mul_i32 s3, s25, s3
	s_add_u32 s1, s1, s3
	s_addc_u32 s3, 0, s7
	s_mul_i32 s3, s5, s3
	s_mul_hi_u32 s26, s5, s1
	s_add_i32 s26, s26, s3
	s_mul_i32 s3, s5, s1
	v_mov_b32_e32 v0, s3
	s_add_u32 s7, s1, 1
	s_add_u32 s23, s1, 2
	v_sub_co_u32_e32 v0, vcc, s24, v0
	s_cmp_lg_u64 vcc, 0
	s_subb_u32 s3, s25, s26
	v_subrev_co_u32_e32 v1, vcc, s5, v0
	s_cmp_lg_u64 vcc, 0
	s_subb_u32 s24, s3, 0
	v_cmp_le_u32_e32 vcc, s5, v1
	s_cmp_eq_u32 s24, 0
	v_mov_b32_e32 v13, s7
	v_cndmask_b32_e64 v1, 0, -1, vcc
	s_cselect_b64 vcc, -1, 0
	v_cndmask_b32_e32 v1, -1, v1, vcc
	v_mov_b32_e32 v14, s23
	v_cmp_ne_u32_e32 vcc, 0, v1
	s_cmp_eq_u32 s3, 0
	s_nop 0
	v_cndmask_b32_e32 v1, v13, v14, vcc
	v_cmp_le_u32_e32 vcc, s5, v0
	v_mov_b32_e32 v13, s1
	s_nop 0
	v_cndmask_b32_e64 v0, 0, -1, vcc
	s_cselect_b64 vcc, -1, 0
	v_cndmask_b32_e32 v0, -1, v0, vcc
	v_cmp_ne_u32_e32 vcc, 0, v0
	s_nop 1
	v_cndmask_b32_e32 v0, v13, v1, vcc
	v_xor_b32_e32 v0, s0, v0
	v_subrev_co_u32_e32 v0, vcc, s0, v0
	s_cbranch_execnz .LBB51_11
.LBB51_10:
	s_sub_i32 s0, 0, s5
	v_mul_lo_u32 v0, s0, v9
	v_mul_hi_u32 v0, v9, v0
	v_add_u32_e32 v0, v9, v0
	v_mul_hi_u32 v0, s2, v0
	v_mul_lo_u32 v13, v0, s5
	v_sub_u32_e32 v13, s2, v13
	v_add_u32_e32 v1, 1, v0
	v_subrev_u32_e32 v14, s5, v13
	v_cmp_le_u32_e32 vcc, s5, v13
	s_nop 1
	v_cndmask_b32_e32 v13, v13, v14, vcc
	v_cndmask_b32_e32 v0, v0, v1, vcc
	v_add_u32_e32 v1, 1, v0
	v_cmp_le_u32_e32 vcc, s5, v13
	s_nop 1
	v_cndmask_b32_e32 v0, v0, v1, vcc
.LBB51_11:
	v_cmp_ne_u32_e32 vcc, v11, v0
	s_cbranch_vccz .LBB51_14
; %bb.12:
	s_add_i32 s0, s12, s13
	s_lshl_b32 s0, s0, 1
	v_mul_hi_u32 v1, v0, s16
	s_add_i32 s0, s0, s4
	s_mov_b32 s1, s6
	v_add_u32_e32 v1, v1, v0
	s_lshl_b64 s[0:1], s[0:1], 3
	v_lshrrev_b32_e32 v1, s17, v1
	s_add_u32 s2, s10, s0
	v_mul_lo_u32 v13, v1, s18
	s_addc_u32 s3, s11, s1
	v_cmp_eq_u32_e32 vcc, v13, v0
	v_cmp_gt_u32_e64 s[0:1], s19, v1
	s_or_b64 s[0:1], s[0:1], vcc
	s_and_b64 vcc, exec, s[0:1]
	s_cbranch_vccnz .LBB51_16
; %bb.13:
	s_add_i32 s7, s13, -1
	s_mov_b64 s[0:1], 0
	s_branch .LBB51_17
.LBB51_14:
                                        ; implicit-def: $sgpr0_sgpr1
                                        ; implicit-def: $vgpr14
                                        ; implicit-def: $vgpr1
                                        ; implicit-def: $vgpr13
                                        ; implicit-def: $sgpr7
                                        ; implicit-def: $vgpr0
	s_branch .LBB51_18
.LBB51_15:
                                        ; implicit-def: $vgpr0_vgpr1
	s_branch .LBB51_10
.LBB51_16:
	s_mov_b64 s[0:1], -1
	s_mov_b32 s7, s13
	v_mov_b32_e32 v0, v11
.LBB51_17:
	s_mul_i32 s23, s13, 0xe0
	v_add_u32_e32 v14, s23, v4
	v_ashrrev_i32_e32 v15, 31, v14
	v_lshl_add_u64 v[14:15], v[14:15], 2, s[8:9]
	global_load_dword v14, v[14:15], off
	s_load_dwordx2 s[2:3], s[2:3], 0x0
	v_max_f32_e32 v1, v10, v10
	s_waitcnt lgkmcnt(0)
	v_max_f32_e64 v13, s2, s2
	v_max_f32_e32 v1, v1, v13
	v_sub_f32_e32 v13, v10, v1
	v_sub_f32_e32 v15, s2, v1
	v_mul_f32_e32 v16, 0x3fb8aa3b, v13
	v_mul_f32_e32 v17, 0x3fb8aa3b, v15
	v_fma_f32 v18, v13, s14, -v16
	v_rndne_f32_e32 v19, v16
	v_fma_f32 v20, v15, s14, -v17
	v_rndne_f32_e32 v21, v17
	v_fmac_f32_e32 v18, 0x32a5705f, v13
	v_sub_f32_e32 v16, v16, v19
	v_fmac_f32_e32 v20, 0x32a5705f, v15
	v_sub_f32_e32 v17, v17, v21
	v_add_f32_e32 v16, v16, v18
	v_cvt_i32_f32_e32 v19, v19
	v_add_f32_e32 v17, v17, v20
	v_exp_f32_e32 v16, v16
	v_cvt_i32_f32_e32 v21, v21
	v_exp_f32_e32 v17, v17
	v_cmp_ngt_f32_e32 vcc, s20, v13
	v_ldexp_f32 v16, v16, v19
	v_ldexp_f32 v17, v17, v21
	v_cndmask_b32_e32 v16, 0, v16, vcc
	v_cmp_ngt_f32_e32 vcc, s20, v15
	s_nop 1
	v_cndmask_b32_e32 v17, 0, v17, vcc
	v_cmp_nlt_f32_e32 vcc, s21, v13
	s_nop 1
	v_cndmask_b32_e32 v16, v12, v16, vcc
	v_cmp_nlt_f32_e32 vcc, s21, v15
	s_nop 1
	v_cndmask_b32_e32 v17, v12, v17, vcc
	v_cmp_le_f32_e32 vcc, s22, v13
	s_nop 1
	v_cndmask_b32_e32 v16, 0, v16, vcc
	v_cmp_le_f32_e32 vcc, s22, v15
	s_nop 1
	v_cndmask_b32_e32 v15, 0, v17, vcc
	v_mul_f32_e32 v13, s3, v15
	v_fmac_f32_e32 v13, v8, v16
	s_waitcnt vmcnt(0)
	v_mul_f32_e32 v14, v14, v15
	v_fmac_f32_e32 v14, v5, v16
	s_cbranch_execnz .LBB51_19
.LBB51_18:
	s_add_i32 s7, s13, -1
	s_mov_b64 s[0:1], 0
	v_mov_b32_e32 v0, v11
	v_mov_b32_e32 v13, v8
	;; [unrolled: 1-line block ×3, first 2 shown]
	s_waitcnt vmcnt(0)
	v_mov_b32_e32 v14, v5
.LBB51_19:
	s_andn2_b64 vcc, exec, s[0:1]
	s_cbranch_vccz .LBB51_23
; %bb.20:
	v_mov_b32_e32 v11, v0
	s_mov_b32 s13, s7
	v_mov_b32_e32 v8, v13
	v_mov_b32_e32 v10, v1
	s_waitcnt vmcnt(0)
	v_mov_b32_e32 v5, v14
	s_mul_hi_i32 s7, s13, s15
	s_cmp_lg_u64 s[6:7], 0
	s_mul_i32 s2, s13, s15
	s_cbranch_scc1 .LBB51_9
	s_branch .LBB51_15
.LBB51_21:
                                        ; implicit-def: $sgpr20_sgpr21
	s_load_dwordx4 s[16:19], s[0:1], 0x44
	s_branch .LBB51_2
.LBB51_22:
                                        ; implicit-def: $vgpr2_vgpr3
	s_branch .LBB51_5
.LBB51_23:
	v_div_scale_f32 v0, s[0:1], v13, v13, v14
	v_rcp_f32_e32 v1, v0
	v_div_scale_f32 v4, vcc, v14, v13, v14
	s_waitcnt vmcnt(0)
	v_fma_f32 v5, -v0, v1, 1.0
	v_fmac_f32_e32 v1, v5, v1
	v_mul_f32_e32 v5, v4, v1
	v_fma_f32 v6, -v0, v5, v4
	v_fmac_f32_e32 v5, v6, v1
	v_fma_f32 v0, -v0, v5, v4
	v_div_fmas_f32 v0, v0, v1, v5
	v_div_fixup_f32 v0, v0, v13, v14
	global_store_dword v[2:3], v0, off
.LBB51_24:
	s_endpgm
	.section	.rodata,"a",@progbits
	.p2align	6, 0x0
	.amdhsa_kernel _ZL33flash_attn_stream_k_fixup_generalILi112ELi1ELi2EEvPfPK15HIP_vector_typeIfLj2EEiiiiS1_IjLj3EES5_S5_S5_
		.amdhsa_group_segment_fixed_size 0
		.amdhsa_private_segment_fixed_size 0
		.amdhsa_kernarg_size 336
		.amdhsa_user_sgpr_count 2
		.amdhsa_user_sgpr_dispatch_ptr 0
		.amdhsa_user_sgpr_queue_ptr 0
		.amdhsa_user_sgpr_kernarg_segment_ptr 1
		.amdhsa_user_sgpr_dispatch_id 0
		.amdhsa_user_sgpr_kernarg_preload_length 0
		.amdhsa_user_sgpr_kernarg_preload_offset 0
		.amdhsa_user_sgpr_private_segment_size 0
		.amdhsa_uses_dynamic_stack 0
		.amdhsa_enable_private_segment 0
		.amdhsa_system_sgpr_workgroup_id_x 1
		.amdhsa_system_sgpr_workgroup_id_y 1
		.amdhsa_system_sgpr_workgroup_id_z 1
		.amdhsa_system_sgpr_workgroup_info 0
		.amdhsa_system_vgpr_workitem_id 0
		.amdhsa_next_free_vgpr 22
		.amdhsa_next_free_sgpr 32
		.amdhsa_accum_offset 24
		.amdhsa_reserve_vcc 1
		.amdhsa_float_round_mode_32 0
		.amdhsa_float_round_mode_16_64 0
		.amdhsa_float_denorm_mode_32 3
		.amdhsa_float_denorm_mode_16_64 3
		.amdhsa_dx10_clamp 1
		.amdhsa_ieee_mode 1
		.amdhsa_fp16_overflow 0
		.amdhsa_tg_split 0
		.amdhsa_exception_fp_ieee_invalid_op 0
		.amdhsa_exception_fp_denorm_src 0
		.amdhsa_exception_fp_ieee_div_zero 0
		.amdhsa_exception_fp_ieee_overflow 0
		.amdhsa_exception_fp_ieee_underflow 0
		.amdhsa_exception_fp_ieee_inexact 0
		.amdhsa_exception_int_div_zero 0
	.end_amdhsa_kernel
	.section	.text._ZL33flash_attn_stream_k_fixup_generalILi112ELi1ELi2EEvPfPK15HIP_vector_typeIfLj2EEiiiiS1_IjLj3EES5_S5_S5_,"axG",@progbits,_ZL33flash_attn_stream_k_fixup_generalILi112ELi1ELi2EEvPfPK15HIP_vector_typeIfLj2EEiiiiS1_IjLj3EES5_S5_S5_,comdat
.Lfunc_end51:
	.size	_ZL33flash_attn_stream_k_fixup_generalILi112ELi1ELi2EEvPfPK15HIP_vector_typeIfLj2EEiiiiS1_IjLj3EES5_S5_S5_, .Lfunc_end51-_ZL33flash_attn_stream_k_fixup_generalILi112ELi1ELi2EEvPfPK15HIP_vector_typeIfLj2EEiiiiS1_IjLj3EES5_S5_S5_
                                        ; -- End function
	.section	.AMDGPU.csdata,"",@progbits
; Kernel info:
; codeLenInByte = 2856
; NumSgprs: 38
; NumVgprs: 22
; NumAgprs: 0
; TotalNumVgprs: 22
; ScratchSize: 0
; MemoryBound: 0
; FloatMode: 240
; IeeeMode: 1
; LDSByteSize: 0 bytes/workgroup (compile time only)
; SGPRBlocks: 4
; VGPRBlocks: 2
; NumSGPRsForWavesPerEU: 38
; NumVGPRsForWavesPerEU: 22
; AccumOffset: 24
; Occupancy: 8
; WaveLimiterHint : 0
; COMPUTE_PGM_RSRC2:SCRATCH_EN: 0
; COMPUTE_PGM_RSRC2:USER_SGPR: 2
; COMPUTE_PGM_RSRC2:TRAP_HANDLER: 0
; COMPUTE_PGM_RSRC2:TGID_X_EN: 1
; COMPUTE_PGM_RSRC2:TGID_Y_EN: 1
; COMPUTE_PGM_RSRC2:TGID_Z_EN: 1
; COMPUTE_PGM_RSRC2:TIDIG_COMP_CNT: 0
; COMPUTE_PGM_RSRC3_GFX90A:ACCUM_OFFSET: 5
; COMPUTE_PGM_RSRC3_GFX90A:TG_SPLIT: 0
	.section	.text._ZL15flash_attn_tileILi112ELi112ELi64ELi1ELb0EEvPKcS1_S1_S1_S1_PKiPfP15HIP_vector_typeIfLj2EEffffjfiS5_IjLj3EEiiiiiiiiiiiliiliiiiil,"axG",@progbits,_ZL15flash_attn_tileILi112ELi112ELi64ELi1ELb0EEvPKcS1_S1_S1_S1_PKiPfP15HIP_vector_typeIfLj2EEffffjfiS5_IjLj3EEiiiiiiiiiiiliiliiiiil,comdat
	.globl	_ZL15flash_attn_tileILi112ELi112ELi64ELi1ELb0EEvPKcS1_S1_S1_S1_PKiPfP15HIP_vector_typeIfLj2EEffffjfiS5_IjLj3EEiiiiiiiiiiiliiliiiiil ; -- Begin function _ZL15flash_attn_tileILi112ELi112ELi64ELi1ELb0EEvPKcS1_S1_S1_S1_PKiPfP15HIP_vector_typeIfLj2EEffffjfiS5_IjLj3EEiiiiiiiiiiiliiliiiiil
	.p2align	8
	.type	_ZL15flash_attn_tileILi112ELi112ELi64ELi1ELb0EEvPKcS1_S1_S1_S1_PKiPfP15HIP_vector_typeIfLj2EEffffjfiS5_IjLj3EEiiiiiiiiiiiliiliiiiil,@function
_ZL15flash_attn_tileILi112ELi112ELi64ELi1ELb0EEvPKcS1_S1_S1_S1_PKiPfP15HIP_vector_typeIfLj2EEffffjfiS5_IjLj3EEiiiiiiiiiiiliiliiiiil: ; @_ZL15flash_attn_tileILi112ELi112ELi64ELi1ELb0EEvPKcS1_S1_S1_S1_PKiPfP15HIP_vector_typeIfLj2EEffffjfiS5_IjLj3EEiiiiiiiiiiiliiliiiiil
; %bb.0:
	s_load_dwordx4 s[60:63], s[2:3], 0x5c
	s_load_dwordx2 s[68:69], s[2:3], 0x80
	s_load_dwordx16 s[44:59], s[2:3], 0x0
	s_load_dwordx2 s[16:17], s[2:3], 0xb8
	s_mov_b64 s[66:67], 0
	s_waitcnt lgkmcnt(0)
	v_cvt_f32_u32_e32 v1, s63
	s_sub_i32 s7, 0, s63
	v_rcp_iflag_f32_e32 v1, v1
	s_nop 0
	v_mul_f32_e32 v1, 0x4f7ffffe, v1
	v_cvt_u32_f32_e32 v1, v1
	s_nop 0
	v_readfirstlane_b32 s8, v1
	s_mul_i32 s7, s7, s8
	s_mul_hi_u32 s7, s8, s7
	s_add_i32 s8, s8, s7
	s_mul_hi_u32 s7, s6, s8
	s_mul_i32 s8, s7, s63
	s_sub_i32 s8, s6, s8
	s_add_i32 s9, s7, 1
	s_sub_i32 s10, s8, s63
	s_cmp_ge_u32 s8, s63
	s_cselect_b32 s7, s9, s7
	s_cselect_b32 s8, s10, s8
	s_add_i32 s9, s7, 1
	s_cmp_ge_u32 s8, s63
	s_cselect_b32 s74, s9, s7
	s_abs_i32 s8, s69
	v_cvt_f32_u32_e32 v1, s8
	s_sub_i32 s11, 0, s8
	s_abs_i32 s10, s63
	s_xor_b32 s9, s63, s69
	v_rcp_iflag_f32_e32 v1, v1
	s_ashr_i32 s9, s9, 31
	s_mul_i32 s7, s74, s63
	s_cmp_eq_u64 s[50:51], 0
	v_mul_f32_e32 v1, 0x4f7ffffe, v1
	v_cvt_u32_f32_e32 v1, v1
	v_mul_lo_u32 v2, s11, v1
	v_mul_hi_u32 v2, v1, v2
	v_add_u32_e32 v1, v1, v2
	v_mul_hi_u32 v1, s10, v1
	v_mul_lo_u32 v2, v1, s8
	v_sub_u32_e32 v2, s10, v2
	v_add_u32_e32 v3, 1, v1
	v_subrev_u32_e32 v4, s8, v2
	v_cmp_le_u32_e32 vcc, s8, v2
	s_nop 1
	v_cndmask_b32_e32 v1, v1, v3, vcc
	v_cndmask_b32_e32 v2, v2, v4, vcc
	v_add_u32_e32 v3, 1, v1
	v_cmp_le_u32_e32 vcc, s8, v2
	s_nop 1
	v_cndmask_b32_e32 v1, v1, v3, vcc
	v_xor_b32_e32 v1, s9, v1
	v_subrev_u32_e32 v6, s9, v1
	v_sub_u32_e32 v1, 0, v6
	s_cbranch_scc1 .LBB52_2
; %bb.1:
	s_abs_i32 s10, s16
	v_cvt_f32_u32_e32 v2, s10
	s_sub_i32 s13, 0, s10
	s_abs_i32 s12, s74
	s_ashr_i32 s11, s74, 31
	v_rcp_iflag_f32_e32 v2, v2
	s_load_dwordx2 s[8:9], s[2:3], 0xc8
	v_mul_f32_e32 v2, 0x4f7ffffe, v2
	v_cvt_u32_f32_e32 v2, v2
	s_nop 0
	v_readfirstlane_b32 s14, v2
	s_mul_i32 s13, s13, s14
	s_mul_hi_u32 s13, s14, s13
	s_add_i32 s14, s14, s13
	s_mul_hi_u32 s13, s12, s14
	s_mul_i32 s13, s13, s10
	s_sub_i32 s12, s12, s13
	s_sub_i32 s13, s12, s10
	s_cmp_ge_u32 s12, s10
	s_cselect_b32 s12, s13, s12
	s_sub_i32 s13, s12, s10
	s_cmp_ge_u32 s12, s10
	s_cselect_b32 s10, s13, s12
	s_xor_b32 s10, s10, s11
	s_sub_i32 s10, s10, s11
	s_ashr_i32 s11, s10, 31
	s_waitcnt lgkmcnt(0)
	s_mul_i32 s9, s10, s9
	s_mul_hi_u32 s12, s10, s8
	s_add_i32 s9, s12, s9
	s_mul_i32 s11, s11, s8
	s_add_i32 s9, s9, s11
	s_mul_i32 s10, s10, s8
	s_add_u32 s66, s50, s10
	s_addc_u32 s67, s51, s9
.LBB52_2:
	s_load_dwordx4 s[12:15], s[2:3], 0x40
	s_sub_i32 s64, s6, s7
	s_load_dword s6, s[2:3], 0x50
	v_max_i32_e32 v1, v6, v1
	v_mov_b32_e32 v117, 1.0
	s_waitcnt lgkmcnt(0)
	v_cmp_le_f32_e64 s[8:9], s13, 0
	s_and_b64 vcc, exec, s[8:9]
	s_cbranch_vccnz .LBB52_4
; %bb.3:
	s_sub_i32 s7, s64, s6
	s_lshl_b32 s7, s7, 1
	s_add_i32 s8, s64, 1
	s_or_b32 s9, s7, 1
	s_cmp_lt_u32 s64, s6
	s_cselect_b64 vcc, -1, 0
	s_and_b64 s[6:7], vcc, exec
	v_mov_b32_e32 v2, s15
	v_mov_b32_e32 v3, s14
	s_cselect_b32 s6, s8, s9
	v_cndmask_b32_e32 v20, v2, v3, vcc
	v_cvt_f32_i32_e32 v2, s6
	v_cmp_neq_f32_e32 vcc, 1.0, v20
	s_mov_b32 s6, 0x3f2aaaab
	s_movk_i32 s8, 0x204
	v_cndmask_b32_e32 v21, 1.0, v2, vcc
	v_cmp_eq_f32_e32 vcc, 0, v21
	s_mov_b32 s10, 0x42b17218
	s_mov_b32 s9, 0x7f800000
	v_cndmask_b32_e64 v22, |v20|, 1.0, vcc
	v_frexp_mant_f32_e32 v2, v22
	v_cmp_gt_f32_e64 s[6:7], s6, v2
	s_brev_b32 s13, -2
	s_nop 0
	v_cndmask_b32_e64 v3, 1.0, 2.0, s[6:7]
	v_mul_f32_e32 v2, v2, v3
	v_add_f32_e32 v5, 1.0, v2
	v_rcp_f32_e32 v7, v5
	v_add_f32_e32 v3, -1.0, v5
	v_sub_f32_e32 v9, v2, v3
	v_add_f32_e32 v3, -1.0, v2
	v_mul_f32_e32 v12, v3, v7
	v_mul_f32_e32 v4, v5, v12
	v_fma_f32 v8, v12, v5, -v4
	v_fmac_f32_e32 v8, v12, v9
	v_add_f32_e32 v2, v4, v8
	v_sub_f32_e32 v5, v3, v2
	v_pk_add_f32 v[10:11], v[2:3], v[4:5] neg_lo:[0,1] neg_hi:[0,1]
	v_mov_b32_e32 v9, v2
	v_pk_add_f32 v[2:3], v[10:11], v[8:9] neg_lo:[0,1] neg_hi:[0,1]
	v_mov_b32_e32 v8, 0x3e91f4c4
	v_add_f32_e32 v2, v2, v3
	v_add_f32_e32 v2, v5, v2
	v_mul_f32_e32 v3, v7, v2
	v_add_f32_e32 v2, v12, v3
	v_sub_f32_e32 v4, v2, v12
	v_sub_f32_e32 v7, v3, v4
	v_mul_f32_e32 v3, v2, v2
	v_fma_f32 v5, v2, v2, -v3
	v_add_f32_e32 v4, v7, v7
	v_fmac_f32_e32 v5, v2, v4
	v_add_f32_e32 v4, v3, v5
	v_fmac_f32_e32 v8, 0x3e76c4e1, v4
	v_fmaak_f32 v8, v4, v8, 0x3ecccdef
	v_sub_f32_e32 v3, v4, v3
	v_sub_f32_e32 v14, v5, v3
	v_mul_f32_e32 v3, v4, v8
	v_fma_f32 v5, v4, v8, -v3
	v_fmac_f32_e32 v5, v14, v8
	v_add_f32_e32 v8, v3, v5
	v_add_f32_e32 v9, 0x3f2aaaaa, v8
	v_sub_f32_e32 v3, v8, v3
	v_sub_f32_e32 v3, v5, v3
	v_add_f32_e32 v5, 0xbf2aaaaa, v9
	v_add_f32_e32 v3, 0x31739010, v3
	v_sub_f32_e32 v5, v8, v5
	v_pk_mul_f32 v[10:11], v[2:3], v[4:5]
	v_pk_add_f32 v[12:13], v[2:3], v[4:5]
	v_fma_f32 v8, v4, v2, -v10
	v_fmac_f32_e32 v8, v4, v7
	v_mov_b32_e32 v11, v13
	v_fmac_f32_e32 v8, v14, v2
	v_pk_add_f32 v[4:5], v[10:11], v[8:9]
	v_ldexp_f32 v7, v7, 1
	v_sub_f32_e32 v3, v4, v10
	v_sub_f32_e32 v3, v8, v3
	;; [unrolled: 1-line block ×3, first 2 shown]
	v_add_f32_e32 v11, v13, v8
	v_mov_b32_e32 v8, v5
	v_pk_mul_f32 v[8:9], v[4:5], v[8:9]
	v_cvt_f64_f32_e32 v[12:13], v22
	v_frexp_exp_i32_f64_e32 v9, v[12:13]
	v_subbrev_co_u32_e64 v9, s[6:7], 0, v9, s[6:7]
	v_cvt_f32_i32_e32 v9, v9
	v_fma_f32 v10, v4, v5, -v8
	v_fmac_f32_e32 v10, v4, v11
	s_mov_b32 s6, 0x3f317218
	v_mul_f32_e32 v4, 0x3f317218, v9
	v_fmac_f32_e32 v10, v3, v5
	v_fma_f32 v3, v9, s6, -v4
	v_fmamk_f32 v12, v9, 0xb102e308, v3
	v_ldexp_f32 v13, v2, 1
	v_add_f32_e32 v5, v8, v10
	v_pk_add_f32 v[2:3], v[4:5], v[12:13]
	v_mov_b32_e32 v14, v5
	v_mov_b32_e32 v15, v3
	;; [unrolled: 1-line block ×3, first 2 shown]
	v_pk_add_f32 v[8:9], v[14:15], v[8:9] neg_lo:[0,1] neg_hi:[0,1]
	v_mov_b32_e32 v11, v5
	v_pk_add_f32 v[8:9], v[10:11], v[8:9] neg_lo:[0,1] neg_hi:[0,1]
	v_mov_b32_e32 v13, v2
	v_add_f32_e32 v5, v7, v8
	v_add_f32_e32 v5, v5, v9
	v_pk_add_f32 v[8:9], v[2:3], v[4:5] neg_lo:[0,1] neg_hi:[0,1]
	v_pk_add_f32 v[10:11], v[2:3], v[4:5]
	v_mov_b32_e32 v14, v8
	v_mov_b32_e32 v15, v11
	v_pk_add_f32 v[14:15], v[12:13], v[14:15]
	v_pk_add_f32 v[8:9], v[12:13], v[8:9] neg_lo:[0,1] neg_hi:[0,1]
	v_mov_b32_e32 v4, v15
	v_pk_add_f32 v[16:17], v[4:5], v[2:3] neg_lo:[0,1] neg_hi:[0,1]
	v_mov_b32_e32 v14, v11
	v_mov_b32_e32 v7, v16
	;; [unrolled: 1-line block ×4, first 2 shown]
	v_pk_add_f32 v[18:19], v[10:11], v[6:7] neg_lo:[0,1] neg_hi:[0,1]
	v_pk_add_f32 v[2:3], v[14:15], v[2:3] neg_lo:[0,1] neg_hi:[0,1]
	v_mov_b32_e32 v12, v5
	v_pk_add_f32 v[2:3], v[12:13], v[2:3] neg_lo:[0,1] neg_hi:[0,1]
	v_mov_b32_e32 v18, v8
	v_pk_add_f32 v[10:11], v[18:19], v[2:3]
	v_mov_b32_e32 v9, v15
	v_mov_b32_e32 v12, v11
	v_pk_add_f32 v[12:13], v[10:11], v[12:13]
	s_nop 0
	v_pk_add_f32 v[4:5], v[4:5], v[12:13]
	v_mov_b32_e32 v3, v12
	v_mov_b32_e32 v11, v4
	v_pk_add_f32 v[14:15], v[10:11], v[8:9] neg_lo:[0,1] neg_hi:[0,1]
	s_nop 0
	v_sub_f32_e32 v5, v10, v14
	v_pk_add_f32 v[2:3], v[2:3], v[14:15] neg_lo:[0,1] neg_hi:[0,1]
	v_sub_f32_e32 v5, v8, v5
	v_add_f32_e32 v2, v2, v5
	v_add_f32_e32 v2, v2, v3
	;; [unrolled: 1-line block ×3, first 2 shown]
	v_sub_f32_e32 v4, v3, v4
	v_sub_f32_e32 v2, v2, v4
	v_mul_f32_e32 v4, v21, v3
	v_fma_f32 v3, v21, v3, -v4
	v_fmac_f32_e32 v3, v21, v2
	v_add_f32_e32 v2, v4, v3
	v_cmp_class_f32_e64 s[6:7], v4, s8
	v_sub_f32_e32 v5, v2, v4
	v_sub_f32_e32 v3, v3, v5
	v_cndmask_b32_e64 v2, v2, v4, s[6:7]
	v_mov_b32_e32 v4, 0x37000000
	v_cmp_eq_f32_e64 s[6:7], s10, v2
	s_nop 1
	v_cndmask_b32_e64 v4, 0, v4, s[6:7]
	v_sub_f32_e32 v5, v2, v4
	s_mov_b32 s6, 0x3fb8aa3b
	v_mul_f32_e32 v7, 0x3fb8aa3b, v5
	v_fma_f32 v8, v5, s6, -v7
	v_rndne_f32_e32 v9, v7
	v_fmamk_f32 v8, v5, 0x32a5705f, v8
	v_sub_f32_e32 v7, v7, v9
	v_add_f32_e32 v7, v7, v8
	v_exp_f32_e32 v7, v7
	v_cvt_i32_f32_e32 v8, v9
	v_cmp_neq_f32_e64 s[6:7], |v2|, s9
	s_nop 1
	v_cndmask_b32_e64 v2, 0, v3, s[6:7]
	s_mov_b32 s6, 0xc2ce8ed0
	v_ldexp_f32 v3, v7, v8
	v_cmp_ngt_f32_e64 s[6:7], s6, v5
	v_add_f32_e32 v2, v4, v2
	v_mov_b32_e32 v4, 0x7f800000
	v_cndmask_b32_e64 v3, 0, v3, s[6:7]
	v_cmp_nlt_f32_e64 s[6:7], s10, v5
	v_trunc_f32_e32 v5, v21
	v_mov_b32_e32 v7, 0x7fc00000
	v_cndmask_b32_e64 v3, v4, v3, s[6:7]
	v_fma_f32 v2, v3, v2, v3
	v_cmp_class_f32_e64 s[6:7], v3, s8
	v_cmp_gt_f32_e64 s[10:11], 0, v21
	s_nop 0
	v_cndmask_b32_e64 v2, v2, v3, s[6:7]
	v_cndmask_b32_e64 v3, v20, 1.0, vcc
	v_cmp_eq_f32_e32 vcc, v5, v21
	v_mul_f32_e32 v5, 0.5, v21
	v_trunc_f32_e32 v8, v5
	v_cmp_neq_f32_e64 s[6:7], v8, v5
	s_and_b64 s[6:7], vcc, s[6:7]
	s_nop 0
	v_cndmask_b32_e64 v5, 1.0, v3, s[6:7]
	v_bfi_b32 v2, s13, v2, v5
	v_cndmask_b32_e32 v5, v7, v2, vcc
	v_cmp_gt_f32_e32 vcc, 0, v3
	s_nop 1
	v_cndmask_b32_e32 v2, v2, v5, vcc
	v_cmp_eq_f32_e32 vcc, s9, v22
	v_cmp_eq_f32_e64 s[8:9], 0, v3
	s_xor_b64 s[10:11], s[10:11], s[8:9]
	v_cndmask_b32_e64 v4, v4, 0, s[10:11]
	v_cndmask_b32_e64 v5, 0, v3, s[6:7]
	v_bfi_b32 v4, s13, v4, v5
	s_or_b64 vcc, vcc, s[8:9]
	v_cndmask_b32_e32 v2, v2, v4, vcc
	v_cmp_o_f32_e32 vcc, v3, v3
	s_nop 1
	v_cndmask_b32_e32 v117, v7, v2, vcc
.LBB52_4:
	s_load_dwordx4 s[8:11], s[2:3], 0x70
	s_lshl_b32 s33, s4, 6
	v_cvt_f32_u32_e32 v7, v1
	v_and_b32_e32 v167, 0x3ff, v0
	v_bfe_u32 v115, v0, 10, 10
	s_waitcnt lgkmcnt(0)
	s_mul_i32 s6, s74, s10
	s_ashr_i32 s7, s6, 31
	s_add_u32 s6, s44, s6
	s_mul_i32 s9, s64, s9
	s_addc_u32 s7, s45, s7
	s_ashr_i32 s11, s9, 31
	s_add_u32 s10, s6, s9
	s_addc_u32 s11, s7, s11
	v_lshlrev_b32_e32 v170, 3, v115
	s_ashr_i32 s9, s8, 31
	v_lshlrev_b32_e32 v2, 4, v167
	v_mov_b32_e32 v3, 0
	v_cmp_gt_u32_e64 s[50:51], 28, v167
	s_lshr_b64 s[6:7], s[8:9], 2
	v_lshl_add_u64 v[4:5], s[10:11], 0, v[2:3]
	v_lshlrev_b32_e32 v3, 1, v167
	v_add_u32_e32 v171, s33, v170
	s_and_saveexec_b64 s[8:9], s[50:51]
	s_cbranch_execz .LBB52_6
; %bb.5:
	v_mul_hi_u32 v8, v171, s60
	v_add_u32_e32 v8, v171, v8
	v_lshrrev_b32_e32 v8, s61, v8
	v_mul_lo_u32 v8, v8, s62
	v_sub_u32_e32 v11, v171, v8
	v_mad_u64_u32 v[8:9], s[10:11], s6, v11, 0
	v_mov_b32_e32 v10, v9
	v_mad_u64_u32 v[10:11], s[10:11], s7, v11, v[10:11]
	v_mov_b32_e32 v9, v10
	v_lshl_add_u64 v[8:9], v[8:9], 2, v[4:5]
	global_load_dwordx4 v[8:11], v[8:9], off
	v_mul_u32_u24_e32 v12, 0x1c0, v115
	s_waitcnt vmcnt(0)
	v_pk_mul_f32 v[8:9], v[8:9], s[12:13] op_sel_hi:[1,0]
	v_pk_mul_f32 v[10:11], v[10:11], s[12:13] op_sel_hi:[1,0]
	v_cvt_f16_f32_e32 v13, v9
	v_cvt_f16_f32_e32 v9, v11
	;; [unrolled: 1-line block ×4, first 2 shown]
	v_or_b32_e32 v11, v12, v3
	v_lshlrev_b32_e32 v11, 2, v11
	v_pack_b32_f16 v9, v10, v9
	v_pack_b32_f16 v8, v8, v13
	ds_write_b64 v11, v[8:9]
.LBB52_6:
	s_or_b64 exec, exec, s[8:9]
	v_rcp_iflag_f32_e32 v7, v7
	v_or_b32_e32 v168, 1, v170
	v_add_u32_e32 v169, s33, v168
	s_and_saveexec_b64 s[8:9], s[50:51]
	s_cbranch_execz .LBB52_8
; %bb.7:
	v_mul_hi_u32 v8, v169, s60
	v_add_u32_e32 v8, v169, v8
	v_lshrrev_b32_e32 v8, s61, v8
	v_mul_lo_u32 v8, v8, s62
	v_sub_u32_e32 v11, v169, v8
	v_mad_u64_u32 v[8:9], s[10:11], s6, v11, 0
	v_mov_b32_e32 v10, v9
	v_mad_u64_u32 v[10:11], s[10:11], s7, v11, v[10:11]
	v_mov_b32_e32 v9, v10
	v_lshl_add_u64 v[8:9], v[8:9], 2, v[4:5]
	global_load_dwordx4 v[8:11], v[8:9], off
	s_waitcnt vmcnt(0)
	v_pk_mul_f32 v[8:9], v[8:9], s[12:13] op_sel_hi:[1,0]
	v_pk_mul_f32 v[10:11], v[10:11], s[12:13] op_sel_hi:[1,0]
	v_cvt_f16_f32_e32 v12, v9
	v_cvt_f16_f32_e32 v9, v11
	;; [unrolled: 1-line block ×4, first 2 shown]
	v_mul_u32_u24_e32 v11, 56, v168
	v_add_lshl_u32 v11, v11, v3, 2
	v_pack_b32_f16 v9, v10, v9
	v_pack_b32_f16 v8, v8, v12
	ds_write_b64 v11, v[8:9]
.LBB52_8:
	s_or_b64 exec, exec, s[8:9]
	v_mul_f32_e32 v7, 0x4f7ffffe, v7
	v_or_b32_e32 v166, 2, v170
	s_and_saveexec_b64 s[8:9], s[50:51]
	s_cbranch_execz .LBB52_10
; %bb.9:
	v_add_u32_e32 v8, s33, v166
	v_mul_hi_u32 v9, v8, s60
	v_add_u32_e32 v9, v8, v9
	v_lshrrev_b32_e32 v9, s61, v9
	v_mul_lo_u32 v9, v9, s62
	v_sub_u32_e32 v11, v8, v9
	v_mad_u64_u32 v[8:9], s[10:11], s6, v11, 0
	v_mov_b32_e32 v10, v9
	v_mad_u64_u32 v[10:11], s[10:11], s7, v11, v[10:11]
	v_mov_b32_e32 v9, v10
	v_lshl_add_u64 v[8:9], v[8:9], 2, v[4:5]
	global_load_dwordx4 v[8:11], v[8:9], off
	s_waitcnt vmcnt(0)
	v_pk_mul_f32 v[8:9], v[8:9], s[12:13] op_sel_hi:[1,0]
	v_pk_mul_f32 v[10:11], v[10:11], s[12:13] op_sel_hi:[1,0]
	v_cvt_f16_f32_e32 v12, v9
	v_cvt_f16_f32_e32 v9, v11
	;; [unrolled: 1-line block ×4, first 2 shown]
	v_mul_u32_u24_e32 v11, 56, v166
	v_add_lshl_u32 v11, v11, v3, 2
	v_pack_b32_f16 v9, v10, v9
	v_pack_b32_f16 v8, v8, v12
	ds_write_b64 v11, v[8:9]
.LBB52_10:
	s_or_b64 exec, exec, s[8:9]
	v_cvt_u32_f32_e32 v7, v7
	v_sub_u32_e32 v8, 0, v1
	v_or_b32_e32 v165, 3, v170
	s_and_saveexec_b64 s[8:9], s[50:51]
	s_cbranch_execz .LBB52_12
; %bb.11:
	v_add_u32_e32 v9, s33, v165
	v_mul_hi_u32 v10, v9, s60
	v_add_u32_e32 v10, v9, v10
	v_lshrrev_b32_e32 v10, s61, v10
	v_mul_lo_u32 v10, v10, s62
	v_sub_u32_e32 v9, v9, v10
	v_mad_u64_u32 v[10:11], s[10:11], s6, v9, 0
	v_mov_b32_e32 v12, v11
	v_mad_u64_u32 v[12:13], s[10:11], s7, v9, v[12:13]
	v_mov_b32_e32 v11, v12
	v_lshl_add_u64 v[10:11], v[10:11], 2, v[4:5]
	global_load_dwordx4 v[10:13], v[10:11], off
	s_waitcnt vmcnt(0)
	v_pk_mul_f32 v[10:11], v[10:11], s[12:13] op_sel_hi:[1,0]
	v_pk_mul_f32 v[12:13], v[12:13], s[12:13] op_sel_hi:[1,0]
	v_cvt_f16_f32_e32 v9, v11
	v_cvt_f16_f32_e32 v11, v13
	;; [unrolled: 1-line block ×4, first 2 shown]
	v_mul_u32_u24_e32 v13, 56, v165
	v_add_lshl_u32 v13, v13, v3, 2
	v_pack_b32_f16 v11, v12, v11
	v_pack_b32_f16 v10, v10, v9
	ds_write_b64 v13, v[10:11]
.LBB52_12:
	s_or_b64 exec, exec, s[8:9]
	v_mul_lo_u32 v8, v8, v7
	v_or_b32_e32 v164, 4, v170
	s_and_saveexec_b64 s[8:9], s[50:51]
	s_cbranch_execz .LBB52_14
; %bb.13:
	v_add_u32_e32 v9, s33, v164
	v_mul_hi_u32 v10, v9, s60
	v_add_u32_e32 v10, v9, v10
	v_lshrrev_b32_e32 v10, s61, v10
	v_mul_lo_u32 v10, v10, s62
	v_sub_u32_e32 v9, v9, v10
	v_mad_u64_u32 v[10:11], s[10:11], s6, v9, 0
	v_mov_b32_e32 v12, v11
	v_mad_u64_u32 v[12:13], s[10:11], s7, v9, v[12:13]
	v_mov_b32_e32 v11, v12
	v_lshl_add_u64 v[10:11], v[10:11], 2, v[4:5]
	global_load_dwordx4 v[10:13], v[10:11], off
	s_waitcnt vmcnt(0)
	v_pk_mul_f32 v[10:11], v[10:11], s[12:13] op_sel_hi:[1,0]
	v_pk_mul_f32 v[12:13], v[12:13], s[12:13] op_sel_hi:[1,0]
	v_cvt_f16_f32_e32 v9, v11
	v_cvt_f16_f32_e32 v11, v13
	v_cvt_f16_f32_e32 v12, v12
	v_cvt_f16_f32_e32 v10, v10
	v_mul_u32_u24_e32 v13, 56, v164
	v_add_lshl_u32 v13, v13, v3, 2
	v_pack_b32_f16 v11, v12, v11
	v_pack_b32_f16 v10, v10, v9
	ds_write_b64 v13, v[10:11]
.LBB52_14:
	s_or_b64 exec, exec, s[8:9]
	v_mul_hi_u32 v8, v7, v8
	v_or_b32_e32 v163, 5, v170
	s_and_saveexec_b64 s[8:9], s[50:51]
	s_cbranch_execz .LBB52_16
; %bb.15:
	v_add_u32_e32 v9, s33, v163
	v_mul_hi_u32 v10, v9, s60
	v_add_u32_e32 v10, v9, v10
	v_lshrrev_b32_e32 v10, s61, v10
	v_mul_lo_u32 v10, v10, s62
	v_sub_u32_e32 v9, v9, v10
	v_mad_u64_u32 v[10:11], s[10:11], s6, v9, 0
	v_mov_b32_e32 v12, v11
	v_mad_u64_u32 v[12:13], s[10:11], s7, v9, v[12:13]
	v_mov_b32_e32 v11, v12
	v_lshl_add_u64 v[10:11], v[10:11], 2, v[4:5]
	global_load_dwordx4 v[10:13], v[10:11], off
	s_waitcnt vmcnt(0)
	v_pk_mul_f32 v[10:11], v[10:11], s[12:13] op_sel_hi:[1,0]
	v_pk_mul_f32 v[12:13], v[12:13], s[12:13] op_sel_hi:[1,0]
	v_cvt_f16_f32_e32 v9, v11
	v_cvt_f16_f32_e32 v11, v13
	;; [unrolled: 1-line block ×4, first 2 shown]
	v_mul_u32_u24_e32 v13, 56, v163
	v_add_lshl_u32 v13, v13, v3, 2
	v_pack_b32_f16 v11, v12, v11
	v_pack_b32_f16 v10, v10, v9
	ds_write_b64 v13, v[10:11]
.LBB52_16:
	s_or_b64 exec, exec, s[8:9]
	s_abs_i32 s10, s64
	v_add_u32_e32 v7, v7, v8
	v_or_b32_e32 v162, 6, v170
	s_and_saveexec_b64 s[8:9], s[50:51]
	s_cbranch_execz .LBB52_18
; %bb.17:
	v_add_u32_e32 v8, s33, v162
	v_mul_hi_u32 v9, v8, s60
	v_add_u32_e32 v9, v8, v9
	v_lshrrev_b32_e32 v9, s61, v9
	v_mul_lo_u32 v9, v9, s62
	v_sub_u32_e32 v11, v8, v9
	v_mad_u64_u32 v[8:9], s[14:15], s6, v11, 0
	v_mov_b32_e32 v10, v9
	v_mad_u64_u32 v[10:11], s[14:15], s7, v11, v[10:11]
	v_mov_b32_e32 v9, v10
	v_lshl_add_u64 v[8:9], v[8:9], 2, v[4:5]
	global_load_dwordx4 v[8:11], v[8:9], off
	s_waitcnt vmcnt(0)
	v_pk_mul_f32 v[8:9], v[8:9], s[12:13] op_sel_hi:[1,0]
	v_pk_mul_f32 v[10:11], v[10:11], s[12:13] op_sel_hi:[1,0]
	v_cvt_f16_f32_e32 v12, v9
	v_cvt_f16_f32_e32 v9, v11
	;; [unrolled: 1-line block ×4, first 2 shown]
	v_mul_u32_u24_e32 v11, 56, v162
	v_add_lshl_u32 v11, v11, v3, 2
	v_pack_b32_f16 v9, v10, v9
	v_pack_b32_f16 v8, v8, v12
	ds_write_b64 v11, v[8:9]
.LBB52_18:
	s_or_b64 exec, exec, s[8:9]
	v_mul_hi_u32 v7, s10, v7
	v_or_b32_e32 v123, 7, v170
	s_and_saveexec_b64 s[8:9], s[50:51]
	s_cbranch_execz .LBB52_20
; %bb.19:
	v_add_u32_e32 v8, s33, v123
	v_mul_hi_u32 v9, v8, s60
	v_add_u32_e32 v9, v8, v9
	v_lshrrev_b32_e32 v9, s61, v9
	v_mul_lo_u32 v9, v9, s62
	v_sub_u32_e32 v11, v8, v9
	v_mad_u64_u32 v[8:9], s[14:15], s6, v11, 0
	v_mov_b32_e32 v10, v9
	v_mad_u64_u32 v[10:11], s[6:7], s7, v11, v[10:11]
	v_mov_b32_e32 v9, v10
	v_lshl_add_u64 v[4:5], v[8:9], 2, v[4:5]
	global_load_dwordx4 v[8:11], v[4:5], off
	s_waitcnt vmcnt(0)
	v_pk_mul_f32 v[4:5], v[8:9], s[12:13] op_sel_hi:[1,0]
	v_pk_mul_f32 v[8:9], v[10:11], s[12:13] op_sel_hi:[1,0]
	v_cvt_f16_f32_e32 v10, v5
	v_cvt_f16_f32_e32 v5, v9
	v_cvt_f16_f32_e32 v8, v8
	v_cvt_f16_f32_e32 v4, v4
	v_mul_u32_u24_e32 v9, 56, v123
	v_add_lshl_u32 v3, v9, v3, 2
	v_pack_b32_f16 v5, v8, v5
	v_pack_b32_f16 v4, v4, v10
	ds_write_b64 v3, v[4:5]
.LBB52_20:
	s_or_b64 exec, exec, s[8:9]
	s_ashr_i32 s65, s64, 31
	v_ashrrev_i32_e32 v3, 31, v6
	s_cmp_eq_u64 s[54:55], 0
	s_waitcnt lgkmcnt(0)
	s_barrier
	s_cbranch_scc1 .LBB52_22
; %bb.21:
	s_load_dword s6, s[2:3], 0xd0
	s_mov_b32 s7, 0
	s_waitcnt lgkmcnt(0)
	s_mul_i32 s6, s6, s74
	s_add_i32 s6, s6, s4
	s_lshl_b64 s[6:7], s[6:7], 2
	s_add_u32 s6, s54, s6
	s_addc_u32 s7, s55, s7
	s_load_dword s68, s[6:7], 0x0
.LBB52_22:
	s_nop 0
	s_load_dwordx2 s[6:7], s[2:3], 0x8c
	s_load_dwordx4 s[12:15], s[2:3], 0x98
	v_mul_lo_u32 v4, v7, v1
	v_sub_u32_e32 v4, s10, v4
	v_add_u32_e32 v5, 1, v7
	v_sub_u32_e32 v6, v4, v1
	v_cmp_ge_u32_e32 vcc, v4, v1
	s_load_dwordx2 s[8:9], s[2:3], 0xa8
	s_waitcnt lgkmcnt(0)
	s_ashr_i32 s76, s6, 2
	v_cndmask_b32_e32 v5, v7, v5, vcc
	v_cndmask_b32_e32 v4, v4, v6, vcc
	v_add_u32_e32 v6, 1, v5
	v_cmp_ge_u32_e32 vcc, v4, v1
	s_ashr_i32 s6, s74, 31
	s_mul_i32 s11, s74, s13
	s_mul_hi_u32 s13, s74, s12
	v_xor_b32_e32 v3, s65, v3
	v_cndmask_b32_e32 v1, v5, v6, vcc
	s_add_i32 s11, s13, s11
	s_mul_i32 s13, s6, s12
	v_xor_b32_e32 v1, v1, v3
	s_ashr_i32 s4, s14, 2
	s_ashr_i32 s75, s17, 1
	s_add_i32 s11, s11, s13
	s_mul_i32 s12, s74, s12
	v_sub_u32_e32 v1, v1, v3
	s_add_u32 s12, s46, s12
	v_mul_lo_u32 v4, v1, s7
	s_mul_i32 s7, s74, s9
	s_mul_hi_u32 s9, s74, s8
	s_addc_u32 s13, s47, s11
	s_add_i32 s7, s9, s7
	s_mul_i32 s6, s6, s8
	v_ashrrev_i32_e32 v5, 31, v4
	s_add_i32 s7, s7, s6
	s_mul_i32 s6, s74, s8
	v_lshl_add_u64 v[120:121], s[12:13], 0, v[4:5]
	s_add_u32 s6, s48, s6
	v_mul_lo_u32 v4, v1, s15
	v_lshlrev_b32_e32 v122, 2, v167
	s_addc_u32 s7, s49, s7
	v_ashrrev_i32_e32 v5, 31, v4
	s_lshl_b32 s69, s5, 5
	s_sub_i32 s77, s68, 32
	v_lshl_add_u64 v[124:125], s[6:7], 0, v[4:5]
	s_mov_b32 s8, 0xfeffffff
	s_cmp_ge_i32 s69, s77
	v_mov_b32_e32 v9, 0
	v_mov_b32_e32 v187, 0
	v_lshl_add_u32 v192, v115, 5, v167
	v_lshrrev_b32_e32 v191, 1, v167
	v_lshrrev_b32_e32 v1, 2, v167
	v_lshlrev_b32_e32 v190, 7, v167
	v_and_b32_e32 v116, 4, v122
	v_and_b32_e32 v118, 12, v122
	v_lshrrev_b32_e32 v119, 3, v167
	v_lshlrev_b32_e32 v176, 3, v167
	v_and_b32_e32 v114, 28, v122
	v_mbcnt_lo_u32_b32 v189, -1, 0
	s_cbranch_scc1 .LBB52_66
; %bb.23:
	v_lshl_add_u32 v3, v115, 4, v191
	v_lshlrev_b32_e32 v5, 2, v116
	v_lshl_or_b32 v6, v3, 7, v5
	v_add_u32_e32 v4, v170, v1
	v_add_u32_e32 v196, 0x3840, v6
	v_lshlrev_b32_e32 v6, 2, v118
	v_lshl_or_b32 v7, v4, 7, v6
	v_add_u32_e32 v197, 0x3800, v7
	v_mul_hi_u32 v7, s60, v171
	v_add_u32_e32 v7, v171, v7
	v_lshrrev_b32_e32 v7, s61, v7
	v_mul_lo_u32 v7, v7, s62
	v_sub_u32_e32 v7, v171, v7
	v_mul_lo_u32 v198, v7, s75
	v_or_b32_e32 v7, 1, v171
	v_mul_hi_u32 v8, s60, v7
	v_add_u32_e32 v8, v7, v8
	v_lshrrev_b32_e32 v8, s61, v8
	v_mul_lo_u32 v8, v8, s62
	v_sub_u32_e32 v7, v7, v8
	v_mul_lo_u32 v199, v7, s75
	v_or_b32_e32 v7, 2, v171
	;; [unrolled: 7-line block ×7, first 2 shown]
	v_mul_hi_u32 v8, s60, v7
	v_add_u32_e32 v8, v7, v8
	v_lshrrev_b32_e32 v8, s61, v8
	v_mul_lo_u32 v8, v8, s62
	v_sub_u32_e32 v7, v7, v8
	v_mul_lo_u32 v205, v7, s75
	v_mov_b32_e32 v7, 0x4840
	v_cmp_gt_u32_e64 s[8:9], 32, v3
	v_mul_lo_u32 v128, s76, v3
	s_cmp_lg_u64 s[66:67], 0
	v_lshl_add_u32 v206, v115, 9, v7
	v_cmp_gt_u32_e64 s[12:13], 16, v3
	v_lshl_add_u32 v7, v115, 2, v119
	v_mul_u32_u24_e32 v8, 0xe0, v3
	v_mul_lo_u32 v134, s4, v3
	v_mul_u32_u24_e32 v3, 0xe0, v4
	s_movk_i32 s19, 0x3880
	v_cmp_gt_u32_e64 s[10:11], 32, v4
	s_movk_i32 s18, 0x3800
	v_mul_lo_u32 v126, s76, v192
	v_mov_b32_e32 v131, 0
	v_mul_lo_u32 v132, s76, v4
	s_cselect_b64 s[54:55], -1, 0
	v_cmp_gt_u32_e64 s[14:15], 16, v4
	v_or_b32_e32 v5, v8, v5
	v_add3_u32 v208, v3, v6, s19
	v_mul_lo_u32 v136, s4, v4
	v_mul_u32_u24_e32 v3, 0xe0, v7
	v_lshlrev_b32_e32 v4, 2, v114
	v_mul_lo_u32 v138, s4, v7
	s_add_u32 s70, s2, 0xd0
	v_mov_b32_e32 v18, 0xfeffffff
	v_cmp_gt_u32_e64 s[6:7], 32, v192
	v_add_u32_e32 v193, 0x3800, v190
	v_mul_u32_u24_e32 v194, 0x700, v115
	v_add_u32_e32 v195, 0x3860, v190
	v_ashrrev_i32_e32 v127, 31, v126
	v_ashrrev_i32_e32 v129, 31, v128
	;; [unrolled: 1-line block ×3, first 2 shown]
	v_cmp_gt_u32_e64 s[16:17], 16, v7
	v_add_u32_e32 v207, 0x38c0, v5
	v_ashrrev_i32_e32 v135, 31, v134
	v_ashrrev_i32_e32 v137, 31, v136
	v_add3_u32 v209, v3, v4, s18
	v_ashrrev_i32_e32 v139, 31, v138
	s_addc_u32 s71, s3, 0
	v_mbcnt_hi_u32_b32 v210, -1, v189
	s_mov_b32 s78, 0x3fb8aa3b
	s_mov_b32 s79, 0xc2ce8ed0
	;; [unrolled: 1-line block ×3, first 2 shown]
	v_add_u32_e32 v211, v206, v2
	v_lshlrev_b32_e32 v130, 2, v116
	v_lshlrev_b32_e32 v140, 2, v118
	v_mov_b32_e32 v212, 0x7f800000
	v_mov_b32_e32 v173, v131
	;; [unrolled: 1-line block ×32, first 2 shown]
.LBB52_24:                              ; =>This Inner Loop Header: Depth=1
	s_mul_hi_i32 s19, s69, s76
	s_mul_i32 s18, s69, s76
	s_lshl_b64 s[18:19], s[18:19], 2
	v_lshl_add_u64 v[12:13], v[120:121], 0, s[18:19]
	v_lshl_add_u64 v[14:15], v[126:127], 2, v[12:13]
	s_and_saveexec_b64 s[18:19], s[6:7]
	s_cbranch_execnz .LBB52_58
; %bb.25:                               ;   in Loop: Header=BB52_24 Depth=1
	s_or_b64 exec, exec, s[18:19]
	v_lshl_add_u64 v[10:11], v[128:129], 2, v[12:13]
	s_and_saveexec_b64 s[18:19], s[8:9]
	s_cbranch_execnz .LBB52_59
.LBB52_26:                              ;   in Loop: Header=BB52_24 Depth=1
	s_or_b64 exec, exec, s[18:19]
	v_lshl_add_u64 v[12:13], v[132:133], 2, v[12:13]
	s_and_saveexec_b64 s[18:19], s[10:11]
	s_cbranch_execz .LBB52_28
.LBB52_27:                              ;   in Loop: Header=BB52_24 Depth=1
	v_mov_b32_e32 v141, v131
	v_lshl_add_u64 v[16:17], v[12:13], 0, v[140:141]
	global_load_dwordx4 v[26:29], v[16:17], off
	s_waitcnt vmcnt(0)
	ds_write_b128 v197, v[26:29]
.LBB52_28:                              ;   in Loop: Header=BB52_24 Depth=1
	s_or_b64 exec, exec, s[18:19]
	v_mov_b32_e32 v26, 0
	s_waitcnt lgkmcnt(0)
	s_barrier
	ds_read_b128 v[32:35], v193
	ds_read_b128 v[28:31], v194
	ds_read_b128 v[36:39], v194 offset:224
	ds_read_b128 v[40:43], v194 offset:448
	ds_read_b128 v[44:47], v194 offset:672
	ds_read_b128 v[48:51], v194 offset:896
	ds_read_b128 v[52:55], v194 offset:1120
	ds_read_b128 v[56:59], v194 offset:1344
	ds_read_b128 v[60:63], v194 offset:1568
	s_waitcnt lgkmcnt(7)
	;;#ASMSTART
	v_dot2_f32_f16 v26, v32, v28, v26
	;;#ASMEND
	v_mov_b32_e32 v27, 0
	;;#ASMSTART
	v_dot2_f32_f16 v26, v33, v29, v26
	;;#ASMEND
	v_mov_b32_e32 v28, 0
	;; [unrolled: 4-line block ×3, first 2 shown]
	;;#ASMSTART
	v_dot2_f32_f16 v26, v35, v31, v26
	;;#ASMEND
	s_waitcnt lgkmcnt(6)
	;;#ASMSTART
	v_dot2_f32_f16 v27, v32, v36, v27
	;;#ASMEND
	v_mov_b32_e32 v30, 0
	;;#ASMSTART
	v_dot2_f32_f16 v27, v33, v37, v27
	;;#ASMEND
	v_mov_b32_e32 v31, 0
	;; [unrolled: 4-line block ×3, first 2 shown]
	;;#ASMSTART
	v_dot2_f32_f16 v27, v35, v39, v27
	;;#ASMEND
	s_waitcnt lgkmcnt(5)
	;;#ASMSTART
	v_dot2_f32_f16 v28, v32, v40, v28
	;;#ASMEND
	v_mov_b32_e32 v16, 0
	;;#ASMSTART
	v_dot2_f32_f16 v28, v33, v41, v28
	;;#ASMEND
	s_nop 0
	;;#ASMSTART
	v_dot2_f32_f16 v28, v34, v42, v28
	;;#ASMEND
	s_nop 0
	;;#ASMSTART
	v_dot2_f32_f16 v28, v35, v43, v28
	;;#ASMEND
	s_waitcnt lgkmcnt(4)
	;;#ASMSTART
	v_dot2_f32_f16 v29, v32, v44, v29
	;;#ASMEND
	s_nop 0
	;;#ASMSTART
	v_dot2_f32_f16 v29, v33, v45, v29
	;;#ASMEND
	s_nop 0
	;;#ASMSTART
	v_dot2_f32_f16 v29, v34, v46, v29
	;;#ASMEND
	s_nop 0
	;;#ASMSTART
	v_dot2_f32_f16 v29, v35, v47, v29
	;;#ASMEND
	s_waitcnt lgkmcnt(3)
	;;#ASMSTART
	v_dot2_f32_f16 v30, v32, v48, v30
	;;#ASMEND
	s_nop 0
	;; [unrolled: 16-line block ×5, first 2 shown]
	;;#ASMSTART
	v_dot2_f32_f16 v16, v33, v61, v16
	;;#ASMEND
	s_nop 0
	;;#ASMSTART
	v_dot2_f32_f16 v16, v34, v62, v16
	;;#ASMEND
	s_nop 0
	;;#ASMSTART
	v_dot2_f32_f16 v16, v35, v63, v16
	;;#ASMEND
	ds_read_b128 v[32:35], v193 offset:16
	ds_read_b128 v[36:39], v194 offset:16
	;; [unrolled: 1-line block ×9, first 2 shown]
	s_waitcnt lgkmcnt(7)
	;;#ASMSTART
	v_dot2_f32_f16 v26, v32, v36, v26
	;;#ASMEND
	s_nop 0
	;;#ASMSTART
	v_dot2_f32_f16 v26, v33, v37, v26
	;;#ASMEND
	s_nop 0
	;;#ASMSTART
	v_dot2_f32_f16 v26, v34, v38, v26
	;;#ASMEND
	s_nop 0
	;;#ASMSTART
	v_dot2_f32_f16 v26, v35, v39, v26
	;;#ASMEND
	s_waitcnt lgkmcnt(6)
	;;#ASMSTART
	v_dot2_f32_f16 v27, v32, v40, v27
	;;#ASMEND
	s_nop 0
	;;#ASMSTART
	v_dot2_f32_f16 v27, v33, v41, v27
	;;#ASMEND
	s_nop 0
	;;#ASMSTART
	v_dot2_f32_f16 v27, v34, v42, v27
	;;#ASMEND
	s_nop 0
	;;#ASMSTART
	v_dot2_f32_f16 v27, v35, v43, v27
	;;#ASMEND
	;; [unrolled: 16-line block ×8, first 2 shown]
	ds_read_b128 v[32:35], v193 offset:32
	ds_read_b128 v[36:39], v194 offset:32
	;; [unrolled: 1-line block ×9, first 2 shown]
	s_waitcnt lgkmcnt(7)
	;;#ASMSTART
	v_dot2_f32_f16 v26, v32, v36, v26
	;;#ASMEND
	s_nop 0
	;;#ASMSTART
	v_dot2_f32_f16 v26, v33, v37, v26
	;;#ASMEND
	s_nop 0
	;;#ASMSTART
	v_dot2_f32_f16 v26, v34, v38, v26
	;;#ASMEND
	s_nop 0
	;;#ASMSTART
	v_dot2_f32_f16 v26, v35, v39, v26
	;;#ASMEND
	s_waitcnt lgkmcnt(6)
	;;#ASMSTART
	v_dot2_f32_f16 v27, v32, v40, v27
	;;#ASMEND
	s_nop 0
	;;#ASMSTART
	v_dot2_f32_f16 v27, v33, v41, v27
	;;#ASMEND
	s_nop 0
	;;#ASMSTART
	v_dot2_f32_f16 v27, v34, v42, v27
	;;#ASMEND
	s_nop 0
	;;#ASMSTART
	v_dot2_f32_f16 v27, v35, v43, v27
	;;#ASMEND
	;; [unrolled: 16-line block ×8, first 2 shown]
	ds_read_b128 v[32:35], v193 offset:48
	ds_read_b128 v[36:39], v194 offset:48
	;; [unrolled: 1-line block ×9, first 2 shown]
	s_waitcnt lgkmcnt(7)
	;;#ASMSTART
	v_dot2_f32_f16 v26, v32, v36, v26
	;;#ASMEND
	s_nop 0
	;;#ASMSTART
	v_dot2_f32_f16 v26, v33, v37, v26
	;;#ASMEND
	s_nop 0
	;;#ASMSTART
	v_dot2_f32_f16 v26, v34, v38, v26
	;;#ASMEND
	s_nop 0
	;;#ASMSTART
	v_dot2_f32_f16 v26, v35, v39, v26
	;;#ASMEND
	s_waitcnt lgkmcnt(6)
	;;#ASMSTART
	v_dot2_f32_f16 v27, v32, v40, v27
	;;#ASMEND
	s_nop 0
	;;#ASMSTART
	v_dot2_f32_f16 v27, v33, v41, v27
	;;#ASMEND
	s_nop 0
	;;#ASMSTART
	v_dot2_f32_f16 v27, v34, v42, v27
	;;#ASMEND
	s_nop 0
	;;#ASMSTART
	v_dot2_f32_f16 v27, v35, v43, v27
	;;#ASMEND
	;; [unrolled: 16-line block ×8, first 2 shown]
	ds_read_b128 v[32:35], v193 offset:64
	ds_read_b128 v[36:39], v194 offset:64
	;; [unrolled: 1-line block ×9, first 2 shown]
	s_waitcnt lgkmcnt(7)
	;;#ASMSTART
	v_dot2_f32_f16 v26, v32, v36, v26
	;;#ASMEND
	s_nop 0
	;;#ASMSTART
	v_dot2_f32_f16 v26, v33, v37, v26
	;;#ASMEND
	s_nop 0
	;;#ASMSTART
	v_dot2_f32_f16 v26, v34, v38, v26
	;;#ASMEND
	s_nop 0
	;;#ASMSTART
	v_dot2_f32_f16 v26, v35, v39, v26
	;;#ASMEND
	s_waitcnt lgkmcnt(6)
	;;#ASMSTART
	v_dot2_f32_f16 v27, v32, v40, v27
	;;#ASMEND
	s_nop 0
	;;#ASMSTART
	v_dot2_f32_f16 v27, v33, v41, v27
	;;#ASMEND
	s_nop 0
	;;#ASMSTART
	v_dot2_f32_f16 v27, v34, v42, v27
	;;#ASMEND
	s_nop 0
	;;#ASMSTART
	v_dot2_f32_f16 v27, v35, v43, v27
	;;#ASMEND
	;; [unrolled: 16-line block ×8, first 2 shown]
	ds_read_b128 v[32:35], v193 offset:80
	ds_read_b128 v[36:39], v194 offset:80
	;; [unrolled: 1-line block ×9, first 2 shown]
	s_waitcnt lgkmcnt(7)
	;;#ASMSTART
	v_dot2_f32_f16 v26, v32, v36, v26
	;;#ASMEND
	s_nop 0
	;;#ASMSTART
	v_dot2_f32_f16 v26, v33, v37, v26
	;;#ASMEND
	s_nop 0
	;;#ASMSTART
	v_dot2_f32_f16 v26, v34, v38, v26
	;;#ASMEND
	s_nop 0
	;;#ASMSTART
	v_dot2_f32_f16 v26, v35, v39, v26
	;;#ASMEND
	s_waitcnt lgkmcnt(6)
	;;#ASMSTART
	v_dot2_f32_f16 v27, v32, v40, v27
	;;#ASMEND
	s_nop 0
	;;#ASMSTART
	v_dot2_f32_f16 v27, v33, v41, v27
	;;#ASMEND
	s_nop 0
	;;#ASMSTART
	v_dot2_f32_f16 v27, v34, v42, v27
	;;#ASMEND
	s_nop 0
	;;#ASMSTART
	v_dot2_f32_f16 v27, v35, v43, v27
	;;#ASMEND
	;; [unrolled: 16-line block ×8, first 2 shown]
	ds_read_b128 v[32:35], v193 offset:96
	ds_read_b128 v[36:39], v194 offset:96
	;; [unrolled: 1-line block ×9, first 2 shown]
	s_waitcnt lgkmcnt(7)
	;;#ASMSTART
	v_dot2_f32_f16 v26, v32, v36, v26
	;;#ASMEND
	s_nop 0
	;;#ASMSTART
	v_dot2_f32_f16 v26, v33, v37, v26
	;;#ASMEND
	s_nop 0
	;;#ASMSTART
	v_dot2_f32_f16 v26, v34, v38, v26
	;;#ASMEND
	s_nop 0
	;;#ASMSTART
	v_dot2_f32_f16 v26, v35, v39, v26
	;;#ASMEND
	s_waitcnt lgkmcnt(6)
	;;#ASMSTART
	v_dot2_f32_f16 v27, v32, v40, v27
	;;#ASMEND
	s_nop 0
	;;#ASMSTART
	v_dot2_f32_f16 v27, v33, v41, v27
	;;#ASMEND
	s_nop 0
	;;#ASMSTART
	v_dot2_f32_f16 v27, v34, v42, v27
	;;#ASMEND
	s_nop 0
	;;#ASMSTART
	v_dot2_f32_f16 v27, v35, v43, v27
	;;#ASMEND
	;; [unrolled: 16-line block ×8, first 2 shown]
	s_barrier
	s_and_saveexec_b64 s[18:19], s[6:7]
	s_cbranch_execnz .LBB52_60
; %bb.29:                               ;   in Loop: Header=BB52_24 Depth=1
	s_or_b64 exec, exec, s[18:19]
	s_and_saveexec_b64 s[18:19], s[8:9]
	s_cbranch_execnz .LBB52_61
.LBB52_30:                              ;   in Loop: Header=BB52_24 Depth=1
	s_or_b64 exec, exec, s[18:19]
	s_and_saveexec_b64 s[18:19], s[10:11]
	s_cbranch_execz .LBB52_32
.LBB52_31:                              ;   in Loop: Header=BB52_24 Depth=1
	v_mov_b32_e32 v141, v131
	v_lshl_add_u64 v[10:11], v[12:13], 0, v[140:141]
	global_load_dwordx4 v[10:13], v[10:11], off offset:112
	s_waitcnt vmcnt(0)
	ds_write_b128 v197, v[10:13]
.LBB52_32:                              ;   in Loop: Header=BB52_24 Depth=1
	s_or_b64 exec, exec, s[18:19]
	s_waitcnt lgkmcnt(0)
	s_barrier
	ds_read_b128 v[10:13], v193
	ds_read_b128 v[32:35], v194 offset:112
	ds_read_b128 v[36:39], v194 offset:336
	;; [unrolled: 1-line block ×8, first 2 shown]
	s_waitcnt lgkmcnt(7)
	;;#ASMSTART
	v_dot2_f32_f16 v26, v10, v32, v26
	;;#ASMEND
	s_andn2_b64 vcc, exec, s[54:55]
	;;#ASMSTART
	v_dot2_f32_f16 v26, v11, v33, v26
	;;#ASMEND
	v_mov_b32_e32 v14, 0
	;;#ASMSTART
	v_dot2_f32_f16 v26, v12, v34, v26
	;;#ASMEND
	s_nop 0
	;;#ASMSTART
	v_dot2_f32_f16 v26, v13, v35, v26
	;;#ASMEND
	s_waitcnt lgkmcnt(6)
	;;#ASMSTART
	v_dot2_f32_f16 v27, v10, v36, v27
	;;#ASMEND
	s_nop 0
	;;#ASMSTART
	v_dot2_f32_f16 v27, v11, v37, v27
	;;#ASMEND
	s_nop 0
	;;#ASMSTART
	v_dot2_f32_f16 v27, v12, v38, v27
	;;#ASMEND
	s_nop 0
	;;#ASMSTART
	v_dot2_f32_f16 v27, v13, v39, v27
	;;#ASMEND
	s_waitcnt lgkmcnt(5)
	;;#ASMSTART
	v_dot2_f32_f16 v28, v10, v40, v28
	;;#ASMEND
	s_nop 0
	;;#ASMSTART
	v_dot2_f32_f16 v28, v11, v41, v28
	;;#ASMEND
	s_nop 0
	;; [unrolled: 16-line block ×7, first 2 shown]
	;;#ASMSTART
	v_dot2_f32_f16 v16, v12, v62, v16
	;;#ASMEND
	s_nop 0
	;;#ASMSTART
	v_dot2_f32_f16 v16, v13, v63, v16
	;;#ASMEND
	ds_read_b128 v[10:13], v193 offset:16
	ds_read_b128 v[32:35], v194 offset:128
	;; [unrolled: 1-line block ×9, first 2 shown]
	s_waitcnt lgkmcnt(7)
	;;#ASMSTART
	v_dot2_f32_f16 v26, v10, v32, v26
	;;#ASMEND
	s_nop 0
	;;#ASMSTART
	v_dot2_f32_f16 v26, v11, v33, v26
	;;#ASMEND
	s_nop 0
	;;#ASMSTART
	v_dot2_f32_f16 v26, v12, v34, v26
	;;#ASMEND
	s_nop 0
	;;#ASMSTART
	v_dot2_f32_f16 v26, v13, v35, v26
	;;#ASMEND
	s_waitcnt lgkmcnt(6)
	;;#ASMSTART
	v_dot2_f32_f16 v27, v10, v36, v27
	;;#ASMEND
	s_nop 0
	;;#ASMSTART
	v_dot2_f32_f16 v27, v11, v37, v27
	;;#ASMEND
	s_nop 0
	;;#ASMSTART
	v_dot2_f32_f16 v27, v12, v38, v27
	;;#ASMEND
	s_nop 0
	;;#ASMSTART
	v_dot2_f32_f16 v27, v13, v39, v27
	;;#ASMEND
	;; [unrolled: 16-line block ×8, first 2 shown]
	ds_read_b128 v[10:13], v193 offset:32
	ds_read_b128 v[32:35], v194 offset:144
	;; [unrolled: 1-line block ×9, first 2 shown]
	s_waitcnt lgkmcnt(7)
	;;#ASMSTART
	v_dot2_f32_f16 v26, v10, v32, v26
	;;#ASMEND
	s_nop 0
	;;#ASMSTART
	v_dot2_f32_f16 v26, v11, v33, v26
	;;#ASMEND
	s_nop 0
	;;#ASMSTART
	v_dot2_f32_f16 v26, v12, v34, v26
	;;#ASMEND
	s_nop 0
	;;#ASMSTART
	v_dot2_f32_f16 v26, v13, v35, v26
	;;#ASMEND
	s_waitcnt lgkmcnt(6)
	;;#ASMSTART
	v_dot2_f32_f16 v27, v10, v36, v27
	;;#ASMEND
	s_nop 0
	;;#ASMSTART
	v_dot2_f32_f16 v27, v11, v37, v27
	;;#ASMEND
	s_nop 0
	;;#ASMSTART
	v_dot2_f32_f16 v27, v12, v38, v27
	;;#ASMEND
	s_nop 0
	;;#ASMSTART
	v_dot2_f32_f16 v27, v13, v39, v27
	;;#ASMEND
	s_waitcnt lgkmcnt(5)
	;;#ASMSTART
	v_dot2_f32_f16 v28, v10, v40, v28
	;;#ASMEND
	s_nop 0
	;;#ASMSTART
	v_dot2_f32_f16 v28, v11, v41, v28
	;;#ASMEND
	s_nop 0
	;;#ASMSTART
	v_dot2_f32_f16 v28, v12, v42, v28
	;;#ASMEND
	s_nop 0
	;;#ASMSTART
	v_dot2_f32_f16 v28, v13, v43, v28
	;;#ASMEND
	s_waitcnt lgkmcnt(4)
	;;#ASMSTART
	v_dot2_f32_f16 v29, v10, v44, v29
	;;#ASMEND
	s_nop 0
	;;#ASMSTART
	v_dot2_f32_f16 v29, v11, v45, v29
	;;#ASMEND
	s_nop 0
	;;#ASMSTART
	v_dot2_f32_f16 v29, v12, v46, v29
	;;#ASMEND
	s_nop 0
	;;#ASMSTART
	v_dot2_f32_f16 v29, v13, v47, v29
	;;#ASMEND
	s_waitcnt lgkmcnt(3)
	;;#ASMSTART
	v_dot2_f32_f16 v30, v10, v48, v30
	;;#ASMEND
	s_nop 0
	;;#ASMSTART
	v_dot2_f32_f16 v30, v11, v49, v30
	;;#ASMEND
	s_nop 0
	;;#ASMSTART
	v_dot2_f32_f16 v30, v12, v50, v30
	;;#ASMEND
	s_nop 0
	;;#ASMSTART
	v_dot2_f32_f16 v30, v13, v51, v30
	;;#ASMEND
	s_waitcnt lgkmcnt(2)
	;;#ASMSTART
	v_dot2_f32_f16 v31, v10, v52, v31
	;;#ASMEND
	s_nop 0
	;;#ASMSTART
	v_dot2_f32_f16 v31, v11, v53, v31
	;;#ASMEND
	s_nop 0
	;;#ASMSTART
	v_dot2_f32_f16 v31, v12, v54, v31
	;;#ASMEND
	s_nop 0
	;;#ASMSTART
	v_dot2_f32_f16 v31, v13, v55, v31
	;;#ASMEND
	s_waitcnt lgkmcnt(1)
	;;#ASMSTART
	v_dot2_f32_f16 v17, v10, v56, v17
	;;#ASMEND
	s_nop 0
	;;#ASMSTART
	v_dot2_f32_f16 v17, v11, v57, v17
	;;#ASMEND
	s_nop 0
	;;#ASMSTART
	v_dot2_f32_f16 v17, v12, v58, v17
	;;#ASMEND
	s_nop 0
	;;#ASMSTART
	v_dot2_f32_f16 v17, v13, v59, v17
	;;#ASMEND
	s_waitcnt lgkmcnt(0)
	;;#ASMSTART
	v_dot2_f32_f16 v16, v10, v60, v16
	;;#ASMEND
	s_nop 0
	;;#ASMSTART
	v_dot2_f32_f16 v16, v11, v61, v16
	;;#ASMEND
	s_nop 0
	;;#ASMSTART
	v_dot2_f32_f16 v16, v12, v62, v16
	;;#ASMEND
	s_nop 0
	;;#ASMSTART
	v_dot2_f32_f16 v16, v13, v63, v16
	;;#ASMEND
	ds_read_b128 v[10:13], v193 offset:48
	ds_read_b128 v[32:35], v194 offset:160
	;; [unrolled: 1-line block ×9, first 2 shown]
	s_waitcnt lgkmcnt(7)
	;;#ASMSTART
	v_dot2_f32_f16 v26, v10, v32, v26
	;;#ASMEND
	s_nop 0
	;;#ASMSTART
	v_dot2_f32_f16 v26, v11, v33, v26
	;;#ASMEND
	s_nop 0
	;;#ASMSTART
	v_dot2_f32_f16 v26, v12, v34, v26
	;;#ASMEND
	s_nop 0
	;;#ASMSTART
	v_dot2_f32_f16 v26, v13, v35, v26
	;;#ASMEND
	s_waitcnt lgkmcnt(6)
	;;#ASMSTART
	v_dot2_f32_f16 v27, v10, v36, v27
	;;#ASMEND
	s_nop 0
	;;#ASMSTART
	v_dot2_f32_f16 v27, v11, v37, v27
	;;#ASMEND
	s_nop 0
	;;#ASMSTART
	v_dot2_f32_f16 v27, v12, v38, v27
	;;#ASMEND
	s_nop 0
	;;#ASMSTART
	v_dot2_f32_f16 v27, v13, v39, v27
	;;#ASMEND
	;; [unrolled: 16-line block ×8, first 2 shown]
	ds_read_b128 v[10:13], v193 offset:64
	ds_read_b128 v[32:35], v194 offset:176
	;; [unrolled: 1-line block ×9, first 2 shown]
	s_waitcnt lgkmcnt(7)
	;;#ASMSTART
	v_dot2_f32_f16 v26, v10, v32, v26
	;;#ASMEND
	s_nop 0
	;;#ASMSTART
	v_dot2_f32_f16 v26, v11, v33, v26
	;;#ASMEND
	s_nop 0
	;;#ASMSTART
	v_dot2_f32_f16 v26, v12, v34, v26
	;;#ASMEND
	s_nop 0
	;;#ASMSTART
	v_dot2_f32_f16 v26, v13, v35, v26
	;;#ASMEND
	s_waitcnt lgkmcnt(6)
	;;#ASMSTART
	v_dot2_f32_f16 v27, v10, v36, v27
	;;#ASMEND
	s_nop 0
	;;#ASMSTART
	v_dot2_f32_f16 v27, v11, v37, v27
	;;#ASMEND
	s_nop 0
	;;#ASMSTART
	v_dot2_f32_f16 v27, v12, v38, v27
	;;#ASMEND
	s_nop 0
	;;#ASMSTART
	v_dot2_f32_f16 v27, v13, v39, v27
	;;#ASMEND
	s_waitcnt lgkmcnt(5)
	;;#ASMSTART
	v_dot2_f32_f16 v28, v10, v40, v28
	;;#ASMEND
	s_nop 0
	;;#ASMSTART
	v_dot2_f32_f16 v28, v11, v41, v28
	;;#ASMEND
	s_nop 0
	;;#ASMSTART
	v_dot2_f32_f16 v28, v12, v42, v28
	;;#ASMEND
	s_nop 0
	;;#ASMSTART
	v_dot2_f32_f16 v28, v13, v43, v28
	;;#ASMEND
	s_waitcnt lgkmcnt(4)
	;;#ASMSTART
	v_dot2_f32_f16 v29, v10, v44, v29
	;;#ASMEND
	s_nop 0
	;;#ASMSTART
	v_dot2_f32_f16 v29, v11, v45, v29
	;;#ASMEND
	s_nop 0
	;;#ASMSTART
	v_dot2_f32_f16 v29, v12, v46, v29
	;;#ASMEND
	s_nop 0
	;;#ASMSTART
	v_dot2_f32_f16 v29, v13, v47, v29
	;;#ASMEND
	s_waitcnt lgkmcnt(3)
	;;#ASMSTART
	v_dot2_f32_f16 v30, v10, v48, v30
	;;#ASMEND
	s_nop 0
	;;#ASMSTART
	v_dot2_f32_f16 v30, v11, v49, v30
	;;#ASMEND
	s_nop 0
	;;#ASMSTART
	v_dot2_f32_f16 v30, v12, v50, v30
	;;#ASMEND
	s_nop 0
	;;#ASMSTART
	v_dot2_f32_f16 v30, v13, v51, v30
	;;#ASMEND
	s_waitcnt lgkmcnt(2)
	;;#ASMSTART
	v_dot2_f32_f16 v31, v10, v52, v31
	;;#ASMEND
	s_nop 0
	;;#ASMSTART
	v_dot2_f32_f16 v31, v11, v53, v31
	;;#ASMEND
	s_nop 0
	;;#ASMSTART
	v_dot2_f32_f16 v31, v12, v54, v31
	;;#ASMEND
	s_nop 0
	;;#ASMSTART
	v_dot2_f32_f16 v31, v13, v55, v31
	;;#ASMEND
	s_waitcnt lgkmcnt(1)
	;;#ASMSTART
	v_dot2_f32_f16 v17, v10, v56, v17
	;;#ASMEND
	s_nop 0
	;;#ASMSTART
	v_dot2_f32_f16 v17, v11, v57, v17
	;;#ASMEND
	s_nop 0
	;;#ASMSTART
	v_dot2_f32_f16 v17, v12, v58, v17
	;;#ASMEND
	s_nop 0
	;;#ASMSTART
	v_dot2_f32_f16 v17, v13, v59, v17
	;;#ASMEND
	s_waitcnt lgkmcnt(0)
	;;#ASMSTART
	v_dot2_f32_f16 v16, v10, v60, v16
	;;#ASMEND
	s_nop 0
	;;#ASMSTART
	v_dot2_f32_f16 v16, v11, v61, v16
	;;#ASMEND
	s_nop 0
	;;#ASMSTART
	v_dot2_f32_f16 v16, v12, v62, v16
	;;#ASMEND
	s_nop 0
	;;#ASMSTART
	v_dot2_f32_f16 v16, v13, v63, v16
	;;#ASMEND
	ds_read_b128 v[10:13], v193 offset:80
	ds_read_b128 v[32:35], v194 offset:192
	;; [unrolled: 1-line block ×9, first 2 shown]
	s_waitcnt lgkmcnt(7)
	;;#ASMSTART
	v_dot2_f32_f16 v26, v10, v32, v26
	;;#ASMEND
	s_nop 0
	;;#ASMSTART
	v_dot2_f32_f16 v26, v11, v33, v26
	;;#ASMEND
	s_nop 0
	;;#ASMSTART
	v_dot2_f32_f16 v26, v12, v34, v26
	;;#ASMEND
	s_nop 0
	;;#ASMSTART
	v_dot2_f32_f16 v26, v13, v35, v26
	;;#ASMEND
	s_waitcnt lgkmcnt(6)
	;;#ASMSTART
	v_dot2_f32_f16 v27, v10, v36, v27
	;;#ASMEND
	s_nop 0
	;;#ASMSTART
	v_dot2_f32_f16 v27, v11, v37, v27
	;;#ASMEND
	s_nop 0
	;;#ASMSTART
	v_dot2_f32_f16 v27, v12, v38, v27
	;;#ASMEND
	s_nop 0
	;;#ASMSTART
	v_dot2_f32_f16 v27, v13, v39, v27
	;;#ASMEND
	;; [unrolled: 16-line block ×8, first 2 shown]
	ds_read_b128 v[10:13], v193 offset:96
	ds_read_b128 v[32:35], v194 offset:208
	;; [unrolled: 1-line block ×9, first 2 shown]
	s_waitcnt lgkmcnt(7)
	;;#ASMSTART
	v_dot2_f32_f16 v26, v10, v32, v26
	;;#ASMEND
	s_nop 0
	;;#ASMSTART
	v_dot2_f32_f16 v26, v11, v33, v26
	;;#ASMEND
	s_nop 0
	;;#ASMSTART
	v_dot2_f32_f16 v26, v12, v34, v26
	;;#ASMEND
	s_nop 0
	;;#ASMSTART
	v_dot2_f32_f16 v26, v13, v35, v26
	;;#ASMEND
	s_waitcnt lgkmcnt(6)
	;;#ASMSTART
	v_dot2_f32_f16 v27, v10, v36, v27
	;;#ASMEND
	s_nop 0
	;;#ASMSTART
	v_dot2_f32_f16 v27, v11, v37, v27
	;;#ASMEND
	s_nop 0
	;;#ASMSTART
	v_dot2_f32_f16 v27, v12, v38, v27
	;;#ASMEND
	s_nop 0
	;;#ASMSTART
	v_dot2_f32_f16 v27, v13, v39, v27
	;;#ASMEND
	;; [unrolled: 16-line block ×7, first 2 shown]
	s_waitcnt lgkmcnt(0)
	;;#ASMSTART
	v_dot2_f32_f16 v16, v10, v60, v16
	;;#ASMEND
	v_cndmask_b32_e64 v10, 0, 1, s[54:55]
	;;#ASMSTART
	v_dot2_f32_f16 v16, v11, v61, v16
	;;#ASMEND
	v_add_u32_e32 v11, s69, v167
	;;#ASMSTART
	v_dot2_f32_f16 v16, v12, v62, v16
	;;#ASMEND
	v_cmp_ne_u32_e64 s[18:19], 1, v10
	v_mov_b32_e32 v12, 0
	;;#ASMSTART
	v_dot2_f32_f16 v16, v13, v63, v16
	;;#ASMEND
	s_cbranch_vccnz .LBB52_34
; %bb.33:                               ;   in Loop: Header=BB52_24 Depth=1
	v_add_u32_e32 v12, v11, v198
	v_ashrrev_i32_e32 v13, 31, v12
	v_lshl_add_u64 v[12:13], v[12:13], 1, s[66:67]
	flat_load_ushort v10, v[12:13]
	s_waitcnt vmcnt(0) lgkmcnt(0)
	v_cvt_f32_f16_e32 v10, v10
	v_mul_f32_e32 v12, v117, v10
.LBB52_34:                              ;   in Loop: Header=BB52_24 Depth=1
	v_and_b32_e32 v10, 0x60, v210
	v_add_u32_e32 v15, 32, v10
	v_xor_b32_e32 v10, 16, v210
	v_cmp_lt_i32_e32 vcc, v10, v15
	v_add_f32_e32 v26, v26, v12
	v_add_f32_e32 v12, 0x40051340, v26
	v_cndmask_b32_e32 v10, v210, v10, vcc
	v_max_f32_e32 v13, v18, v18
	v_lshlrev_b32_e32 v10, 2, v10
	v_max_f32_e32 v13, v13, v12
	ds_bpermute_b32 v32, v10, v13
	v_xor_b32_e32 v12, 8, v210
	v_cmp_lt_i32_e32 vcc, v12, v15
	v_xor_b32_e32 v34, 2, v210
	s_waitcnt lgkmcnt(0)
	v_max_f32_e32 v32, v32, v32
	v_cndmask_b32_e32 v12, v210, v12, vcc
	v_lshlrev_b32_e32 v12, 2, v12
	v_max_f32_e32 v32, v13, v32
	ds_bpermute_b32 v33, v12, v32
	v_xor_b32_e32 v13, 4, v210
	v_cmp_lt_i32_e32 vcc, v13, v15
	s_waitcnt lgkmcnt(0)
	v_max_f32_e32 v33, v33, v33
	v_cndmask_b32_e32 v13, v210, v13, vcc
	v_lshlrev_b32_e32 v13, 2, v13
	v_max_f32_e32 v32, v32, v33
	ds_bpermute_b32 v33, v13, v32
	v_cmp_lt_i32_e32 vcc, v34, v15
	s_waitcnt lgkmcnt(0)
	v_max_f32_e32 v33, v33, v33
	v_cndmask_b32_e32 v34, v210, v34, vcc
	v_lshlrev_b32_e32 v35, 2, v34
	v_max_f32_e32 v32, v32, v33
	ds_bpermute_b32 v33, v35, v32
	v_xor_b32_e32 v34, 1, v210
	v_cmp_lt_i32_e32 vcc, v34, v15
	s_nop 1
	v_cndmask_b32_e32 v15, v210, v34, vcc
	v_lshlrev_b32_e32 v36, 2, v15
	s_waitcnt lgkmcnt(0)
	v_max_f32_e32 v15, v33, v33
	v_max_f32_e32 v34, v32, v15
	ds_bpermute_b32 v37, v36, v34
	s_and_b64 vcc, exec, s[18:19]
	s_cbranch_vccnz .LBB52_36
; %bb.35:                               ;   in Loop: Header=BB52_24 Depth=1
	v_add_u32_e32 v14, v11, v199
	v_ashrrev_i32_e32 v15, 31, v14
	v_lshl_add_u64 v[14:15], v[14:15], 1, s[66:67]
	flat_load_ushort v14, v[14:15]
	s_waitcnt vmcnt(0) lgkmcnt(0)
	v_cvt_f32_f16_e32 v14, v14
	v_mul_f32_e32 v14, v117, v14
.LBB52_36:                              ;   in Loop: Header=BB52_24 Depth=1
	v_add_f32_e32 v27, v27, v14
	v_add_f32_e32 v14, 0x40051340, v27
	v_max_f32_e32 v15, v19, v19
	v_max_f32_e32 v14, v15, v14
	ds_bpermute_b32 v15, v10, v14
	s_and_b64 vcc, exec, s[18:19]
	s_waitcnt lgkmcnt(0)
	v_max_f32_e32 v15, v15, v15
	v_max_f32_e32 v14, v14, v15
	ds_bpermute_b32 v15, v12, v14
	s_waitcnt lgkmcnt(0)
	v_max_f32_e32 v15, v15, v15
	v_max_f32_e32 v14, v14, v15
	ds_bpermute_b32 v15, v13, v14
	;; [unrolled: 4-line block ×4, first 2 shown]
	v_mov_b32_e32 v14, 0
	v_mov_b32_e32 v15, 0
	s_cbranch_vccnz .LBB52_38
; %bb.37:                               ;   in Loop: Header=BB52_24 Depth=1
	v_add_u32_e32 v32, v11, v200
	v_ashrrev_i32_e32 v33, 31, v32
	v_lshl_add_u64 v[32:33], v[32:33], 1, s[66:67]
	flat_load_ushort v15, v[32:33]
	s_waitcnt vmcnt(0) lgkmcnt(0)
	v_cvt_f32_f16_e32 v15, v15
	v_mul_f32_e32 v15, v117, v15
.LBB52_38:                              ;   in Loop: Header=BB52_24 Depth=1
	v_add_f32_e32 v28, v28, v15
	v_add_f32_e32 v15, 0x40051340, v28
	v_max_f32_e32 v32, v24, v24
	v_max_f32_e32 v15, v32, v15
	ds_bpermute_b32 v32, v10, v15
	s_and_b64 vcc, exec, s[18:19]
	s_waitcnt lgkmcnt(0)
	v_max_f32_e32 v32, v32, v32
	v_max_f32_e32 v15, v15, v32
	ds_bpermute_b32 v32, v12, v15
	s_waitcnt lgkmcnt(0)
	v_max_f32_e32 v32, v32, v32
	v_max_f32_e32 v15, v15, v32
	ds_bpermute_b32 v32, v13, v15
	;; [unrolled: 4-line block ×4, first 2 shown]
	s_cbranch_vccnz .LBB52_40
; %bb.39:                               ;   in Loop: Header=BB52_24 Depth=1
	v_add_u32_e32 v14, v11, v201
	v_ashrrev_i32_e32 v15, 31, v14
	v_lshl_add_u64 v[14:15], v[14:15], 1, s[66:67]
	flat_load_ushort v14, v[14:15]
	s_waitcnt vmcnt(0) lgkmcnt(0)
	v_cvt_f32_f16_e32 v14, v14
	v_mul_f32_e32 v14, v117, v14
.LBB52_40:                              ;   in Loop: Header=BB52_24 Depth=1
	v_add_f32_e32 v29, v29, v14
	v_add_f32_e32 v14, 0x40051340, v29
	v_max_f32_e32 v15, v25, v25
	v_max_f32_e32 v14, v15, v14
	ds_bpermute_b32 v15, v10, v14
	s_and_b64 vcc, exec, s[18:19]
	s_waitcnt lgkmcnt(0)
	v_max_f32_e32 v15, v15, v15
	v_max_f32_e32 v14, v14, v15
	ds_bpermute_b32 v15, v12, v14
	s_waitcnt lgkmcnt(0)
	v_max_f32_e32 v15, v15, v15
	v_max_f32_e32 v14, v14, v15
	ds_bpermute_b32 v15, v13, v14
	;; [unrolled: 4-line block ×4, first 2 shown]
	v_mov_b32_e32 v15, 0
	v_mov_b32_e32 v14, 0
	s_cbranch_vccnz .LBB52_42
; %bb.41:                               ;   in Loop: Header=BB52_24 Depth=1
	v_add_u32_e32 v32, v11, v202
	v_ashrrev_i32_e32 v33, 31, v32
	v_lshl_add_u64 v[32:33], v[32:33], 1, s[66:67]
	flat_load_ushort v14, v[32:33]
	s_waitcnt vmcnt(0) lgkmcnt(0)
	v_cvt_f32_f16_e32 v14, v14
	v_mul_f32_e32 v14, v117, v14
.LBB52_42:                              ;   in Loop: Header=BB52_24 Depth=1
	v_add_f32_e32 v30, v30, v14
	v_add_f32_e32 v14, 0x40051340, v30
	v_max_f32_e32 v32, v22, v22
	v_max_f32_e32 v14, v32, v14
	ds_bpermute_b32 v32, v10, v14
	s_and_b64 vcc, exec, s[18:19]
	s_waitcnt lgkmcnt(0)
	v_max_f32_e32 v32, v32, v32
	v_max_f32_e32 v14, v14, v32
	ds_bpermute_b32 v32, v12, v14
	s_waitcnt lgkmcnt(0)
	v_max_f32_e32 v32, v32, v32
	v_max_f32_e32 v14, v14, v32
	ds_bpermute_b32 v32, v13, v14
	;; [unrolled: 4-line block ×4, first 2 shown]
	s_cbranch_vccnz .LBB52_44
; %bb.43:                               ;   in Loop: Header=BB52_24 Depth=1
	v_add_u32_e32 v32, v11, v203
	v_ashrrev_i32_e32 v33, 31, v32
	v_lshl_add_u64 v[32:33], v[32:33], 1, s[66:67]
	flat_load_ushort v15, v[32:33]
	s_waitcnt vmcnt(0) lgkmcnt(0)
	v_cvt_f32_f16_e32 v15, v15
	v_mul_f32_e32 v15, v117, v15
.LBB52_44:                              ;   in Loop: Header=BB52_24 Depth=1
	v_add_f32_e32 v31, v31, v15
	v_add_f32_e32 v15, 0x40051340, v31
	v_max_f32_e32 v32, v23, v23
	v_max_f32_e32 v15, v32, v15
	ds_bpermute_b32 v32, v10, v15
	s_and_b64 vcc, exec, s[18:19]
	v_mov_b32_e32 v33, 0
	s_waitcnt lgkmcnt(0)
	v_max_f32_e32 v32, v32, v32
	v_max_f32_e32 v15, v15, v32
	ds_bpermute_b32 v32, v12, v15
	s_waitcnt lgkmcnt(0)
	v_max_f32_e32 v32, v32, v32
	v_max_f32_e32 v15, v15, v32
	ds_bpermute_b32 v32, v13, v15
	s_waitcnt lgkmcnt(0)
	v_max_f32_e32 v32, v32, v32
	v_max_f32_e32 v15, v15, v32
	ds_bpermute_b32 v32, v35, v15
	s_waitcnt lgkmcnt(0)
	v_max_f32_e32 v32, v32, v32
	v_max_f32_e32 v15, v15, v32
	ds_bpermute_b32 v45, v36, v15
	v_mov_b32_e32 v32, 0
	s_cbranch_vccnz .LBB52_46
; %bb.45:                               ;   in Loop: Header=BB52_24 Depth=1
	v_add_u32_e32 v46, v11, v204
	v_ashrrev_i32_e32 v47, 31, v46
	v_lshl_add_u64 v[46:47], v[46:47], 1, s[66:67]
	flat_load_ushort v32, v[46:47]
	s_waitcnt vmcnt(0) lgkmcnt(0)
	v_cvt_f32_f16_e32 v32, v32
	v_mul_f32_e32 v32, v117, v32
.LBB52_46:                              ;   in Loop: Header=BB52_24 Depth=1
	v_add_f32_e32 v32, v17, v32
	v_add_f32_e32 v17, 0x40051340, v32
	v_max_f32_e32 v46, v20, v20
	v_max_f32_e32 v17, v46, v17
	ds_bpermute_b32 v46, v10, v17
	s_and_b64 vcc, exec, s[18:19]
	s_waitcnt lgkmcnt(0)
	v_max_f32_e32 v46, v46, v46
	v_max_f32_e32 v17, v17, v46
	ds_bpermute_b32 v46, v12, v17
	s_waitcnt lgkmcnt(0)
	v_max_f32_e32 v46, v46, v46
	v_max_f32_e32 v17, v17, v46
	ds_bpermute_b32 v46, v13, v17
	;; [unrolled: 4-line block ×4, first 2 shown]
	s_cbranch_vccnz .LBB52_48
; %bb.47:                               ;   in Loop: Header=BB52_24 Depth=1
	v_add_u32_e32 v48, v11, v205
	v_ashrrev_i32_e32 v49, 31, v48
	v_lshl_add_u64 v[48:49], v[48:49], 1, s[66:67]
	flat_load_ushort v11, v[48:49]
	s_waitcnt vmcnt(0) lgkmcnt(0)
	v_cvt_f32_f16_e32 v11, v11
	v_mul_f32_e32 v33, v117, v11
.LBB52_48:                              ;   in Loop: Header=BB52_24 Depth=1
	v_add_f32_e32 v33, v16, v33
	s_waitcnt lgkmcnt(0)
	v_max_f32_e32 v11, v46, v46
	v_add_f32_e32 v16, 0x40051340, v33
	v_max_f32_e32 v46, v21, v21
	v_max_f32_e32 v46, v46, v16
	ds_bpermute_b32 v10, v10, v46
	v_max_f32_e32 v16, v17, v17
	v_max_f32_e32 v16, v16, v11
	v_max_f32_e32 v11, v45, v45
	v_max_f32_e32 v15, v15, v15
	s_waitcnt lgkmcnt(0)
	v_max_f32_e32 v10, v10, v10
	v_max_f32_e32 v10, v46, v10
	ds_bpermute_b32 v12, v12, v10
	v_max_f32_e32 v15, v15, v11
	v_max_f32_e32 v11, v44, v44
	v_max_f32_e32 v14, v14, v14
	v_max_f32_e32 v14, v14, v11
	s_waitcnt lgkmcnt(0)
	;; [unrolled: 8-line block ×4, first 2 shown]
	v_max_f32_e32 v11, v11, v11
	v_max_f32_e32 v38, v10, v11
	ds_bpermute_b32 v36, v36, v38
	v_max_f32_e32 v11, v35, v17
	v_max_f32_e32 v10, v37, v37
	;; [unrolled: 1-line block ×4, first 2 shown]
	v_pk_add_f32 v[26:27], v[26:27], v[10:11] neg_lo:[0,1] neg_hi:[0,1]
	s_waitcnt lgkmcnt(0)
	v_max_f32_e32 v17, v36, v36
	v_mul_f32_e32 v34, 0x3fb8aa3b, v27
	v_fma_f32 v35, v27, s78, -v34
	v_rndne_f32_e32 v36, v34
	v_fmac_f32_e32 v35, 0x32a5705f, v27
	v_sub_f32_e32 v34, v34, v36
	v_add_f32_e32 v34, v34, v35
	v_exp_f32_e32 v34, v34
	v_cvt_i32_f32_e32 v35, v36
	v_cmp_ngt_f32_e32 vcc, s79, v27
	v_pk_add_f32 v[28:29], v[28:29], v[12:13] neg_lo:[0,1] neg_hi:[0,1]
	v_max_f32_e32 v17, v38, v17
	v_ldexp_f32 v34, v34, v35
	v_mul_f32_e32 v35, 0x3fb8aa3b, v26
	v_fma_f32 v36, v26, s78, -v35
	v_rndne_f32_e32 v37, v35
	v_fmac_f32_e32 v36, 0x32a5705f, v26
	v_sub_f32_e32 v35, v35, v37
	v_add_f32_e32 v35, v35, v36
	v_exp_f32_e32 v35, v35
	v_cvt_i32_f32_e32 v36, v37
	v_cndmask_b32_e32 v34, 0, v34, vcc
	v_cmp_nlt_f32_e32 vcc, s80, v27
	s_mul_hi_i32 s19, s69, s4
	v_ldexp_f32 v27, v35, v36
	v_cndmask_b32_e32 v143, v212, v34, vcc
	v_mul_f32_e32 v34, 0x3fb8aa3b, v29
	v_fma_f32 v35, v29, s78, -v34
	v_rndne_f32_e32 v36, v34
	v_fmac_f32_e32 v35, 0x32a5705f, v29
	v_sub_f32_e32 v34, v34, v36
	v_add_f32_e32 v34, v34, v35
	v_exp_f32_e32 v34, v34
	v_cvt_i32_f32_e32 v35, v36
	v_cmp_ngt_f32_e32 vcc, s79, v26
	s_mul_i32 s18, s69, s4
	s_lshl_b64 s[18:19], s[18:19], 2
	v_cndmask_b32_e32 v27, 0, v27, vcc
	v_cmp_nlt_f32_e32 vcc, s80, v26
	v_ldexp_f32 v26, v34, v35
	s_nop 0
	v_cndmask_b32_e32 v142, v212, v27, vcc
	v_mul_f32_e32 v27, 0x3fb8aa3b, v28
	v_fma_f32 v34, v28, s78, -v27
	v_rndne_f32_e32 v35, v27
	v_fmac_f32_e32 v34, 0x32a5705f, v28
	v_sub_f32_e32 v27, v27, v35
	v_add_f32_e32 v27, v27, v34
	v_exp_f32_e32 v27, v27
	v_cvt_i32_f32_e32 v34, v35
	v_cmp_ngt_f32_e32 vcc, s79, v29
	v_cvt_f16_f32_e32 v36, v142
	s_barrier
	v_cndmask_b32_e32 v26, 0, v26, vcc
	v_cmp_nlt_f32_e32 vcc, s80, v29
	s_nop 1
	v_cndmask_b32_e32 v145, v212, v26, vcc
	v_ldexp_f32 v26, v27, v34
	v_cmp_ngt_f32_e32 vcc, s79, v28
	s_nop 1
	v_cndmask_b32_e32 v29, 0, v26, vcc
	v_pk_add_f32 v[26:27], v[30:31], v[14:15] neg_lo:[0,1] neg_hi:[0,1]
	v_cmp_nlt_f32_e32 vcc, s80, v28
	v_mul_f32_e32 v30, 0x3fb8aa3b, v27
	v_fma_f32 v31, v27, s78, -v30
	v_rndne_f32_e32 v34, v30
	v_fmac_f32_e32 v31, 0x32a5705f, v27
	v_sub_f32_e32 v30, v30, v34
	v_add_f32_e32 v30, v30, v31
	v_exp_f32_e32 v30, v30
	v_cvt_i32_f32_e32 v31, v34
	v_cndmask_b32_e32 v144, v212, v29, vcc
	v_mul_f32_e32 v29, 0x3fb8aa3b, v26
	v_cmp_ngt_f32_e32 vcc, s79, v27
	v_ldexp_f32 v28, v30, v31
	v_fma_f32 v30, v26, s78, -v29
	v_rndne_f32_e32 v31, v29
	v_fmac_f32_e32 v30, 0x32a5705f, v26
	v_sub_f32_e32 v29, v29, v31
	v_add_f32_e32 v29, v29, v30
	v_exp_f32_e32 v29, v29
	v_cvt_i32_f32_e32 v30, v31
	v_cndmask_b32_e32 v28, 0, v28, vcc
	v_cmp_nlt_f32_e32 vcc, s80, v27
	v_cvt_f16_f32_e32 v34, v144
	v_ldexp_f32 v27, v29, v30
	v_cndmask_b32_e32 v147, v212, v28, vcc
	v_pk_add_f32 v[28:29], v[32:33], v[16:17] neg_lo:[0,1] neg_hi:[0,1]
	v_cmp_ngt_f32_e32 vcc, s79, v26
	v_mul_f32_e32 v30, 0x3fb8aa3b, v29
	v_fma_f32 v31, v29, s78, -v30
	v_rndne_f32_e32 v32, v30
	v_fmac_f32_e32 v31, 0x32a5705f, v29
	v_sub_f32_e32 v30, v30, v32
	v_add_f32_e32 v30, v30, v31
	v_exp_f32_e32 v30, v30
	v_cvt_i32_f32_e32 v31, v32
	v_cndmask_b32_e32 v27, 0, v27, vcc
	v_cmp_nlt_f32_e32 vcc, s80, v26
	s_nop 1
	v_cndmask_b32_e32 v146, v212, v27, vcc
	v_ldexp_f32 v27, v30, v31
	v_mul_f32_e32 v30, 0x3fb8aa3b, v28
	v_fma_f32 v31, v28, s78, -v30
	v_rndne_f32_e32 v32, v30
	v_fmac_f32_e32 v31, 0x32a5705f, v28
	v_sub_f32_e32 v30, v30, v32
	v_add_f32_e32 v30, v30, v31
	v_exp_f32_e32 v30, v30
	v_cvt_i32_f32_e32 v31, v32
	v_cmp_ngt_f32_e32 vcc, s79, v29
	v_cvt_f16_f32_e32 v26, v146
	v_cvt_f16_f32_e32 v32, v143
	v_cndmask_b32_e32 v27, 0, v27, vcc
	v_cmp_nlt_f32_e32 vcc, s80, v29
	s_nop 1
	v_cndmask_b32_e32 v149, v212, v27, vcc
	v_ldexp_f32 v27, v30, v31
	v_cmp_ngt_f32_e32 vcc, s79, v28
	v_cvt_f16_f32_e32 v30, v147
	v_cvt_f16_f32_e32 v31, v145
	v_cndmask_b32_e32 v27, 0, v27, vcc
	v_cmp_nlt_f32_e32 vcc, s80, v28
	v_cvt_f16_f32_e32 v28, v149
	s_nop 0
	v_cndmask_b32_e32 v148, v212, v27, vcc
	v_cvt_f16_f32_e32 v27, v148
	v_pack_b32_f16 v29, v27, v28
	v_pack_b32_f16 v28, v26, v30
	v_pack_b32_f16 v27, v34, v31
	v_pack_b32_f16 v26, v36, v32
	ds_write_b128 v211, v[26:29]
	v_lshl_add_u64 v[26:27], v[124:125], 0, s[18:19]
	s_and_saveexec_b64 s[18:19], s[12:13]
	s_cbranch_execnz .LBB52_62
; %bb.49:                               ;   in Loop: Header=BB52_24 Depth=1
	s_or_b64 exec, exec, s[18:19]
	s_and_saveexec_b64 s[18:19], s[14:15]
	s_cbranch_execnz .LBB52_63
.LBB52_50:                              ;   in Loop: Header=BB52_24 Depth=1
	s_or_b64 exec, exec, s[18:19]
	v_lshlrev_b32_e32 v158, 2, v114
	s_and_saveexec_b64 s[18:19], s[16:17]
	s_cbranch_execz .LBB52_52
.LBB52_51:                              ;   in Loop: Header=BB52_24 Depth=1
	v_lshl_add_u64 v[26:27], v[138:139], 2, v[26:27]
	v_mov_b32_e32 v159, v131
	v_lshl_add_u64 v[26:27], v[26:27], 0, v[158:159]
	global_load_dwordx4 v[26:29], v[26:27], off
	s_waitcnt vmcnt(0)
	ds_write_b128 v209, v[26:29]
.LBB52_52:                              ;   in Loop: Header=BB52_24 Depth=1
	s_or_b64 exec, exec, s[18:19]
	v_add_u32_e32 v214, 0x3800, v176
	s_waitcnt lgkmcnt(0)
	s_barrier
	ds_read2_b64 v[102:105], v214 offset1:28
	ds_read_b128 v[110:113], v206
	ds_read_b128 v[106:109], v206 offset:16
	ds_read_b128 v[98:101], v206 offset:32
	ds_read_b128 v[90:93], v206 offset:48
	ds_read2_b64 v[94:97], v214 offset0:56 offset1:84
	ds_read2_b64 v[78:81], v214 offset0:112 offset1:140
	ds_read_b128 v[86:89], v206 offset:64
	ds_read_b128 v[82:85], v206 offset:80
	ds_read2_b64 v[66:69], v214 offset0:168 offset1:196
	ds_read_b128 v[74:77], v206 offset:96
	ds_read_b128 v[70:73], v206 offset:112
	ds_read2_b64 v[54:57], v214 offset0:224 offset1:252
	ds_read_b128 v[62:65], v206 offset:128
	ds_read_b128 v[58:61], v206 offset:144
	v_add_u32_e32 v213, 0x4000, v176
	v_pk_add_f32 v[150:151], v[18:19], v[10:11] neg_lo:[0,1] neg_hi:[0,1]
	v_pk_add_f32 v[152:153], v[24:25], v[12:13] neg_lo:[0,1] neg_hi:[0,1]
	;; [unrolled: 1-line block ×4, first 2 shown]
	ds_read2_b64 v[42:45], v213 offset0:24 offset1:52
	ds_read_b128 v[50:53], v206 offset:160
	ds_read_b128 v[46:49], v206 offset:176
	ds_read2_b64 v[30:33], v213 offset0:80 offset1:108
	ds_read_b128 v[38:41], v206 offset:192
	ds_read_b128 v[34:37], v206 offset:208
	;; [unrolled: 3-line block ×3, first 2 shown]
	s_or_b32 s72, s69, 16
	s_mul_hi_i32 s73, s72, s4
	s_mul_i32 s72, s72, s4
	s_lshl_b64 s[72:73], s[72:73], 2
	v_cmp_ngt_f32_e64 s[46:47], s79, v151
	v_cmp_nlt_f32_e64 s[48:49], s80, v151
	v_cmp_ngt_f32_e64 s[42:43], s79, v150
	v_cmp_nlt_f32_e64 s[44:45], s80, v150
	;; [unrolled: 2-line block ×7, first 2 shown]
	v_cmp_ngt_f32_e32 vcc, s79, v156
	v_cmp_nlt_f32_e64 s[18:19], s80, v156
	v_lshl_add_u64 v[160:161], v[124:125], 0, s[72:73]
	s_waitcnt lgkmcnt(0)
	s_barrier
	s_and_saveexec_b64 s[72:73], s[12:13]
	s_cbranch_execnz .LBB52_64
; %bb.53:                               ;   in Loop: Header=BB52_24 Depth=1
	s_or_b64 exec, exec, s[72:73]
	s_and_saveexec_b64 s[72:73], s[14:15]
	s_cbranch_execnz .LBB52_65
.LBB52_54:                              ;   in Loop: Header=BB52_24 Depth=1
	s_or_b64 exec, exec, s[72:73]
	s_and_saveexec_b64 s[72:73], s[16:17]
	s_cbranch_execz .LBB52_56
.LBB52_55:                              ;   in Loop: Header=BB52_24 Depth=1
	v_lshl_add_u64 v[160:161], v[138:139], 2, v[160:161]
	v_mov_b32_e32 v159, v131
	v_lshl_add_u64 v[158:159], v[160:161], 0, v[158:159]
	global_load_dwordx4 v[158:161], v[158:159], off
	s_waitcnt vmcnt(0)
	ds_write_b128 v209, v[158:161]
.LBB52_56:                              ;   in Loop: Header=BB52_24 Depth=1
	s_or_b64 exec, exec, s[72:73]
	v_mul_f32_e32 v141, 0x3fb8aa3b, v151
	v_fma_f32 v158, v151, s78, -v141
	v_fmac_f32_e32 v158, 0x32a5705f, v151
	v_rndne_f32_e32 v151, v141
	v_sub_f32_e32 v141, v141, v151
	v_add_f32_e32 v141, v141, v158
	v_mul_f32_e32 v158, 0x3fb8aa3b, v150
	v_fma_f32 v159, v150, s78, -v158
	v_fmac_f32_e32 v159, 0x32a5705f, v150
	v_rndne_f32_e32 v150, v158
	v_exp_f32_e32 v141, v141
	v_cvt_i32_f32_e32 v151, v151
	v_sub_f32_e32 v158, v158, v150
	v_add_f32_e32 v158, v158, v159
	v_exp_f32_e32 v158, v158
	v_cvt_i32_f32_e32 v150, v150
	v_ldexp_f32 v141, v141, v151
	v_cndmask_b32_e64 v141, 0, v141, s[46:47]
	v_cndmask_b32_e64 v151, v212, v141, s[48:49]
	v_ldexp_f32 v141, v158, v150
	v_cndmask_b32_e64 v141, 0, v141, s[42:43]
	v_cndmask_b32_e64 v150, v212, v141, s[44:45]
	v_mul_f32_e32 v141, 0x3fb8aa3b, v153
	v_fma_f32 v158, v153, s78, -v141
	v_fmac_f32_e32 v158, 0x32a5705f, v153
	v_rndne_f32_e32 v153, v141
	v_sub_f32_e32 v141, v141, v153
	v_add_f32_e32 v141, v141, v158
	v_mul_f32_e32 v158, 0x3fb8aa3b, v152
	v_fma_f32 v159, v152, s78, -v158
	v_fmac_f32_e32 v159, 0x32a5705f, v152
	v_rndne_f32_e32 v152, v158
	v_exp_f32_e32 v141, v141
	v_cvt_i32_f32_e32 v153, v153
	v_sub_f32_e32 v158, v158, v152
	v_add_f32_e32 v158, v158, v159
	v_exp_f32_e32 v158, v158
	v_cvt_i32_f32_e32 v152, v152
	v_ldexp_f32 v141, v141, v153
	v_cndmask_b32_e64 v141, 0, v141, s[38:39]
	v_cndmask_b32_e64 v153, v212, v141, s[40:41]
	v_ldexp_f32 v141, v158, v152
	v_cndmask_b32_e64 v141, 0, v141, s[34:35]
	v_cndmask_b32_e64 v152, v212, v141, s[36:37]
	;; [unrolled: 22-line block ×3, first 2 shown]
	v_mul_f32_e32 v141, 0x3fb8aa3b, v157
	v_fma_f32 v158, v157, s78, -v141
	v_fmac_f32_e32 v158, 0x32a5705f, v157
	v_rndne_f32_e32 v157, v141
	v_sub_f32_e32 v141, v141, v157
	v_add_f32_e32 v141, v141, v158
	v_mul_f32_e32 v158, 0x3fb8aa3b, v156
	v_fma_f32 v159, v156, s78, -v158
	v_fmac_f32_e32 v159, 0x32a5705f, v156
	v_rndne_f32_e32 v156, v158
	v_exp_f32_e32 v141, v141
	v_cvt_i32_f32_e32 v157, v157
	v_sub_f32_e32 v158, v158, v156
	v_add_f32_e32 v158, v158, v159
	v_exp_f32_e32 v158, v158
	v_cvt_i32_f32_e32 v156, v156
	v_ldexp_f32 v141, v141, v157
	v_cndmask_b32_e64 v141, 0, v141, s[20:21]
	v_cndmask_b32_e64 v157, v212, v141, s[22:23]
	v_ldexp_f32 v141, v158, v156
	v_cndmask_b32_e32 v141, 0, v141, vcc
	v_cndmask_b32_e64 v156, v212, v141, s[18:19]
	v_cvt_f16_f32_e32 v141, v151
	v_cvt_f16_f32_e32 v160, v152
	;; [unrolled: 1-line block ×3, first 2 shown]
	s_waitcnt lgkmcnt(0)
	v_pk_mul_f16 v161, v141, v185 op_sel_hi:[0,1]
	v_cvt_f16_f32_e32 v185, v153
	v_pk_mul_f16 v183, v160, v183 op_sel_hi:[0,1]
	v_pk_mul_f16 v160, v160, v184 op_sel_hi:[0,1]
	v_cvt_f16_f32_e32 v184, v154
	v_pk_mul_f16 v141, v141, v186 op_sel_hi:[0,1]
	v_pk_mul_f16 v181, v185, v181 op_sel_hi:[0,1]
	;; [unrolled: 1-line block ×3, first 2 shown]
	v_cvt_f16_f32_e32 v185, v155
	v_pk_mul_f16 v179, v184, v179 op_sel_hi:[0,1]
	v_pk_mul_f16 v180, v184, v180 op_sel_hi:[0,1]
	v_cvt_f16_f32_e32 v184, v156
	v_cvt_f16_f32_e32 v186, v157
	v_pk_mul_f16 v159, v158, v187 op_sel_hi:[0,1]
	v_pk_mul_f16 v158, v158, v188 op_sel_hi:[0,1]
	;; [unrolled: 1-line block ×8, first 2 shown]
	v_pk_fma_f16 v159, v102, v110, v159 op_sel_hi:[1,0,1]
	v_pk_fma_f16 v161, v102, v110, v161 op_sel:[0,1,0]
	v_pk_fma_f16 v183, v102, v111, v183 op_sel_hi:[1,0,1]
	v_pk_fma_f16 v181, v102, v111, v181 op_sel:[0,1,0]
	;; [unrolled: 2-line block ×128, first 2 shown]
	s_barrier
	ds_read2_b64 v[18:21], v214 offset1:28
	ds_read_b128 v[22:25], v206 offset:256
	ds_read_b128 v[26:29], v206 offset:272
	;; [unrolled: 1-line block ×4, first 2 shown]
	v_pk_fma_f32 v[2:3], v[2:3], v[150:151], v[142:143]
	v_pk_fma_f32 v[4:5], v[4:5], v[152:153], v[144:145]
	;; [unrolled: 1-line block ×3, first 2 shown]
	s_waitcnt lgkmcnt(3)
	v_pk_fma_f16 v38, v18, v22, v38 op_sel_hi:[1,0,1]
	v_pk_fma_f16 v39, v18, v22, v39 op_sel:[0,1,0]
	v_pk_fma_f16 v40, v18, v23, v40 op_sel_hi:[1,0,1]
	v_pk_fma_f16 v41, v18, v23, v41 op_sel:[0,1,0]
	;; [unrolled: 2-line block ×8, first 2 shown]
	s_waitcnt lgkmcnt(2)
	v_pk_fma_f16 v38, v20, v26, v38 op_sel_hi:[1,0,1]
	v_pk_fma_f16 v39, v20, v26, v39 op_sel:[0,1,0]
	v_pk_fma_f16 v40, v20, v27, v40 op_sel_hi:[1,0,1]
	v_pk_fma_f16 v41, v20, v27, v41 op_sel:[0,1,0]
	v_pk_fma_f16 v42, v20, v28, v42 op_sel_hi:[1,0,1]
	v_pk_fma_f16 v43, v20, v28, v43 op_sel:[0,1,0]
	v_pk_fma_f16 v44, v20, v29, v44 op_sel_hi:[1,0,1]
	v_pk_fma_f16 v18, v20, v29, v18 op_sel:[0,1,0]
	v_pk_fma_f16 v20, v21, v26, v45 op_sel_hi:[1,0,1]
	v_pk_fma_f16 v26, v21, v26, v22 op_sel:[0,1,0]
	v_pk_fma_f16 v45, v21, v27, v46 op_sel_hi:[1,0,1]
	v_pk_fma_f16 v27, v21, v27, v23 op_sel:[0,1,0]
	ds_read2_b64 v[22:25], v214 offset0:56 offset1:84
	v_pk_fma_f16 v46, v21, v28, v47 op_sel_hi:[1,0,1]
	v_pk_fma_f16 v28, v21, v28, v48 op_sel:[0,1,0]
	v_pk_fma_f16 v47, v21, v29, v49 op_sel_hi:[1,0,1]
	v_pk_fma_f16 v19, v21, v29, v19 op_sel:[0,1,0]
	s_waitcnt lgkmcnt(0)
	v_pk_fma_f16 v21, v22, v30, v38 op_sel_hi:[1,0,1]
	v_pk_fma_f16 v29, v22, v30, v39 op_sel:[0,1,0]
	v_pk_fma_f16 v38, v22, v31, v40 op_sel_hi:[1,0,1]
	v_pk_fma_f16 v39, v22, v31, v41 op_sel:[0,1,0]
	;; [unrolled: 2-line block ×10, first 2 shown]
	v_pk_fma_f16 v44, v24, v37, v18 op_sel:[0,1,0]
	v_pk_fma_f16 v45, v25, v34, v20 op_sel_hi:[1,0,1]
	v_pk_fma_f16 v46, v25, v35, v26 op_sel_hi:[1,0,1]
	v_pk_fma_f16 v35, v25, v35, v27 op_sel:[0,1,0]
	ds_read2_b64 v[18:21], v214 offset0:112 offset1:140
	ds_read_b128 v[26:29], v206 offset:320
	v_pk_fma_f16 v40, v24, v36, v40 op_sel_hi:[1,0,1]
	v_pk_fma_f16 v41, v24, v36, v41 op_sel:[0,1,0]
	v_pk_fma_f16 v42, v24, v37, v42 op_sel_hi:[1,0,1]
	v_pk_fma_f16 v34, v25, v34, v22 op_sel:[0,1,0]
	;; [unrolled: 2-line block ×4, first 2 shown]
	ds_read_b128 v[22:25], v206 offset:336
	s_waitcnt lgkmcnt(1)
	v_pk_fma_f16 v33, v18, v26, v33 op_sel_hi:[1,0,1]
	v_pk_fma_f16 v37, v18, v26, v43 op_sel:[0,1,0]
	v_pk_fma_f16 v38, v18, v27, v38 op_sel_hi:[1,0,1]
	v_pk_fma_f16 v39, v18, v27, v39 op_sel:[0,1,0]
	;; [unrolled: 2-line block ×4, first 2 shown]
	v_pk_fma_f16 v30, v19, v28, v30 op_sel_hi:[1,0,1]
	v_pk_fma_f16 v40, v18, v28, v40 op_sel_hi:[1,0,1]
	v_pk_fma_f16 v41, v18, v28, v41 op_sel:[0,1,0]
	v_pk_fma_f16 v42, v18, v29, v42 op_sel_hi:[1,0,1]
	v_pk_fma_f16 v18, v18, v29, v44 op_sel:[0,1,0]
	v_pk_fma_f16 v35, v19, v28, v31 op_sel:[0,1,0]
	v_pk_fma_f16 v44, v19, v29, v32 op_sel_hi:[1,0,1]
	v_pk_fma_f16 v19, v19, v29, v36 op_sel:[0,1,0]
	s_waitcnt lgkmcnt(0)
	v_pk_fma_f16 v36, v20, v22, v33 op_sel_hi:[1,0,1]
	v_pk_fma_f16 v37, v20, v22, v37 op_sel:[0,1,0]
	v_pk_fma_f16 v38, v20, v23, v38 op_sel_hi:[1,0,1]
	v_pk_fma_f16 v39, v20, v23, v39 op_sel:[0,1,0]
	;; [unrolled: 2-line block ×4, first 2 shown]
	v_pk_fma_f16 v46, v21, v24, v30 op_sel_hi:[1,0,1]
	ds_read2_b64 v[26:29], v214 offset0:168 offset1:196
	ds_read_b128 v[30:33], v206 offset:352
	v_pk_fma_f16 v40, v20, v24, v40 op_sel_hi:[1,0,1]
	v_pk_fma_f16 v41, v20, v24, v41 op_sel:[0,1,0]
	v_pk_fma_f16 v42, v20, v25, v42 op_sel_hi:[1,0,1]
	v_pk_fma_f16 v45, v20, v25, v18 op_sel:[0,1,0]
	v_pk_fma_f16 v24, v21, v24, v35 op_sel:[0,1,0]
	v_pk_fma_f16 v35, v21, v25, v44 op_sel_hi:[1,0,1]
	v_pk_fma_f16 v25, v21, v25, v19 op_sel:[0,1,0]
	ds_read_b128 v[18:21], v206 offset:368
	s_waitcnt lgkmcnt(1)
	v_pk_fma_f16 v36, v26, v30, v36 op_sel_hi:[1,0,1]
	v_pk_fma_f16 v37, v26, v30, v37 op_sel:[0,1,0]
	v_pk_fma_f16 v38, v26, v31, v38 op_sel_hi:[1,0,1]
	v_pk_fma_f16 v39, v26, v31, v39 op_sel:[0,1,0]
	;; [unrolled: 2-line block ×8, first 2 shown]
	s_waitcnt lgkmcnt(0)
	v_pk_fma_f16 v36, v28, v18, v36 op_sel_hi:[1,0,1]
	v_pk_fma_f16 v37, v28, v18, v37 op_sel:[0,1,0]
	v_pk_fma_f16 v38, v28, v19, v38 op_sel_hi:[1,0,1]
	v_pk_fma_f16 v39, v28, v19, v39 op_sel:[0,1,0]
	;; [unrolled: 2-line block ×6, first 2 shown]
	v_pk_fma_f16 v46, v29, v20, v31 op_sel_hi:[1,0,1]
	ds_read2_b64 v[22:25], v214 offset0:224 offset1:252
	ds_read_b128 v[30:33], v206 offset:384
	v_pk_fma_f16 v34, v29, v20, v34 op_sel:[0,1,0]
	v_pk_fma_f16 v35, v29, v21, v35 op_sel_hi:[1,0,1]
	v_pk_fma_f16 v27, v29, v21, v27 op_sel:[0,1,0]
	ds_read_b128 v[18:21], v206 offset:400
	s_waitcnt lgkmcnt(1)
	v_pk_fma_f16 v29, v22, v30, v36 op_sel_hi:[1,0,1]
	v_pk_fma_f16 v36, v22, v30, v37 op_sel:[0,1,0]
	v_pk_fma_f16 v37, v22, v31, v38 op_sel_hi:[1,0,1]
	v_pk_fma_f16 v38, v22, v31, v39 op_sel:[0,1,0]
	;; [unrolled: 2-line block ×8, first 2 shown]
	s_waitcnt lgkmcnt(0)
	v_pk_fma_f16 v43, v24, v18, v29 op_sel_hi:[1,0,1]
	v_pk_fma_f16 v36, v24, v18, v36 op_sel:[0,1,0]
	v_pk_fma_f16 v37, v24, v19, v37 op_sel_hi:[1,0,1]
	v_pk_fma_f16 v38, v24, v19, v38 op_sel:[0,1,0]
	v_pk_fma_f16 v39, v24, v20, v39 op_sel_hi:[1,0,1]
	v_pk_fma_f16 v40, v24, v20, v40 op_sel:[0,1,0]
	v_pk_fma_f16 v41, v24, v21, v41 op_sel_hi:[1,0,1]
	v_pk_fma_f16 v22, v24, v21, v22 op_sel:[0,1,0]
	v_pk_fma_f16 v24, v25, v18, v26 op_sel_hi:[1,0,1]
	v_pk_fma_f16 v44, v25, v18, v28 op_sel:[0,1,0]
	v_pk_fma_f16 v45, v25, v19, v30 op_sel_hi:[1,0,1]
	v_pk_fma_f16 v46, v25, v19, v31 op_sel:[0,1,0]
	ds_read2_b64 v[26:29], v213 offset0:24 offset1:52
	ds_read_b128 v[30:33], v206 offset:416
	v_pk_fma_f16 v42, v25, v20, v42 op_sel_hi:[1,0,1]
	v_pk_fma_f16 v34, v25, v20, v34 op_sel:[0,1,0]
	v_pk_fma_f16 v35, v25, v21, v35 op_sel_hi:[1,0,1]
	v_pk_fma_f16 v23, v25, v21, v23 op_sel:[0,1,0]
	ds_read_b128 v[18:21], v206 offset:432
	s_waitcnt lgkmcnt(1)
	v_pk_fma_f16 v25, v26, v30, v43 op_sel_hi:[1,0,1]
	v_pk_fma_f16 v36, v26, v30, v36 op_sel:[0,1,0]
	v_pk_fma_f16 v37, v26, v31, v37 op_sel_hi:[1,0,1]
	v_pk_fma_f16 v38, v26, v31, v38 op_sel:[0,1,0]
	;; [unrolled: 2-line block ×8, first 2 shown]
	s_waitcnt lgkmcnt(0)
	v_pk_fma_f16 v43, v28, v18, v25 op_sel_hi:[1,0,1]
	v_pk_fma_f16 v36, v28, v18, v36 op_sel:[0,1,0]
	v_pk_fma_f16 v37, v28, v19, v37 op_sel_hi:[1,0,1]
	v_pk_fma_f16 v38, v28, v19, v38 op_sel:[0,1,0]
	;; [unrolled: 2-line block ×4, first 2 shown]
	v_pk_fma_f16 v44, v29, v18, v24 op_sel_hi:[1,0,1]
	v_pk_fma_f16 v45, v29, v19, v30 op_sel_hi:[1,0,1]
	v_pk_fma_f16 v46, v29, v19, v31 op_sel:[0,1,0]
	ds_read2_b64 v[22:25], v213 offset0:80 offset1:108
	ds_read_b128 v[30:33], v206 offset:448
	v_pk_fma_f16 v26, v29, v18, v26 op_sel:[0,1,0]
	v_pk_fma_f16 v42, v29, v20, v42 op_sel_hi:[1,0,1]
	v_pk_fma_f16 v34, v29, v20, v34 op_sel:[0,1,0]
	v_pk_fma_f16 v35, v29, v21, v35 op_sel_hi:[1,0,1]
	v_pk_fma_f16 v27, v29, v21, v27 op_sel:[0,1,0]
	ds_read_b128 v[18:21], v206 offset:464
	s_waitcnt lgkmcnt(1)
	v_pk_fma_f16 v29, v22, v30, v43 op_sel_hi:[1,0,1]
	v_pk_fma_f16 v36, v22, v30, v36 op_sel:[0,1,0]
	v_pk_fma_f16 v37, v22, v31, v37 op_sel_hi:[1,0,1]
	v_pk_fma_f16 v38, v22, v31, v38 op_sel:[0,1,0]
	;; [unrolled: 2-line block ×8, first 2 shown]
	s_waitcnt lgkmcnt(0)
	v_pk_fma_f16 v43, v24, v18, v29 op_sel_hi:[1,0,1]
	v_pk_fma_f16 v36, v24, v18, v36 op_sel:[0,1,0]
	v_pk_fma_f16 v37, v24, v19, v37 op_sel_hi:[1,0,1]
	v_pk_fma_f16 v38, v24, v19, v38 op_sel:[0,1,0]
	;; [unrolled: 2-line block ×6, first 2 shown]
	v_pk_fma_f16 v42, v25, v20, v42 op_sel_hi:[1,0,1]
	ds_read2_b64 v[26:29], v213 offset0:136 offset1:164
	ds_read_b128 v[30:33], v206 offset:480
	v_pk_fma_f16 v34, v25, v20, v34 op_sel:[0,1,0]
	v_pk_fma_f16 v35, v25, v21, v35 op_sel_hi:[1,0,1]
	v_pk_fma_f16 v23, v25, v21, v23 op_sel:[0,1,0]
	ds_read_b128 v[18:21], v206 offset:496
	s_waitcnt lgkmcnt(0)
	s_barrier
	s_load_dword s18, s[70:71], 0x4
	v_pk_fma_f16 v25, v26, v30, v43 op_sel_hi:[1,0,1]
	v_pk_fma_f16 v36, v26, v30, v36 op_sel:[0,1,0]
	v_pk_fma_f16 v37, v26, v31, v37 op_sel_hi:[1,0,1]
	v_pk_fma_f16 v38, v26, v31, v38 op_sel:[0,1,0]
	s_waitcnt lgkmcnt(0)
	s_lshl_b32 s18, s18, 5
	v_pk_fma_f16 v39, v26, v32, v39 op_sel_hi:[1,0,1]
	v_pk_fma_f16 v40, v26, v32, v40 op_sel:[0,1,0]
	v_pk_fma_f16 v41, v26, v33, v41 op_sel_hi:[1,0,1]
	v_pk_fma_f16 v22, v26, v33, v22 op_sel:[0,1,0]
	;; [unrolled: 2-line block ×6, first 2 shown]
	s_add_i32 s69, s18, s69
	v_pk_fma_f32 v[8:9], v[8:9], v[156:157], v[148:149]
	v_pk_fma_f16 v187, v28, v18, v25 op_sel_hi:[1,0,1]
	v_pk_fma_f16 v185, v28, v18, v36 op_sel:[0,1,0]
	v_pk_fma_f16 v183, v28, v19, v37 op_sel_hi:[1,0,1]
	v_pk_fma_f16 v181, v28, v19, v38 op_sel:[0,1,0]
	;; [unrolled: 2-line block ×7, first 2 shown]
	v_pk_fma_f16 v175, v29, v21, v34 op_sel_hi:[1,0,1]
	s_cmp_lt_i32 s69, s77
	v_pk_fma_f16 v173, v29, v21, v23 op_sel:[0,1,0]
	s_cbranch_scc0 .LBB52_67
; %bb.57:                               ;   in Loop: Header=BB52_24 Depth=1
	v_mov_b32_e32 v18, v10
	v_mov_b32_e32 v19, v11
	;; [unrolled: 1-line block ×8, first 2 shown]
	s_branch .LBB52_24
.LBB52_58:                              ;   in Loop: Header=BB52_24 Depth=1
	global_load_dwordx4 v[26:29], v[14:15], off offset:96
	s_waitcnt vmcnt(0)
	ds_write_b128 v195, v[26:29]
	s_or_b64 exec, exec, s[18:19]
	v_lshl_add_u64 v[10:11], v[128:129], 2, v[12:13]
	s_and_saveexec_b64 s[18:19], s[8:9]
	s_cbranch_execz .LBB52_26
.LBB52_59:                              ;   in Loop: Header=BB52_24 Depth=1
	v_lshl_add_u64 v[16:17], v[10:11], 0, v[130:131]
	global_load_dwordx4 v[26:29], v[16:17], off offset:64
	s_waitcnt vmcnt(0)
	ds_write_b128 v196, v[26:29]
	s_or_b64 exec, exec, s[18:19]
	v_lshl_add_u64 v[12:13], v[132:133], 2, v[12:13]
	s_and_saveexec_b64 s[18:19], s[10:11]
	s_cbranch_execnz .LBB52_27
	s_branch .LBB52_28
.LBB52_60:                              ;   in Loop: Header=BB52_24 Depth=1
	global_load_dwordx4 v[32:35], v[14:15], off offset:208
	s_waitcnt vmcnt(0)
	ds_write_b128 v195, v[32:35]
	s_or_b64 exec, exec, s[18:19]
	s_and_saveexec_b64 s[18:19], s[8:9]
	s_cbranch_execz .LBB52_30
.LBB52_61:                              ;   in Loop: Header=BB52_24 Depth=1
	v_lshl_add_u64 v[10:11], v[10:11], 0, v[130:131]
	global_load_dwordx4 v[32:35], v[10:11], off offset:176
	s_waitcnt vmcnt(0)
	ds_write_b128 v196, v[32:35]
	s_or_b64 exec, exec, s[18:19]
	s_and_saveexec_b64 s[18:19], s[10:11]
	s_cbranch_execnz .LBB52_31
	s_branch .LBB52_32
.LBB52_62:                              ;   in Loop: Header=BB52_24 Depth=1
	v_lshl_add_u64 v[28:29], v[134:135], 2, v[26:27]
	v_lshl_add_u64 v[28:29], v[28:29], 0, v[130:131]
	global_load_dwordx4 v[28:31], v[28:29], off offset:192
	s_waitcnt vmcnt(0)
	ds_write_b128 v207, v[28:31]
	s_or_b64 exec, exec, s[18:19]
	s_and_saveexec_b64 s[18:19], s[14:15]
	s_cbranch_execz .LBB52_50
.LBB52_63:                              ;   in Loop: Header=BB52_24 Depth=1
	v_lshl_add_u64 v[28:29], v[136:137], 2, v[26:27]
	v_mov_b32_e32 v141, v131
	v_lshl_add_u64 v[28:29], v[28:29], 0, v[140:141]
	global_load_dwordx4 v[28:31], v[28:29], off offset:128
	s_waitcnt vmcnt(0)
	ds_write_b128 v208, v[28:31]
	s_or_b64 exec, exec, s[18:19]
	v_lshlrev_b32_e32 v158, 2, v114
	s_and_saveexec_b64 s[18:19], s[16:17]
	s_cbranch_execnz .LBB52_51
	s_branch .LBB52_52
.LBB52_64:                              ;   in Loop: Header=BB52_24 Depth=1
	v_lshl_add_u64 v[216:217], v[134:135], 2, v[160:161]
	v_lshl_add_u64 v[216:217], v[216:217], 0, v[130:131]
	global_load_dwordx4 v[216:219], v[216:217], off offset:192
	s_waitcnt vmcnt(0)
	ds_write_b128 v207, v[216:219]
	s_or_b64 exec, exec, s[72:73]
	s_and_saveexec_b64 s[72:73], s[14:15]
	s_cbranch_execz .LBB52_54
.LBB52_65:                              ;   in Loop: Header=BB52_24 Depth=1
	v_lshl_add_u64 v[216:217], v[136:137], 2, v[160:161]
	v_mov_b32_e32 v141, v131
	v_lshl_add_u64 v[216:217], v[216:217], 0, v[140:141]
	global_load_dwordx4 v[216:219], v[216:217], off offset:128
	s_waitcnt vmcnt(0)
	ds_write_b128 v208, v[216:219]
	s_or_b64 exec, exec, s[72:73]
	s_and_saveexec_b64 s[72:73], s[16:17]
	s_cbranch_execnz .LBB52_55
	s_branch .LBB52_56
.LBB52_66:
	s_mov_b32 s14, s8
	s_mov_b32 s15, s8
	;; [unrolled: 1-line block ×7, first 2 shown]
	v_mov_b64_e32 v[16:17], s[14:15]
	v_mov_b64_e32 v[14:15], s[12:13]
	v_mov_b64_e32 v[12:13], s[10:11]
	v_mov_b64_e32 v[10:11], s[8:9]
	v_mov_b32_e32 v8, v9
	v_mov_b32_e32 v7, v9
	;; [unrolled: 1-line block ×22, first 2 shown]
.LBB52_67:
	s_cmp_gt_i32 s68, s69
	s_cbranch_scc1 .LBB52_69
; %bb.68:
	v_mbcnt_hi_u32_b32 v138, -1, v189
	v_and_b32_e32 v18, 0x60, v138
	v_mov_b64_e32 v[40:41], v[8:9]
	v_add_u32_e32 v139, 32, v18
	v_xor_b32_e32 v141, 16, v138
	v_xor_b32_e32 v144, 8, v138
	;; [unrolled: 1-line block ×5, first 2 shown]
	v_mov_b64_e32 v[38:39], v[6:7]
	v_mov_b64_e32 v[36:37], v[4:5]
	;; [unrolled: 1-line block ×3, first 2 shown]
	s_cbranch_execz .LBB52_70
	s_branch .LBB52_135
.LBB52_69:
                                        ; implicit-def: $vgpr138
                                        ; implicit-def: $vgpr139
                                        ; implicit-def: $vgpr141
                                        ; implicit-def: $vgpr144
                                        ; implicit-def: $vgpr142
                                        ; implicit-def: $vgpr143
                                        ; implicit-def: $vgpr140
                                        ; implicit-def: $vgpr34_vgpr35_vgpr36_vgpr37_vgpr38_vgpr39_vgpr40_vgpr41
.LBB52_70:
	s_mul_hi_i32 s7, s69, s76
	s_mul_i32 s6, s69, s76
	s_lshl_b64 s[6:7], s[6:7], 2
	v_mul_lo_u32 v18, s76, v192
	s_sub_i32 s48, s68, s69
	v_lshl_add_u64 v[20:21], v[120:121], 0, s[6:7]
	v_ashrrev_i32_e32 v19, 31, v18
	v_cmp_gt_u32_e64 s[10:11], 32, v192
	s_mov_b64 s[16:17], src_private_base
	v_add_u32_e32 v33, 0x3860, v190
	v_cmp_gt_i32_e32 vcc, s48, v192
	v_lshl_add_u64 v[26:27], v[18:19], 2, v[20:21]
	s_and_saveexec_b64 s[6:7], s[10:11]
	s_cbranch_execz .LBB52_72
; %bb.71:
	v_mov_b32_e32 v22, 0
	v_mov_b32_e32 v23, v22
	;; [unrolled: 1-line block ×3, first 2 shown]
	s_mov_b64 s[8:9], 0x60
	scratch_store_dword off, v22, off
	scratch_store_dwordx3 off, v[22:24], off offset:4
	v_lshl_add_u64 v[18:19], v[26:27], 0, s[8:9]
	s_nop 0
	v_mov_b32_e32 v22, s17
	v_cndmask_b32_e32 v19, v22, v19, vcc
	v_mov_b32_e32 v22, 0
	v_cndmask_b32_e32 v18, v22, v18, vcc
	flat_load_dwordx4 v[22:25], v[18:19]
	s_waitcnt vmcnt(0) lgkmcnt(0)
	ds_write_b128 v33, v[22:25]
.LBB52_72:
	s_or_b64 exec, exec, s[6:7]
	v_lshl_add_u32 v136, v115, 4, v191
	v_lshlrev_b32_e32 v126, 2, v116
	v_lshl_or_b32 v18, v136, 7, v126
	v_add_u32_e32 v34, 0x3840, v18
	v_mul_lo_u32 v18, s76, v136
	v_ashrrev_i32_e32 v19, 31, v18
	v_cmp_gt_u32_e64 s[12:13], 32, v136
	v_cmp_gt_i32_e64 s[6:7], s48, v136
	v_lshl_add_u64 v[28:29], v[18:19], 2, v[20:21]
	s_and_saveexec_b64 s[8:9], s[12:13]
	s_cbranch_execz .LBB52_74
; %bb.73:
	v_mov_b32_e32 v22, 0
	v_mov_b32_e32 v127, v22
	;; [unrolled: 1-line block ×4, first 2 shown]
	v_lshl_add_u64 v[18:19], v[28:29], 0, v[126:127]
	scratch_store_dword off, v22, off
	scratch_store_dwordx3 off, v[22:24], off offset:4
	v_lshl_add_u64 v[18:19], v[18:19], 0, 64
	s_nop 0
	v_mov_b32_e32 v22, s17
	v_cndmask_b32_e64 v19, v22, v19, s[6:7]
	v_mov_b32_e32 v22, 0
	v_cndmask_b32_e64 v18, v22, v18, s[6:7]
	flat_load_dwordx4 v[22:25], v[18:19]
	s_waitcnt vmcnt(0) lgkmcnt(0)
	ds_write_b128 v34, v[22:25]
.LBB52_74:
	s_or_b64 exec, exec, s[8:9]
	v_add_u32_e32 v137, v170, v1
	v_lshlrev_b32_e32 v128, 2, v118
	v_mul_lo_u32 v22, s76, v137
	v_lshl_or_b32 v1, v137, 7, v128
	v_ashrrev_i32_e32 v23, 31, v22
	v_add_u32_e32 v32, 0x3800, v190
	v_cmp_gt_u32_e64 s[14:15], 32, v137
	s_mov_b64 s[18:19], src_private_base
	v_mov_b32_e32 v19, 0
	v_add_u32_e32 v35, 0x3800, v1
	v_cmp_gt_i32_e64 s[8:9], s48, v137
	v_lshl_add_u64 v[30:31], v[22:23], 2, v[20:21]
	s_and_saveexec_b64 s[20:21], s[14:15]
	s_cbranch_execz .LBB52_76
; %bb.75:
	v_mov_b32_e32 v20, v19
	v_mov_b32_e32 v21, v19
	;; [unrolled: 1-line block ×4, first 2 shown]
	scratch_store_dwordx3 off, v[20:22], off offset:4
	v_mov_b32_e32 v1, s19
	scratch_store_dword off, v19, off
	v_lshl_add_u64 v[20:21], v[30:31], 0, v[128:129]
	v_cndmask_b32_e64 v21, v1, v21, s[8:9]
	v_mov_b32_e32 v1, 0
	v_cndmask_b32_e64 v20, v1, v20, s[8:9]
	flat_load_dwordx4 v[20:23], v[20:21]
	s_waitcnt vmcnt(0) lgkmcnt(0)
	ds_write_b128 v35, v[20:23]
.LBB52_76:
	s_or_b64 exec, exec, s[20:21]
	v_mov_b32_e32 v24, 0
	v_mul_u32_u24_e32 v25, 0x700, v115
	s_waitcnt lgkmcnt(0)
	s_barrier
	ds_read_b128 v[36:39], v32
	ds_read_b128 v[20:23], v25
	ds_read_b128 v[40:43], v25 offset:224
	ds_read_b128 v[44:47], v25 offset:448
	;; [unrolled: 1-line block ×7, first 2 shown]
	s_waitcnt lgkmcnt(7)
	;;#ASMSTART
	v_dot2_f32_f16 v24, v36, v20, v24
	;;#ASMEND
	v_mov_b32_e32 v1, 0
	;;#ASMSTART
	v_dot2_f32_f16 v24, v37, v21, v24
	;;#ASMEND
	v_mov_b32_e32 v20, 0
	;; [unrolled: 4-line block ×3, first 2 shown]
	;;#ASMSTART
	v_dot2_f32_f16 v24, v39, v23, v24
	;;#ASMEND
	s_waitcnt lgkmcnt(6)
	;;#ASMSTART
	v_dot2_f32_f16 v1, v36, v40, v1
	;;#ASMEND
	v_mov_b32_e32 v23, 0
	;;#ASMSTART
	v_dot2_f32_f16 v1, v37, v41, v1
	;;#ASMEND
	v_mov_b32_e32 v21, 0
	;; [unrolled: 4-line block ×3, first 2 shown]
	;;#ASMSTART
	v_dot2_f32_f16 v1, v39, v43, v1
	;;#ASMEND
	s_waitcnt lgkmcnt(5)
	;;#ASMSTART
	v_dot2_f32_f16 v22, v36, v44, v22
	;;#ASMEND
	s_nop 0
	;;#ASMSTART
	v_dot2_f32_f16 v22, v37, v45, v22
	;;#ASMEND
	s_nop 0
	;;#ASMSTART
	v_dot2_f32_f16 v22, v38, v46, v22
	;;#ASMEND
	s_nop 0
	;;#ASMSTART
	v_dot2_f32_f16 v22, v39, v47, v22
	;;#ASMEND
	s_waitcnt lgkmcnt(4)
	;;#ASMSTART
	v_dot2_f32_f16 v23, v36, v48, v23
	;;#ASMEND
	s_nop 0
	;;#ASMSTART
	v_dot2_f32_f16 v23, v37, v49, v23
	;;#ASMEND
	s_nop 0
	;;#ASMSTART
	v_dot2_f32_f16 v23, v38, v50, v23
	;;#ASMEND
	s_nop 0
	;; [unrolled: 16-line block ×6, first 2 shown]
	;;#ASMSTART
	v_dot2_f32_f16 v19, v39, v67, v19
	;;#ASMEND
	ds_read_b128 v[36:39], v32 offset:16
	ds_read_b128 v[40:43], v25 offset:16
	;; [unrolled: 1-line block ×9, first 2 shown]
	s_waitcnt lgkmcnt(7)
	;;#ASMSTART
	v_dot2_f32_f16 v24, v36, v40, v24
	;;#ASMEND
	s_nop 0
	;;#ASMSTART
	v_dot2_f32_f16 v24, v37, v41, v24
	;;#ASMEND
	s_nop 0
	;;#ASMSTART
	v_dot2_f32_f16 v24, v38, v42, v24
	;;#ASMEND
	s_nop 0
	;;#ASMSTART
	v_dot2_f32_f16 v24, v39, v43, v24
	;;#ASMEND
	s_waitcnt lgkmcnt(6)
	;;#ASMSTART
	v_dot2_f32_f16 v1, v36, v44, v1
	;;#ASMEND
	s_nop 0
	;;#ASMSTART
	v_dot2_f32_f16 v1, v37, v45, v1
	;;#ASMEND
	s_nop 0
	;;#ASMSTART
	v_dot2_f32_f16 v1, v38, v46, v1
	;;#ASMEND
	s_nop 0
	;;#ASMSTART
	v_dot2_f32_f16 v1, v39, v47, v1
	;;#ASMEND
	;; [unrolled: 16-line block ×8, first 2 shown]
	ds_read_b128 v[36:39], v32 offset:32
	ds_read_b128 v[40:43], v25 offset:32
	;; [unrolled: 1-line block ×9, first 2 shown]
	s_waitcnt lgkmcnt(7)
	;;#ASMSTART
	v_dot2_f32_f16 v24, v36, v40, v24
	;;#ASMEND
	s_nop 0
	;;#ASMSTART
	v_dot2_f32_f16 v24, v37, v41, v24
	;;#ASMEND
	s_nop 0
	;;#ASMSTART
	v_dot2_f32_f16 v24, v38, v42, v24
	;;#ASMEND
	s_nop 0
	;;#ASMSTART
	v_dot2_f32_f16 v24, v39, v43, v24
	;;#ASMEND
	s_waitcnt lgkmcnt(6)
	;;#ASMSTART
	v_dot2_f32_f16 v1, v36, v44, v1
	;;#ASMEND
	s_nop 0
	;;#ASMSTART
	v_dot2_f32_f16 v1, v37, v45, v1
	;;#ASMEND
	s_nop 0
	;;#ASMSTART
	v_dot2_f32_f16 v1, v38, v46, v1
	;;#ASMEND
	s_nop 0
	;;#ASMSTART
	v_dot2_f32_f16 v1, v39, v47, v1
	;;#ASMEND
	;; [unrolled: 16-line block ×8, first 2 shown]
	ds_read_b128 v[36:39], v32 offset:48
	ds_read_b128 v[40:43], v25 offset:48
	;; [unrolled: 1-line block ×9, first 2 shown]
	s_waitcnt lgkmcnt(7)
	;;#ASMSTART
	v_dot2_f32_f16 v24, v36, v40, v24
	;;#ASMEND
	s_nop 0
	;;#ASMSTART
	v_dot2_f32_f16 v24, v37, v41, v24
	;;#ASMEND
	s_nop 0
	;;#ASMSTART
	v_dot2_f32_f16 v24, v38, v42, v24
	;;#ASMEND
	s_nop 0
	;;#ASMSTART
	v_dot2_f32_f16 v24, v39, v43, v24
	;;#ASMEND
	s_waitcnt lgkmcnt(6)
	;;#ASMSTART
	v_dot2_f32_f16 v1, v36, v44, v1
	;;#ASMEND
	s_nop 0
	;;#ASMSTART
	v_dot2_f32_f16 v1, v37, v45, v1
	;;#ASMEND
	s_nop 0
	;;#ASMSTART
	v_dot2_f32_f16 v1, v38, v46, v1
	;;#ASMEND
	s_nop 0
	;;#ASMSTART
	v_dot2_f32_f16 v1, v39, v47, v1
	;;#ASMEND
	;; [unrolled: 16-line block ×8, first 2 shown]
	ds_read_b128 v[36:39], v32 offset:64
	ds_read_b128 v[40:43], v25 offset:64
	;; [unrolled: 1-line block ×9, first 2 shown]
	s_waitcnt lgkmcnt(7)
	;;#ASMSTART
	v_dot2_f32_f16 v24, v36, v40, v24
	;;#ASMEND
	s_nop 0
	;;#ASMSTART
	v_dot2_f32_f16 v24, v37, v41, v24
	;;#ASMEND
	s_nop 0
	;;#ASMSTART
	v_dot2_f32_f16 v24, v38, v42, v24
	;;#ASMEND
	s_nop 0
	;;#ASMSTART
	v_dot2_f32_f16 v24, v39, v43, v24
	;;#ASMEND
	s_waitcnt lgkmcnt(6)
	;;#ASMSTART
	v_dot2_f32_f16 v1, v36, v44, v1
	;;#ASMEND
	s_nop 0
	;;#ASMSTART
	v_dot2_f32_f16 v1, v37, v45, v1
	;;#ASMEND
	s_nop 0
	;;#ASMSTART
	v_dot2_f32_f16 v1, v38, v46, v1
	;;#ASMEND
	s_nop 0
	;;#ASMSTART
	v_dot2_f32_f16 v1, v39, v47, v1
	;;#ASMEND
	;; [unrolled: 16-line block ×8, first 2 shown]
	ds_read_b128 v[36:39], v32 offset:80
	ds_read_b128 v[40:43], v25 offset:80
	;; [unrolled: 1-line block ×9, first 2 shown]
	s_waitcnt lgkmcnt(7)
	;;#ASMSTART
	v_dot2_f32_f16 v24, v36, v40, v24
	;;#ASMEND
	s_nop 0
	;;#ASMSTART
	v_dot2_f32_f16 v24, v37, v41, v24
	;;#ASMEND
	s_nop 0
	;;#ASMSTART
	v_dot2_f32_f16 v24, v38, v42, v24
	;;#ASMEND
	s_nop 0
	;;#ASMSTART
	v_dot2_f32_f16 v24, v39, v43, v24
	;;#ASMEND
	s_waitcnt lgkmcnt(6)
	;;#ASMSTART
	v_dot2_f32_f16 v1, v36, v44, v1
	;;#ASMEND
	s_nop 0
	;;#ASMSTART
	v_dot2_f32_f16 v1, v37, v45, v1
	;;#ASMEND
	s_nop 0
	;;#ASMSTART
	v_dot2_f32_f16 v1, v38, v46, v1
	;;#ASMEND
	s_nop 0
	;;#ASMSTART
	v_dot2_f32_f16 v1, v39, v47, v1
	;;#ASMEND
	;; [unrolled: 16-line block ×8, first 2 shown]
	ds_read_b128 v[36:39], v32 offset:96
	ds_read_b128 v[40:43], v25 offset:96
	;; [unrolled: 1-line block ×9, first 2 shown]
	s_waitcnt lgkmcnt(7)
	;;#ASMSTART
	v_dot2_f32_f16 v24, v36, v40, v24
	;;#ASMEND
	s_nop 0
	;;#ASMSTART
	v_dot2_f32_f16 v24, v37, v41, v24
	;;#ASMEND
	s_nop 0
	;;#ASMSTART
	v_dot2_f32_f16 v24, v38, v42, v24
	;;#ASMEND
	s_nop 0
	;;#ASMSTART
	v_dot2_f32_f16 v24, v39, v43, v24
	;;#ASMEND
	s_waitcnt lgkmcnt(6)
	;;#ASMSTART
	v_dot2_f32_f16 v1, v36, v44, v1
	;;#ASMEND
	s_nop 0
	;;#ASMSTART
	v_dot2_f32_f16 v1, v37, v45, v1
	;;#ASMEND
	s_nop 0
	;;#ASMSTART
	v_dot2_f32_f16 v1, v38, v46, v1
	;;#ASMEND
	s_nop 0
	;;#ASMSTART
	v_dot2_f32_f16 v1, v39, v47, v1
	;;#ASMEND
	;; [unrolled: 16-line block ×8, first 2 shown]
	s_barrier
	s_and_saveexec_b64 s[20:21], s[10:11]
	s_cbranch_execnz .LBB52_83
; %bb.77:
	s_or_b64 exec, exec, s[20:21]
	s_and_saveexec_b64 s[10:11], s[12:13]
	s_cbranch_execnz .LBB52_84
.LBB52_78:
	s_or_b64 exec, exec, s[10:11]
	s_and_saveexec_b64 s[10:11], s[14:15]
	s_cbranch_execz .LBB52_80
.LBB52_79:
	v_mov_b32_e32 v26, 0
	v_mov_b32_e32 v27, v26
	;; [unrolled: 1-line block ×4, first 2 shown]
	scratch_store_dword off, v26, off
	scratch_store_dwordx3 off, v[26:28], off offset:4
	s_mov_b64 s[12:13], 0x70
	s_nop 0
	v_lshl_add_u64 v[26:27], v[30:31], 0, v[128:129]
	v_lshl_add_u64 v[26:27], v[26:27], 0, s[12:13]
	v_mov_b32_e32 v28, s19
	v_cndmask_b32_e64 v27, v28, v27, s[8:9]
	v_mov_b32_e32 v28, 0
	v_cndmask_b32_e64 v26, v28, v26, s[8:9]
	flat_load_dwordx4 v[26:29], v[26:27]
	s_waitcnt vmcnt(0) lgkmcnt(0)
	ds_write_b128 v35, v[26:29]
.LBB52_80:
	s_or_b64 exec, exec, s[10:11]
	s_waitcnt lgkmcnt(0)
	s_barrier
	ds_read_b128 v[26:29], v32
	ds_read_b128 v[34:37], v25 offset:112
	ds_read_b128 v[38:41], v25 offset:336
	ds_read_b128 v[42:45], v25 offset:560
	ds_read_b128 v[46:49], v25 offset:784
	ds_read_b128 v[50:53], v25 offset:1008
	ds_read_b128 v[54:57], v25 offset:1232
	ds_read_b128 v[58:61], v25 offset:1456
	ds_read_b128 v[62:65], v25 offset:1680
	s_waitcnt lgkmcnt(7)
	;;#ASMSTART
	v_dot2_f32_f16 v24, v26, v34, v24
	;;#ASMEND
	s_cmp_lg_u64 s[66:67], 0
	;;#ASMSTART
	v_dot2_f32_f16 v24, v27, v35, v24
	;;#ASMEND
	s_cselect_b64 s[12:13], -1, 0
	;;#ASMSTART
	v_dot2_f32_f16 v24, v28, v36, v24
	;;#ASMEND
	v_cmp_gt_i32_e64 s[10:11], s48, v167
	;;#ASMSTART
	v_dot2_f32_f16 v24, v29, v37, v24
	;;#ASMEND
	s_waitcnt lgkmcnt(6)
	;;#ASMSTART
	v_dot2_f32_f16 v1, v26, v38, v1
	;;#ASMEND
	s_nop 0
	;;#ASMSTART
	v_dot2_f32_f16 v1, v27, v39, v1
	;;#ASMEND
	s_nop 0
	;;#ASMSTART
	v_dot2_f32_f16 v1, v28, v40, v1
	;;#ASMEND
	s_nop 0
	;;#ASMSTART
	v_dot2_f32_f16 v1, v29, v41, v1
	;;#ASMEND
	s_waitcnt lgkmcnt(5)
	;;#ASMSTART
	v_dot2_f32_f16 v22, v26, v42, v22
	;;#ASMEND
	s_nop 0
	;;#ASMSTART
	v_dot2_f32_f16 v22, v27, v43, v22
	;;#ASMEND
	s_nop 0
	;;#ASMSTART
	v_dot2_f32_f16 v22, v28, v44, v22
	;;#ASMEND
	s_nop 0
	;; [unrolled: 16-line block ×7, first 2 shown]
	;;#ASMSTART
	v_dot2_f32_f16 v19, v29, v65, v19
	;;#ASMEND
	ds_read_b128 v[26:29], v32 offset:16
	ds_read_b128 v[34:37], v25 offset:128
	;; [unrolled: 1-line block ×9, first 2 shown]
	s_waitcnt lgkmcnt(7)
	;;#ASMSTART
	v_dot2_f32_f16 v24, v26, v34, v24
	;;#ASMEND
	s_nop 0
	;;#ASMSTART
	v_dot2_f32_f16 v24, v27, v35, v24
	;;#ASMEND
	s_nop 0
	;;#ASMSTART
	v_dot2_f32_f16 v24, v28, v36, v24
	;;#ASMEND
	s_nop 0
	;;#ASMSTART
	v_dot2_f32_f16 v24, v29, v37, v24
	;;#ASMEND
	s_waitcnt lgkmcnt(6)
	;;#ASMSTART
	v_dot2_f32_f16 v1, v26, v38, v1
	;;#ASMEND
	s_nop 0
	;;#ASMSTART
	v_dot2_f32_f16 v1, v27, v39, v1
	;;#ASMEND
	s_nop 0
	;;#ASMSTART
	v_dot2_f32_f16 v1, v28, v40, v1
	;;#ASMEND
	s_nop 0
	;;#ASMSTART
	v_dot2_f32_f16 v1, v29, v41, v1
	;;#ASMEND
	;; [unrolled: 16-line block ×8, first 2 shown]
	ds_read_b128 v[26:29], v32 offset:32
	ds_read_b128 v[34:37], v25 offset:144
	;; [unrolled: 1-line block ×9, first 2 shown]
	s_waitcnt lgkmcnt(7)
	;;#ASMSTART
	v_dot2_f32_f16 v24, v26, v34, v24
	;;#ASMEND
	s_nop 0
	;;#ASMSTART
	v_dot2_f32_f16 v24, v27, v35, v24
	;;#ASMEND
	s_nop 0
	;;#ASMSTART
	v_dot2_f32_f16 v24, v28, v36, v24
	;;#ASMEND
	s_nop 0
	;;#ASMSTART
	v_dot2_f32_f16 v24, v29, v37, v24
	;;#ASMEND
	s_waitcnt lgkmcnt(6)
	;;#ASMSTART
	v_dot2_f32_f16 v1, v26, v38, v1
	;;#ASMEND
	s_nop 0
	;;#ASMSTART
	v_dot2_f32_f16 v1, v27, v39, v1
	;;#ASMEND
	s_nop 0
	;;#ASMSTART
	v_dot2_f32_f16 v1, v28, v40, v1
	;;#ASMEND
	s_nop 0
	;;#ASMSTART
	v_dot2_f32_f16 v1, v29, v41, v1
	;;#ASMEND
	;; [unrolled: 16-line block ×8, first 2 shown]
	ds_read_b128 v[26:29], v32 offset:48
	ds_read_b128 v[34:37], v25 offset:160
	;; [unrolled: 1-line block ×9, first 2 shown]
	s_waitcnt lgkmcnt(7)
	;;#ASMSTART
	v_dot2_f32_f16 v24, v26, v34, v24
	;;#ASMEND
	s_nop 0
	;;#ASMSTART
	v_dot2_f32_f16 v24, v27, v35, v24
	;;#ASMEND
	s_nop 0
	;;#ASMSTART
	v_dot2_f32_f16 v24, v28, v36, v24
	;;#ASMEND
	s_nop 0
	;;#ASMSTART
	v_dot2_f32_f16 v24, v29, v37, v24
	;;#ASMEND
	s_waitcnt lgkmcnt(6)
	;;#ASMSTART
	v_dot2_f32_f16 v1, v26, v38, v1
	;;#ASMEND
	s_nop 0
	;;#ASMSTART
	v_dot2_f32_f16 v1, v27, v39, v1
	;;#ASMEND
	s_nop 0
	;;#ASMSTART
	v_dot2_f32_f16 v1, v28, v40, v1
	;;#ASMEND
	s_nop 0
	;;#ASMSTART
	v_dot2_f32_f16 v1, v29, v41, v1
	;;#ASMEND
	;; [unrolled: 16-line block ×8, first 2 shown]
	ds_read_b128 v[26:29], v32 offset:64
	ds_read_b128 v[34:37], v25 offset:176
	;; [unrolled: 1-line block ×9, first 2 shown]
	s_waitcnt lgkmcnt(7)
	;;#ASMSTART
	v_dot2_f32_f16 v24, v26, v34, v24
	;;#ASMEND
	s_nop 0
	;;#ASMSTART
	v_dot2_f32_f16 v24, v27, v35, v24
	;;#ASMEND
	s_nop 0
	;;#ASMSTART
	v_dot2_f32_f16 v24, v28, v36, v24
	;;#ASMEND
	s_nop 0
	;;#ASMSTART
	v_dot2_f32_f16 v24, v29, v37, v24
	;;#ASMEND
	s_waitcnt lgkmcnt(6)
	;;#ASMSTART
	v_dot2_f32_f16 v1, v26, v38, v1
	;;#ASMEND
	s_nop 0
	;;#ASMSTART
	v_dot2_f32_f16 v1, v27, v39, v1
	;;#ASMEND
	s_nop 0
	;;#ASMSTART
	v_dot2_f32_f16 v1, v28, v40, v1
	;;#ASMEND
	s_nop 0
	;;#ASMSTART
	v_dot2_f32_f16 v1, v29, v41, v1
	;;#ASMEND
	;; [unrolled: 16-line block ×8, first 2 shown]
	ds_read_b128 v[26:29], v32 offset:80
	ds_read_b128 v[34:37], v25 offset:192
	;; [unrolled: 1-line block ×9, first 2 shown]
	s_waitcnt lgkmcnt(7)
	;;#ASMSTART
	v_dot2_f32_f16 v24, v26, v34, v24
	;;#ASMEND
	s_nop 0
	;;#ASMSTART
	v_dot2_f32_f16 v24, v27, v35, v24
	;;#ASMEND
	s_nop 0
	;;#ASMSTART
	v_dot2_f32_f16 v24, v28, v36, v24
	;;#ASMEND
	s_nop 0
	;;#ASMSTART
	v_dot2_f32_f16 v24, v29, v37, v24
	;;#ASMEND
	s_waitcnt lgkmcnt(6)
	;;#ASMSTART
	v_dot2_f32_f16 v1, v26, v38, v1
	;;#ASMEND
	s_nop 0
	;;#ASMSTART
	v_dot2_f32_f16 v1, v27, v39, v1
	;;#ASMEND
	s_nop 0
	;;#ASMSTART
	v_dot2_f32_f16 v1, v28, v40, v1
	;;#ASMEND
	s_nop 0
	;;#ASMSTART
	v_dot2_f32_f16 v1, v29, v41, v1
	;;#ASMEND
	;; [unrolled: 16-line block ×8, first 2 shown]
	ds_read_b128 v[26:29], v32 offset:96
	ds_read_b128 v[30:33], v25 offset:208
	;; [unrolled: 1-line block ×9, first 2 shown]
	s_waitcnt lgkmcnt(7)
	;;#ASMSTART
	v_dot2_f32_f16 v24, v26, v30, v24
	;;#ASMEND
	v_cndmask_b32_e64 v25, 0, 1, s[12:13]
	;;#ASMSTART
	v_dot2_f32_f16 v24, v27, v31, v24
	;;#ASMEND
	v_cmp_ne_u32_e64 s[12:13], 1, v25
	;;#ASMSTART
	v_dot2_f32_f16 v24, v28, v32, v24
	;;#ASMEND
	v_mov_b32_e32 v25, v10
	;;#ASMSTART
	v_dot2_f32_f16 v24, v29, v33, v24
	;;#ASMEND
	s_waitcnt lgkmcnt(6)
	;;#ASMSTART
	v_dot2_f32_f16 v1, v26, v34, v1
	;;#ASMEND
	v_add_u32_e32 v34, s69, v167
	;;#ASMSTART
	v_dot2_f32_f16 v1, v27, v35, v1
	;;#ASMEND
	s_nop 0
	;;#ASMSTART
	v_dot2_f32_f16 v1, v28, v36, v1
	;;#ASMEND
	s_nop 0
	;;#ASMSTART
	v_dot2_f32_f16 v1, v29, v37, v1
	;;#ASMEND
	s_waitcnt lgkmcnt(5)
	;;#ASMSTART
	v_dot2_f32_f16 v22, v26, v38, v22
	;;#ASMEND
	s_nop 0
	;;#ASMSTART
	v_dot2_f32_f16 v22, v27, v39, v22
	;;#ASMEND
	s_nop 0
	;;#ASMSTART
	v_dot2_f32_f16 v22, v28, v40, v22
	;;#ASMEND
	s_nop 0
	;;#ASMSTART
	v_dot2_f32_f16 v22, v29, v41, v22
	;;#ASMEND
	s_waitcnt lgkmcnt(4)
	;;#ASMSTART
	v_dot2_f32_f16 v23, v26, v42, v23
	;;#ASMEND
	s_nop 0
	;;#ASMSTART
	v_dot2_f32_f16 v23, v27, v43, v23
	;;#ASMEND
	s_nop 0
	;;#ASMSTART
	v_dot2_f32_f16 v23, v28, v44, v23
	;;#ASMEND
	s_nop 0
	;;#ASMSTART
	v_dot2_f32_f16 v23, v29, v45, v23
	;;#ASMEND
	s_waitcnt lgkmcnt(3)
	;;#ASMSTART
	v_dot2_f32_f16 v20, v26, v46, v20
	;;#ASMEND
	s_nop 0
	;;#ASMSTART
	v_dot2_f32_f16 v20, v27, v47, v20
	;;#ASMEND
	s_nop 0
	;;#ASMSTART
	v_dot2_f32_f16 v20, v28, v48, v20
	;;#ASMEND
	s_nop 0
	;;#ASMSTART
	v_dot2_f32_f16 v20, v29, v49, v20
	;;#ASMEND
	s_waitcnt lgkmcnt(2)
	;;#ASMSTART
	v_dot2_f32_f16 v21, v26, v50, v21
	;;#ASMEND
	s_nop 0
	;;#ASMSTART
	v_dot2_f32_f16 v21, v27, v51, v21
	;;#ASMEND
	s_nop 0
	;;#ASMSTART
	v_dot2_f32_f16 v21, v28, v52, v21
	;;#ASMEND
	s_nop 0
	;;#ASMSTART
	v_dot2_f32_f16 v21, v29, v53, v21
	;;#ASMEND
	s_waitcnt lgkmcnt(1)
	;;#ASMSTART
	v_dot2_f32_f16 v18, v26, v54, v18
	;;#ASMEND
	s_nop 0
	;;#ASMSTART
	v_dot2_f32_f16 v18, v27, v55, v18
	;;#ASMEND
	s_nop 0
	;;#ASMSTART
	v_dot2_f32_f16 v18, v28, v56, v18
	;;#ASMEND
	s_nop 0
	;;#ASMSTART
	v_dot2_f32_f16 v18, v29, v57, v18
	;;#ASMEND
	s_waitcnt lgkmcnt(0)
	;;#ASMSTART
	v_dot2_f32_f16 v19, v26, v58, v19
	;;#ASMEND
	s_nop 0
	;;#ASMSTART
	v_dot2_f32_f16 v19, v27, v59, v19
	;;#ASMEND
	s_nop 0
	;;#ASMSTART
	v_dot2_f32_f16 v19, v28, v60, v19
	;;#ASMEND
	s_nop 0
	;;#ASMSTART
	v_dot2_f32_f16 v19, v29, v61, v19
	;;#ASMEND
	v_mov_b64_e32 v[32:33], v[16:17]
	v_mov_b64_e32 v[30:31], v[14:15]
	;; [unrolled: 1-line block ×4, first 2 shown]
	s_and_saveexec_b64 s[14:15], s[10:11]
	s_cbranch_execz .LBB52_87
; %bb.81:
	s_and_b64 vcc, exec, s[12:13]
	s_cbranch_vccnz .LBB52_85
; %bb.82:
	v_mul_hi_u32 v25, s60, v171
	v_add_u32_e32 v25, v171, v25
	v_lshrrev_b32_e32 v25, s61, v25
	v_mul_lo_u32 v25, v25, s62
	v_sub_u32_e32 v25, v171, v25
	v_mad_u64_u32 v[26:27], s[16:17], v25, s75, v[34:35]
	v_ashrrev_i32_e32 v27, 31, v26
	v_lshl_add_u64 v[26:27], v[26:27], 1, s[66:67]
	flat_load_ushort v25, v[26:27]
	s_waitcnt vmcnt(0) lgkmcnt(0)
	v_cvt_f32_f16_e32 v25, v25
	v_mul_f32_e32 v25, v117, v25
	s_branch .LBB52_86
.LBB52_83:
	v_mov_b32_e32 v36, 0
	v_mov_b32_e32 v37, v36
	;; [unrolled: 1-line block ×3, first 2 shown]
	s_mov_b64 s[10:11], 0xd0
	scratch_store_dword off, v36, off
	scratch_store_dwordx3 off, v[36:38], off offset:4
	v_lshl_add_u64 v[26:27], v[26:27], 0, s[10:11]
	s_nop 0
	v_mov_b32_e32 v36, s17
	v_cndmask_b32_e32 v27, v36, v27, vcc
	v_mov_b32_e32 v36, 0
	v_cndmask_b32_e32 v26, v36, v26, vcc
	flat_load_dwordx4 v[36:39], v[26:27]
	s_waitcnt vmcnt(0) lgkmcnt(0)
	ds_write_b128 v33, v[36:39]
	s_or_b64 exec, exec, s[20:21]
	s_and_saveexec_b64 s[10:11], s[12:13]
	s_cbranch_execz .LBB52_78
.LBB52_84:
	v_mov_b32_e32 v36, 0
	v_mov_b32_e32 v127, v36
	v_lshl_add_u64 v[26:27], v[28:29], 0, v[126:127]
	s_mov_b64 s[12:13], 0xb0
	v_lshl_add_u64 v[26:27], v[26:27], 0, s[12:13]
	v_mov_b32_e32 v28, s17
	v_mov_b32_e32 v37, v36
	;; [unrolled: 1-line block ×3, first 2 shown]
	v_cndmask_b32_e64 v27, v28, v27, s[6:7]
	v_mov_b32_e32 v28, 0
	scratch_store_dword off, v36, off
	scratch_store_dwordx3 off, v[36:38], off offset:4
	v_cndmask_b32_e64 v26, v28, v26, s[6:7]
	flat_load_dwordx4 v[26:29], v[26:27]
	s_waitcnt vmcnt(0) lgkmcnt(0)
	ds_write_b128 v34, v[26:29]
	s_or_b64 exec, exec, s[10:11]
	s_and_saveexec_b64 s[10:11], s[14:15]
	s_cbranch_execnz .LBB52_79
	s_branch .LBB52_80
.LBB52_85:
	v_mov_b32_e32 v25, 0
.LBB52_86:
	v_add_f32_e32 v24, v24, v25
	v_add_f32_e32 v25, 0x40051340, v24
	v_max_f32_e32 v26, v10, v10
	v_max_f32_e32 v25, v26, v25
	v_mov_b64_e32 v[32:33], v[16:17]
	v_mov_b64_e32 v[30:31], v[14:15]
	;; [unrolled: 1-line block ×4, first 2 shown]
                                        ; kill: def $vgpr26 killed $vgpr25 killed $exec
.LBB52_87:
	s_or_b64 exec, exec, s[14:15]
	v_mbcnt_hi_u32_b32 v138, -1, v189
	v_and_b32_e32 v26, 0x60, v138
	v_add_u32_e32 v139, 32, v26
	v_xor_b32_e32 v141, 16, v138
	v_cmp_lt_i32_e32 vcc, v141, v139
	v_xor_b32_e32 v144, 8, v138
	v_xor_b32_e32 v142, 4, v138
	v_cndmask_b32_e32 v26, v138, v141, vcc
	v_lshlrev_b32_e32 v35, 2, v26
	ds_bpermute_b32 v26, v35, v25
	v_cmp_lt_i32_e32 vcc, v144, v139
	v_max_f32_e32 v25, v25, v25
	v_xor_b32_e32 v143, 2, v138
	v_cndmask_b32_e32 v36, v138, v144, vcc
	s_waitcnt lgkmcnt(0)
	v_max_f32_e32 v26, v26, v26
	v_lshlrev_b32_e32 v38, 2, v36
	v_max_f32_e32 v25, v25, v26
	ds_bpermute_b32 v26, v38, v25
	v_cmp_lt_i32_e32 vcc, v142, v139
	v_xor_b32_e32 v140, 1, v138
	s_waitcnt lgkmcnt(0)
	v_max_f32_e32 v26, v26, v26
	v_cndmask_b32_e32 v36, v138, v142, vcc
	v_lshlrev_b32_e32 v37, 2, v36
	v_max_f32_e32 v25, v25, v26
	ds_bpermute_b32 v26, v37, v25
	v_cmp_lt_i32_e32 vcc, v143, v139
	s_waitcnt lgkmcnt(0)
	v_max_f32_e32 v26, v26, v26
	v_cndmask_b32_e32 v36, v138, v143, vcc
	v_lshlrev_b32_e32 v36, 2, v36
	v_max_f32_e32 v26, v25, v26
	ds_bpermute_b32 v39, v36, v26
	v_cmp_lt_i32_e32 vcc, v140, v139
	s_waitcnt lgkmcnt(0)
	v_max_f32_e32 v39, v39, v39
	v_cndmask_b32_e32 v25, v138, v140, vcc
	v_lshlrev_b32_e32 v25, 2, v25
	v_max_f32_e32 v26, v26, v39
	ds_bpermute_b32 v39, v25, v26
	s_waitcnt lgkmcnt(0)
	v_max_f32_e32 v39, v39, v39
	v_max_f32_e32 v26, v26, v39
	s_and_saveexec_b64 s[14:15], s[10:11]
	s_cbranch_execz .LBB52_92
; %bb.88:
	s_and_b64 vcc, exec, s[12:13]
	s_cbranch_vccnz .LBB52_90
; %bb.89:
	v_or_b32_e32 v39, 1, v171
	v_mul_hi_u32 v40, s60, v39
	v_add_u32_e32 v40, v39, v40
	v_lshrrev_b32_e32 v40, s61, v40
	v_mul_lo_u32 v40, v40, s62
	v_sub_u32_e32 v39, v39, v40
	v_mad_u64_u32 v[40:41], s[16:17], v39, s75, v[34:35]
	v_ashrrev_i32_e32 v41, 31, v40
	v_lshl_add_u64 v[40:41], v[40:41], 1, s[66:67]
	flat_load_ushort v39, v[40:41]
	s_waitcnt vmcnt(0) lgkmcnt(0)
	v_cvt_f32_f16_e32 v39, v39
	v_mul_f32_e32 v39, v117, v39
	s_branch .LBB52_91
.LBB52_90:
	v_mov_b32_e32 v39, 0
.LBB52_91:
	v_add_f32_e32 v1, v1, v39
	v_add_f32_e32 v39, 0x40051340, v1
	v_max_f32_e32 v27, v27, v27
	v_max_f32_e32 v27, v27, v39
.LBB52_92:
	s_or_b64 exec, exec, s[14:15]
	ds_bpermute_b32 v39, v35, v27
	v_max_f32_e32 v27, v27, v27
	s_waitcnt lgkmcnt(0)
	v_max_f32_e32 v39, v39, v39
	v_max_f32_e32 v27, v27, v39
	ds_bpermute_b32 v39, v38, v27
	s_waitcnt lgkmcnt(0)
	v_max_f32_e32 v39, v39, v39
	v_max_f32_e32 v27, v27, v39
	ds_bpermute_b32 v39, v37, v27
	s_waitcnt lgkmcnt(0)
	v_max_f32_e32 v39, v39, v39
	v_max_f32_e32 v27, v27, v39
	ds_bpermute_b32 v39, v36, v27
	s_waitcnt lgkmcnt(0)
	v_max_f32_e32 v39, v39, v39
	v_max_f32_e32 v27, v27, v39
	ds_bpermute_b32 v39, v25, v27
	s_waitcnt lgkmcnt(0)
	v_max_f32_e32 v39, v39, v39
	v_max_f32_e32 v27, v27, v39
	s_and_saveexec_b64 s[14:15], s[10:11]
	s_cbranch_execz .LBB52_97
; %bb.93:
	s_and_b64 vcc, exec, s[12:13]
	s_cbranch_vccnz .LBB52_95
; %bb.94:
	v_or_b32_e32 v39, 2, v171
	v_mul_hi_u32 v40, s60, v39
	v_add_u32_e32 v40, v39, v40
	v_lshrrev_b32_e32 v40, s61, v40
	v_mul_lo_u32 v40, v40, s62
	v_sub_u32_e32 v39, v39, v40
	v_mad_u64_u32 v[40:41], s[16:17], v39, s75, v[34:35]
	v_ashrrev_i32_e32 v41, 31, v40
	v_lshl_add_u64 v[40:41], v[40:41], 1, s[66:67]
	flat_load_ushort v39, v[40:41]
	s_waitcnt vmcnt(0) lgkmcnt(0)
	v_cvt_f32_f16_e32 v39, v39
	v_mul_f32_e32 v39, v117, v39
	s_branch .LBB52_96
.LBB52_95:
	v_mov_b32_e32 v39, 0
.LBB52_96:
	v_add_f32_e32 v22, v22, v39
	v_add_f32_e32 v39, 0x40051340, v22
	v_max_f32_e32 v28, v28, v28
	v_max_f32_e32 v28, v28, v39
.LBB52_97:
	s_or_b64 exec, exec, s[14:15]
	ds_bpermute_b32 v39, v35, v28
	v_max_f32_e32 v28, v28, v28
	s_waitcnt lgkmcnt(0)
	v_max_f32_e32 v39, v39, v39
	v_max_f32_e32 v28, v28, v39
	ds_bpermute_b32 v39, v38, v28
	s_waitcnt lgkmcnt(0)
	v_max_f32_e32 v39, v39, v39
	v_max_f32_e32 v28, v28, v39
	ds_bpermute_b32 v39, v37, v28
	s_waitcnt lgkmcnt(0)
	v_max_f32_e32 v39, v39, v39
	v_max_f32_e32 v28, v28, v39
	ds_bpermute_b32 v39, v36, v28
	s_waitcnt lgkmcnt(0)
	v_max_f32_e32 v39, v39, v39
	;; [unrolled: 50-line block ×6, first 2 shown]
	v_max_f32_e32 v32, v32, v39
	ds_bpermute_b32 v39, v25, v32
	s_waitcnt lgkmcnt(0)
	v_max_f32_e32 v39, v39, v39
	v_max_f32_e32 v32, v32, v39
	s_and_saveexec_b64 s[14:15], s[10:11]
	s_cbranch_execz .LBB52_122
; %bb.118:
	s_and_b64 vcc, exec, s[12:13]
	s_cbranch_vccnz .LBB52_120
; %bb.119:
	v_or_b32_e32 v39, 7, v171
	v_mul_hi_u32 v40, s60, v39
	v_add_u32_e32 v40, v39, v40
	v_lshrrev_b32_e32 v40, s61, v40
	v_mul_lo_u32 v40, v40, s62
	v_sub_u32_e32 v39, v39, v40
	v_mad_u64_u32 v[40:41], s[10:11], v39, s75, v[34:35]
	v_ashrrev_i32_e32 v41, 31, v40
	v_lshl_add_u64 v[40:41], v[40:41], 1, s[66:67]
	flat_load_ushort v34, v[40:41]
	s_waitcnt vmcnt(0) lgkmcnt(0)
	v_cvt_f32_f16_e32 v34, v34
	v_mul_f32_e32 v34, v117, v34
	s_branch .LBB52_121
.LBB52_120:
	v_mov_b32_e32 v34, 0
.LBB52_121:
	v_add_f32_e32 v19, v19, v34
	v_add_f32_e32 v34, 0x40051340, v19
	v_max_f32_e32 v33, v33, v33
	v_max_f32_e32 v33, v33, v34
.LBB52_122:
	s_or_b64 exec, exec, s[14:15]
	ds_bpermute_b32 v34, v35, v33
	v_bfe_u32 v42, v0, 20, 10
	v_max_f32_e32 v0, v33, v33
	s_mov_b32 s12, 0x3fb8aa3b
	s_mov_b32 s13, 0xc2ce8ed0
	s_waitcnt lgkmcnt(0)
	v_max_f32_e32 v33, v34, v34
	v_max_f32_e32 v0, v0, v33
	ds_bpermute_b32 v33, v38, v0
	v_sub_f32_e32 v34, v24, v26
	v_cmp_ngt_f32_e32 vcc, s13, v34
	s_mov_b32 s14, 0x42b17218
	v_sub_f32_e32 v1, v1, v27
	s_waitcnt lgkmcnt(0)
	v_max_f32_e32 v24, v33, v33
	v_max_f32_e32 v0, v0, v24
	ds_bpermute_b32 v24, v37, v0
	v_mul_f32_e32 v33, 0x3fb8aa3b, v34
	v_fma_f32 v35, v34, s12, -v33
	v_rndne_f32_e32 v37, v33
	v_fmac_f32_e32 v35, 0x32a5705f, v34
	s_waitcnt lgkmcnt(0)
	v_max_f32_e32 v24, v24, v24
	v_max_f32_e32 v0, v0, v24
	ds_bpermute_b32 v24, v36, v0
	v_sub_f32_e32 v33, v33, v37
	v_add_f32_e32 v33, v33, v35
	v_cvt_i32_f32_e32 v36, v37
	v_exp_f32_e32 v33, v33
	s_waitcnt lgkmcnt(0)
	v_max_f32_e32 v24, v24, v24
	v_max_f32_e32 v0, v0, v24
	ds_bpermute_b32 v25, v25, v0
	v_ldexp_f32 v35, v33, v36
	v_sub_f32_e32 v22, v22, v28
	v_sub_f32_e32 v23, v23, v29
	;; [unrolled: 1-line block ×3, first 2 shown]
	s_waitcnt lgkmcnt(0)
	v_max_f32_e32 v25, v25, v25
	v_max_f32_e32 v33, v0, v25
	v_cndmask_b32_e32 v0, 0, v35, vcc
	v_cmp_nlt_f32_e32 vcc, s14, v34
	v_mul_f32_e32 v34, 0x3fb8aa3b, v1
	v_fma_f32 v35, v1, s12, -v34
	v_rndne_f32_e32 v36, v34
	v_fmac_f32_e32 v35, 0x32a5705f, v1
	v_sub_f32_e32 v34, v34, v36
	v_add_f32_e32 v34, v34, v35
	v_exp_f32_e32 v35, v34
	v_cvt_i32_f32_e32 v36, v36
	v_sub_f32_e32 v21, v21, v31
	s_load_dwordx2 s[10:11], s[0:1], 0x4
	v_cmp_ngt_f32_e64 s[0:1], s13, v1
	v_ldexp_f32 v35, v35, v36
	v_mul_f32_e32 v36, 0x3fb8aa3b, v22
	v_fma_f32 v37, v22, s12, -v36
	v_rndne_f32_e32 v38, v36
	v_fmac_f32_e32 v37, 0x32a5705f, v22
	v_sub_f32_e32 v36, v36, v38
	v_add_f32_e32 v36, v36, v37
	v_exp_f32_e32 v36, v36
	v_cvt_i32_f32_e32 v37, v38
	v_mov_b32_e32 v25, 0x7f800000
	v_cndmask_b32_e64 v35, 0, v35, s[0:1]
	v_cmp_nlt_f32_e64 s[0:1], s14, v1
	v_ldexp_f32 v36, v36, v37
	v_mul_f32_e32 v37, 0x3fb8aa3b, v23
	v_fma_f32 v38, v23, s12, -v37
	v_rndne_f32_e32 v39, v37
	v_fmac_f32_e32 v38, 0x32a5705f, v23
	v_sub_f32_e32 v37, v37, v39
	v_add_f32_e32 v37, v37, v38
	v_exp_f32_e32 v37, v37
	v_cvt_i32_f32_e32 v38, v39
	v_cndmask_b32_e64 v1, v25, v35, s[0:1]
	v_cmp_ngt_f32_e64 s[0:1], s13, v22
	v_sub_f32_e32 v18, v18, v32
	v_ldexp_f32 v37, v37, v38
	v_mul_f32_e32 v38, 0x3fb8aa3b, v20
	v_fma_f32 v39, v20, s12, -v38
	v_rndne_f32_e32 v40, v38
	v_fmac_f32_e32 v39, 0x32a5705f, v20
	v_sub_f32_e32 v38, v38, v40
	v_add_f32_e32 v38, v38, v39
	v_exp_f32_e32 v38, v38
	v_cvt_i32_f32_e32 v39, v40
	v_cndmask_b32_e64 v36, 0, v36, s[0:1]
	v_cmp_nlt_f32_e64 s[0:1], s14, v22
	v_cndmask_b32_e32 v0, v25, v0, vcc
	v_ldexp_f32 v38, v38, v39
	v_mul_f32_e32 v39, 0x3fb8aa3b, v21
	v_fma_f32 v40, v21, s12, -v39
	v_rndne_f32_e32 v41, v39
	v_fmac_f32_e32 v40, 0x32a5705f, v21
	v_sub_f32_e32 v39, v39, v41
	v_add_f32_e32 v39, v39, v40
	v_exp_f32_e32 v39, v39
	v_cvt_i32_f32_e32 v40, v41
	v_cndmask_b32_e64 v22, v25, v36, s[0:1]
	v_cmp_ngt_f32_e64 s[0:1], s13, v23
	v_cmp_gt_u32_e32 vcc, s48, v167
	v_ldexp_f32 v39, v39, v40
	v_mul_f32_e32 v40, 0x3fb8aa3b, v18
	v_fma_f32 v41, v18, s12, -v40
	v_rndne_f32_e32 v43, v40
	v_cndmask_b32_e64 v37, 0, v37, s[0:1]
	v_cmp_nlt_f32_e64 s[0:1], s14, v23
	v_fmac_f32_e32 v41, 0x32a5705f, v18
	v_sub_f32_e32 v40, v40, v43
	v_cndmask_b32_e64 v23, v25, v37, s[0:1]
	v_cmp_ngt_f32_e64 s[0:1], s13, v20
	v_add_f32_e32 v40, v40, v41
	v_exp_f32_e32 v40, v40
	v_cndmask_b32_e64 v38, 0, v38, s[0:1]
	v_cmp_nlt_f32_e64 s[0:1], s14, v20
	v_cvt_i32_f32_e32 v41, v43
	v_sub_f32_e32 v19, v19, v33
	v_cndmask_b32_e64 v20, v25, v38, s[0:1]
	v_cmp_ngt_f32_e64 s[0:1], s13, v21
	v_cndmask_b32_e32 v34, 0, v0, vcc
	v_cndmask_b32_e32 v35, 0, v1, vcc
	v_cndmask_b32_e64 v39, 0, v39, s[0:1]
	v_cmp_nlt_f32_e64 s[0:1], s14, v21
	v_cvt_f16_f32_e32 v0, v34
	v_cvt_f16_f32_e32 v1, v35
	v_cndmask_b32_e64 v21, v25, v39, s[0:1]
	v_cndmask_b32_e32 v39, 0, v21, vcc
	v_ldexp_f32 v21, v40, v41
	v_mul_f32_e32 v40, 0x3fb8aa3b, v19
	v_fma_f32 v41, v19, s12, -v40
	v_rndne_f32_e32 v44, v40
	v_fmac_f32_e32 v41, 0x32a5705f, v19
	v_sub_f32_e32 v40, v40, v44
	v_add_f32_e32 v40, v40, v41
	v_exp_f32_e32 v41, v40
	v_cvt_i32_f32_e32 v44, v44
	v_cmp_ngt_f32_e64 s[0:1], s13, v18
	v_cndmask_b32_e32 v36, 0, v22, vcc
	v_cndmask_b32_e32 v37, 0, v23, vcc
	v_cndmask_b32_e64 v21, 0, v21, s[0:1]
	v_cmp_nlt_f32_e64 s[0:1], s14, v18
	v_cndmask_b32_e32 v38, 0, v20, vcc
	v_cvt_f16_f32_e32 v22, v36
	v_cndmask_b32_e64 v18, v25, v21, s[0:1]
	v_ldexp_f32 v21, v41, v44
	v_cmp_ngt_f32_e64 s[0:1], s13, v19
	v_cndmask_b32_e32 v40, 0, v18, vcc
	v_cvt_f16_f32_e32 v18, v40
	v_cndmask_b32_e64 v21, 0, v21, s[0:1]
	v_cmp_nlt_f32_e64 s[0:1], s14, v19
	v_cvt_f16_f32_e32 v23, v37
	v_cvt_f16_f32_e32 v20, v38
	v_cndmask_b32_e64 v19, v25, v21, s[0:1]
	v_cndmask_b32_e32 v41, 0, v19, vcc
	v_cvt_f16_f32_e32 v19, v41
	v_cvt_f16_f32_e32 v43, v39
	v_mov_b32_e32 v21, 0x4840
	v_lshl_add_u32 v145, v115, 9, v21
	v_pack_b32_f16 v21, v18, v19
	v_pack_b32_f16 v18, v0, v1
	v_mul_u32_u24_e32 v0, 0xe0, v136
	v_lshl_or_b32 v0, v116, 2, v0
	s_mul_hi_i32 s1, s69, s4
	s_mul_i32 s0, s69, s4
	v_lshl_add_u32 v25, v167, 4, v145
	v_pack_b32_f16 v20, v20, v43
	v_pack_b32_f16 v19, v22, v23
	v_add_u32_e32 v146, 0x38c0, v0
	v_mul_lo_u32 v0, s4, v136
	s_lshl_b64 s[0:1], s[0:1], 2
	s_waitcnt lgkmcnt(0)
	s_barrier
	v_mul_u32_u24_e32 v24, s11, v115
	ds_write_b128 v25, v[18:21]
	v_cmp_gt_u32_e32 vcc, 16, v136
	s_mov_b64 s[42:43], src_private_base
	v_ashrrev_i32_e32 v1, 31, v0
	v_lshl_add_u64 v[18:19], v[124:125], 0, s[0:1]
	s_and_saveexec_b64 s[0:1], vcc
	s_cbranch_execz .LBB52_124
; %bb.123:
	v_mov_b32_e32 v20, 0
	v_mov_b32_e32 v21, v20
	;; [unrolled: 1-line block ×3, first 2 shown]
	scratch_store_dwordx3 off, v[20:22], off offset:4
	v_mov_b32_e32 v127, v20
	scratch_store_dword off, v20, off
	v_lshl_add_u64 v[22:23], v[0:1], 2, v[18:19]
	v_lshl_add_u64 v[20:21], v[22:23], 0, v[126:127]
	s_mov_b64 s[12:13], 0xc0
	v_lshl_add_u64 v[20:21], v[20:21], 0, s[12:13]
	v_mov_b32_e32 v22, s43
	v_cndmask_b32_e64 v21, v22, v21, s[6:7]
	v_mov_b32_e32 v22, 0
	v_cndmask_b32_e64 v20, v22, v20, s[6:7]
	flat_load_dwordx4 v[20:23], v[20:21]
	s_waitcnt vmcnt(0) lgkmcnt(0)
	ds_write_b128 v146, v[20:23]
.LBB52_124:
	s_or_b64 exec, exec, s[0:1]
	s_lshr_b32 s0, s10, 16
	s_mul_i32 s0, s0, s11
	v_mul_lo_u32 v20, s0, v167
	v_add3_u32 v20, v20, v24, v42
	v_mov_b32_e32 v21, 0x5840
	v_lshl_add_u32 v147, v20, 4, v21
	v_mul_u32_u24_e32 v21, 0xe0, v137
	s_movk_i32 s6, 0x3880
	v_mul_lo_u32 v132, s4, v137
	v_cmp_gt_u32_e64 s[0:1], 16, v137
	s_mov_b64 s[44:45], src_shared_base
	v_add3_u32 v148, v21, v128, s6
	v_ashrrev_i32_e32 v133, 31, v132
	s_and_saveexec_b64 s[6:7], s[0:1]
	s_cbranch_execz .LBB52_126
; %bb.125:
	v_mov_b32_e32 v129, 0
	v_lshl_add_u64 v[22:23], v[132:133], 2, v[18:19]
	v_lshl_add_u64 v[22:23], v[22:23], 0, v[128:129]
	s_mov_b64 s[10:11], 0x80
	v_lshl_add_u64 v[22:23], v[22:23], 0, s[10:11]
	v_mov_b32_e32 v21, s45
	ds_write2_b32 v147, v129, v129 offset0:1 offset1:2
	ds_write2_b32 v147, v129, v129 offset1:3
	v_cndmask_b32_e64 v23, v21, v23, s[8:9]
	v_cndmask_b32_e64 v22, v147, v22, s[8:9]
	flat_load_dwordx4 v[22:25], v[22:23]
	s_waitcnt vmcnt(0) lgkmcnt(0)
	ds_write_b128 v148, v[22:25]
.LBB52_126:
	s_or_b64 exec, exec, s[6:7]
	v_mov_b32_e32 v21, 0x6840
	v_lshl_add_u32 v150, v115, 2, v119
	v_lshl_add_u32 v149, v20, 4, v21
	v_mul_u32_u24_e32 v20, 0xe0, v150
	v_lshlrev_b32_e32 v130, 2, v114
	s_movk_i32 s8, 0x3800
	v_mul_lo_u32 v134, s4, v150
	v_cmp_gt_u32_e64 s[6:7], 16, v150
	s_mov_b64 s[46:47], src_shared_base
	v_mov_b32_e32 v131, 0
	v_add3_u32 v151, v20, v130, s8
	v_ashrrev_i32_e32 v135, 31, v134
	s_and_saveexec_b64 s[10:11], s[6:7]
	s_cbranch_execz .LBB52_128
; %bb.127:
	v_lshl_add_u64 v[18:19], v[134:135], 2, v[18:19]
	v_lshl_add_u64 v[18:19], v[18:19], 0, v[130:131]
	v_mov_b32_e32 v20, s47
	v_cmp_gt_i32_e64 s[8:9], s48, v150
	ds_write2_b32 v149, v131, v131 offset0:1 offset1:2
	ds_write2_b32 v149, v131, v131 offset1:3
	v_cndmask_b32_e64 v19, v20, v19, s[8:9]
	v_cndmask_b32_e64 v18, v149, v18, s[8:9]
	flat_load_dwordx4 v[18:21], v[18:19]
	s_waitcnt vmcnt(0) lgkmcnt(0)
	ds_write_b128 v151, v[18:21]
.LBB52_128:
	s_or_b64 exec, exec, s[10:11]
	v_sub_f32_e32 v10, v10, v26
	s_mov_b32 s28, 0x3fb8aa3b
	v_mul_f32_e32 v18, 0x3fb8aa3b, v10
	v_fma_f32 v19, v10, s28, -v18
	v_rndne_f32_e32 v20, v18
	v_fmac_f32_e32 v19, 0x32a5705f, v10
	v_sub_f32_e32 v18, v18, v20
	v_add_f32_e32 v18, v18, v19
	v_exp_f32_e32 v18, v18
	v_cvt_i32_f32_e32 v19, v20
	v_sub_f32_e32 v11, v11, v27
	s_mov_b32 s30, 0xc2ce8ed0
	s_mov_b32 s31, 0x42b17218
	v_ldexp_f32 v129, v18, v19
	v_mul_f32_e32 v18, 0x3fb8aa3b, v11
	v_fma_f32 v19, v11, s28, -v18
	v_rndne_f32_e32 v20, v18
	v_fmac_f32_e32 v19, 0x32a5705f, v11
	v_sub_f32_e32 v18, v18, v20
	v_add_f32_e32 v18, v18, v19
	v_exp_f32_e32 v18, v18
	v_cvt_i32_f32_e32 v19, v20
	v_cmp_ngt_f32_e64 s[16:17], s30, v10
	v_cmp_nlt_f32_e64 s[8:9], s31, v10
	v_sub_f32_e32 v10, v12, v28
	v_cmp_ngt_f32_e64 s[18:19], s30, v11
	v_cmp_nlt_f32_e64 s[10:11], s31, v11
	v_mul_f32_e32 v11, 0x3fb8aa3b, v10
	v_ldexp_f32 v131, v18, v19
	v_fma_f32 v12, v10, s28, -v11
	v_rndne_f32_e32 v18, v11
	v_fmac_f32_e32 v12, 0x32a5705f, v10
	v_sub_f32_e32 v11, v11, v18
	v_add_f32_e32 v11, v11, v12
	v_exp_f32_e32 v11, v11
	v_cvt_i32_f32_e32 v12, v18
	v_sub_f32_e32 v13, v13, v29
	v_mul_f32_e32 v18, 0x3fb8aa3b, v13
	v_fma_f32 v19, v13, s28, -v18
	v_rndne_f32_e32 v20, v18
	v_fmac_f32_e32 v19, 0x32a5705f, v13
	v_sub_f32_e32 v18, v18, v20
	v_cmp_ngt_f32_e64 s[24:25], s30, v10
	v_cmp_nlt_f32_e64 s[12:13], s31, v10
	v_sub_f32_e32 v10, v14, v30
	v_add_f32_e32 v18, v18, v19
	v_ldexp_f32 v152, v11, v12
	v_mul_f32_e32 v11, 0x3fb8aa3b, v10
	v_exp_f32_e32 v18, v18
	v_cvt_i32_f32_e32 v19, v20
	v_cmp_ngt_f32_e64 s[26:27], s30, v13
	v_cmp_nlt_f32_e64 s[14:15], s31, v13
	v_fma_f32 v12, v10, s28, -v11
	v_rndne_f32_e32 v13, v11
	v_fmac_f32_e32 v12, 0x32a5705f, v10
	v_sub_f32_e32 v11, v11, v13
	v_add_f32_e32 v11, v11, v12
	v_cvt_i32_f32_e32 v12, v13
	v_sub_f32_e32 v13, v15, v31
	v_exp_f32_e32 v11, v11
	v_mul_f32_e32 v14, 0x3fb8aa3b, v13
	v_ldexp_f32 v153, v18, v19
	v_fma_f32 v15, v13, s28, -v14
	v_rndne_f32_e32 v18, v14
	v_fmac_f32_e32 v15, 0x32a5705f, v13
	v_sub_f32_e32 v14, v14, v18
	v_add_f32_e32 v14, v14, v15
	v_cmp_ngt_f32_e64 s[34:35], s30, v10
	v_cmp_nlt_f32_e64 s[20:21], s31, v10
	v_sub_f32_e32 v10, v16, v32
	v_exp_f32_e32 v14, v14
	v_cvt_i32_f32_e32 v15, v18
	v_ldexp_f32 v154, v11, v12
	v_mul_f32_e32 v11, 0x3fb8aa3b, v10
	v_cmp_ngt_f32_e64 s[36:37], s30, v13
	v_cmp_nlt_f32_e64 s[22:23], s31, v13
	v_fma_f32 v12, v10, s28, -v11
	v_rndne_f32_e32 v13, v11
	v_fmac_f32_e32 v12, 0x32a5705f, v10
	v_sub_f32_e32 v11, v11, v13
	v_add_f32_e32 v11, v11, v12
	v_cvt_i32_f32_e32 v12, v13
	v_sub_f32_e32 v13, v17, v33
	v_ldexp_f32 v155, v14, v15
	v_mul_f32_e32 v14, 0x3fb8aa3b, v13
	v_fma_f32 v15, v13, s28, -v14
	v_rndne_f32_e32 v16, v14
	v_cmp_ngt_f32_e64 s[38:39], s30, v10
	v_cmp_nlt_f32_e64 s[28:29], s31, v10
	v_add_u32_e32 v10, 0x3800, v176
	v_fmac_f32_e32 v15, 0x32a5705f, v13
	v_sub_f32_e32 v14, v14, v16
	s_waitcnt lgkmcnt(0)
	s_barrier
	ds_read2_b64 v[110:113], v10 offset1:28
	ds_read_b128 v[118:121], v145
	ds_read_b128 v[114:117], v145 offset:16
	ds_read_b128 v[106:109], v145 offset:32
	;; [unrolled: 1-line block ×3, first 2 shown]
	ds_read2_b64 v[102:105], v10 offset0:56 offset1:84
	ds_read2_b64 v[86:89], v10 offset0:112 offset1:140
	ds_read_b128 v[94:97], v145 offset:64
	ds_read_b128 v[90:93], v145 offset:80
	ds_read2_b64 v[74:77], v10 offset0:168 offset1:196
	ds_read_b128 v[82:85], v145 offset:96
	ds_read_b128 v[78:81], v145 offset:112
	;; [unrolled: 3-line block ×3, first 2 shown]
	v_add_f32_e32 v14, v14, v15
	v_exp_f32_e32 v11, v11
	v_exp_f32_e32 v14, v14
	v_cvt_i32_f32_e32 v15, v16
	v_add_u32_e32 v10, 0x4000, v176
	v_ldexp_f32 v156, v11, v12
	v_cmp_ngt_f32_e64 s[40:41], s30, v13
	v_ldexp_f32 v157, v14, v15
	v_cmp_nlt_f32_e64 s[30:31], s31, v13
	ds_read2_b64 v[50:53], v10 offset0:24 offset1:52
	ds_read_b128 v[58:61], v145 offset:160
	ds_read_b128 v[54:57], v145 offset:176
	ds_read2_b64 v[22:25], v10 offset0:80 offset1:108
	ds_read_b128 v[46:49], v145 offset:192
	ds_read_b128 v[42:45], v145 offset:208
	;; [unrolled: 3-line block ×3, first 2 shown]
	s_or_b32 s42, s69, 16
	s_mul_hi_i32 s55, s42, s4
	s_mul_i32 s54, s42, s4
	s_lshl_b64 s[54:55], s[54:55], 2
	v_lshl_add_u64 v[124:125], v[124:125], 0, s[54:55]
	s_add_i32 s4, s48, -16
	s_waitcnt lgkmcnt(0)
	s_barrier
	s_and_saveexec_b64 s[48:49], vcc
	s_cbranch_execz .LBB52_130
; %bb.129:
	v_mov_b32_e32 v158, 0
	v_lshl_add_u64 v[0:1], v[0:1], 2, v[124:125]
	v_mov_b32_e32 v127, v158
	v_lshl_add_u64 v[0:1], v[0:1], 0, v[126:127]
	s_mov_b64 s[54:55], 0xc0
	v_lshl_add_u64 v[0:1], v[0:1], 0, s[54:55]
	v_mov_b32_e32 v126, s43
	v_cmp_gt_i32_e32 vcc, s4, v136
	v_mov_b32_e32 v159, v158
	v_mov_b32_e32 v160, v158
	v_cndmask_b32_e32 v1, v126, v1, vcc
	v_mov_b32_e32 v126, 0
	scratch_store_dword off, v158, off
	scratch_store_dwordx3 off, v[158:160], off offset:4
	v_cndmask_b32_e32 v0, v126, v0, vcc
	flat_load_dwordx4 v[158:161], v[0:1]
	s_waitcnt vmcnt(0) lgkmcnt(0)
	ds_write_b128 v146, v[158:161]
.LBB52_130:
	s_or_b64 exec, exec, s[48:49]
	v_cndmask_b32_e64 v1, 0, v129, s[16:17]
	v_mov_b32_e32 v0, 0x7f800000
	v_cndmask_b32_e64 v126, 0, v131, s[18:19]
	v_cndmask_b32_e64 v127, 0, v152, s[24:25]
	v_cndmask_b32_e64 v131, 0, v153, s[26:27]
	v_cndmask_b32_e64 v136, 0, v154, s[34:35]
	v_cndmask_b32_e64 v146, 0, v155, s[36:37]
	v_cndmask_b32_e64 v152, 0, v156, s[38:39]
	v_cndmask_b32_e64 v153, 0, v157, s[40:41]
	s_and_saveexec_b64 s[16:17], s[0:1]
	s_cbranch_execz .LBB52_132
; %bb.131:
	v_mov_b32_e32 v129, 0
	v_lshl_add_u64 v[132:133], v[132:133], 2, v[124:125]
	ds_write2_b32 v147, v129, v129 offset0:1 offset1:2
	ds_write2_b32 v147, v129, v129 offset1:3
	v_lshl_add_u64 v[128:129], v[132:133], 0, v[128:129]
	s_mov_b64 s[0:1], 0x80
	v_lshl_add_u64 v[128:129], v[128:129], 0, s[0:1]
	v_mov_b32_e32 v132, s45
	v_cmp_gt_i32_e32 vcc, s4, v137
	s_nop 1
	v_cndmask_b32_e32 v129, v132, v129, vcc
	v_cndmask_b32_e32 v128, v147, v128, vcc
	flat_load_dwordx4 v[154:157], v[128:129]
	s_waitcnt vmcnt(0) lgkmcnt(0)
	ds_write_b128 v148, v[154:157]
.LBB52_132:
	s_or_b64 exec, exec, s[16:17]
	v_cndmask_b32_e64 v133, v0, v1, s[8:9]
	v_cndmask_b32_e64 v132, v0, v126, s[10:11]
	;; [unrolled: 1-line block ×8, first 2 shown]
	s_and_saveexec_b64 s[0:1], s[6:7]
	s_cbranch_execz .LBB52_134
; %bb.133:
	v_mov_b32_e32 v131, 0
	v_lshl_add_u64 v[124:125], v[134:135], 2, v[124:125]
	v_lshl_add_u64 v[124:125], v[124:125], 0, v[130:131]
	v_mov_b32_e32 v130, s47
	v_cmp_gt_i32_e32 vcc, s4, v150
	ds_write2_b32 v149, v131, v131 offset0:1 offset1:2
	ds_write2_b32 v149, v131, v131 offset1:3
	v_cndmask_b32_e32 v125, v130, v125, vcc
	v_cndmask_b32_e32 v124, v149, v124, vcc
	flat_load_dwordx4 v[134:137], v[124:125]
	s_waitcnt vmcnt(0) lgkmcnt(0)
	ds_write_b128 v151, v[134:137]
.LBB52_134:
	s_or_b64 exec, exec, s[0:1]
	v_cvt_f16_f32_e32 v124, v133
	v_cvt_f16_f32_e32 v125, v132
	;; [unrolled: 1-line block ×8, first 2 shown]
	v_pk_mul_f16 v131, v124, v187 op_sel_hi:[0,1]
	v_pk_mul_f16 v124, v124, v188 op_sel_hi:[0,1]
	;; [unrolled: 1-line block ×16, first 2 shown]
	v_pk_fma_f16 v131, v110, v118, v131 op_sel_hi:[1,0,1]
	v_pk_fma_f16 v134, v110, v118, v134 op_sel:[0,1,0]
	v_pk_fma_f16 v136, v110, v119, v136 op_sel_hi:[1,0,1]
	v_pk_fma_f16 v146, v110, v119, v146 op_sel:[0,1,0]
	;; [unrolled: 2-line block ×120, first 2 shown]
	v_add_u32_e32 v54, 0x3800, v176
	v_pk_fma_f16 v23, v12, v14, v25 op_sel_hi:[1,0,1]
	v_pk_fma_f16 v25, v12, v14, v45 op_sel:[0,1,0]
	v_pk_fma_f16 v44, v12, v15, v49 op_sel_hi:[1,0,1]
	v_pk_fma_f16 v45, v12, v15, v50 op_sel:[0,1,0]
	;; [unrolled: 2-line block ×8, first 2 shown]
	v_fmac_f32_e32 v34, v2, v133
	v_fmac_f32_e32 v35, v3, v132
	;; [unrolled: 1-line block ×4, first 2 shown]
	s_waitcnt lgkmcnt(0)
	s_barrier
	ds_read2_b64 v[2:5], v54 offset1:28
	ds_read_b128 v[10:13], v145 offset:256
	v_fmac_f32_e32 v38, v6, v127
	v_fmac_f32_e32 v39, v7, v126
	v_fmac_f32_e32 v40, v8, v1
	v_fmac_f32_e32 v41, v9, v0
	ds_read_b128 v[6:9], v145 offset:272
	ds_read_b128 v[14:17], v145 offset:288
	;; [unrolled: 1-line block ×3, first 2 shown]
	s_waitcnt lgkmcnt(3)
	v_pk_fma_f16 v0, v2, v10, v23 op_sel_hi:[1,0,1]
	v_pk_fma_f16 v1, v2, v10, v25 op_sel:[0,1,0]
	v_pk_fma_f16 v23, v2, v11, v44 op_sel_hi:[1,0,1]
	v_pk_fma_f16 v25, v2, v11, v45 op_sel:[0,1,0]
	;; [unrolled: 2-line block ×8, first 2 shown]
	s_waitcnt lgkmcnt(2)
	v_pk_fma_f16 v47, v4, v6, v0 op_sel_hi:[1,0,1]
	v_pk_fma_f16 v48, v4, v6, v1 op_sel:[0,1,0]
	v_pk_fma_f16 v23, v4, v7, v23 op_sel_hi:[1,0,1]
	v_pk_fma_f16 v25, v4, v7, v25 op_sel:[0,1,0]
	;; [unrolled: 2-line block ×4, first 2 shown]
	ds_read2_b64 v[0:3], v54 offset0:56 offset1:84
	v_pk_fma_f16 v22, v5, v6, v22 op_sel_hi:[1,0,1]
	v_pk_fma_f16 v6, v5, v6, v10 op_sel:[0,1,0]
	v_pk_fma_f16 v10, v5, v7, v24 op_sel_hi:[1,0,1]
	v_pk_fma_f16 v7, v5, v7, v11 op_sel:[0,1,0]
	;; [unrolled: 2-line block ×4, first 2 shown]
	s_waitcnt lgkmcnt(0)
	v_pk_fma_f16 v9, v0, v14, v47 op_sel_hi:[1,0,1]
	v_pk_fma_f16 v13, v0, v14, v48 op_sel:[0,1,0]
	v_pk_fma_f16 v23, v0, v15, v23 op_sel_hi:[1,0,1]
	v_pk_fma_f16 v24, v0, v15, v25 op_sel:[0,1,0]
	v_pk_fma_f16 v25, v0, v16, v44 op_sel_hi:[1,0,1]
	v_pk_fma_f16 v42, v0, v16, v45 op_sel:[0,1,0]
	v_pk_fma_f16 v43, v0, v17, v46 op_sel_hi:[1,0,1]
	v_pk_fma_f16 v0, v0, v17, v4 op_sel:[0,1,0]
	v_pk_fma_f16 v4, v1, v14, v22 op_sel_hi:[1,0,1]
	v_pk_fma_f16 v6, v1, v14, v6 op_sel:[0,1,0]
	v_pk_fma_f16 v10, v1, v15, v10 op_sel_hi:[1,0,1]
	v_pk_fma_f16 v7, v1, v15, v7 op_sel:[0,1,0]
	v_pk_fma_f16 v11, v1, v16, v11 op_sel_hi:[1,0,1]
	v_pk_fma_f16 v14, v1, v16, v8 op_sel:[0,1,0]
	v_pk_fma_f16 v12, v1, v17, v12 op_sel_hi:[1,0,1]
	v_pk_fma_f16 v1, v1, v17, v5 op_sel:[0,1,0]
	v_pk_fma_f16 v15, v2, v18, v9 op_sel_hi:[1,0,1]
	v_pk_fma_f16 v13, v2, v18, v13 op_sel:[0,1,0]
	v_pk_fma_f16 v16, v2, v19, v23 op_sel_hi:[1,0,1]
	v_pk_fma_f16 v17, v2, v19, v24 op_sel:[0,1,0]
	v_pk_fma_f16 v23, v2, v20, v42 op_sel:[0,1,0]
	v_pk_fma_f16 v24, v2, v21, v43 op_sel_hi:[1,0,1]
	v_pk_fma_f16 v42, v3, v18, v4 op_sel_hi:[1,0,1]
	v_pk_fma_f16 v18, v3, v18, v6 op_sel:[0,1,0]
	v_pk_fma_f16 v43, v3, v19, v10 op_sel_hi:[1,0,1]
	v_pk_fma_f16 v19, v3, v19, v7 op_sel:[0,1,0]
	v_pk_fma_f16 v44, v3, v20, v11 op_sel_hi:[1,0,1]
	ds_read2_b64 v[4:7], v54 offset0:112 offset1:140
	ds_read_b128 v[8:11], v145 offset:320
	v_pk_fma_f16 v22, v2, v20, v25 op_sel_hi:[1,0,1]
	v_pk_fma_f16 v25, v2, v21, v0 op_sel:[0,1,0]
	v_pk_fma_f16 v14, v3, v20, v14 op_sel:[0,1,0]
	v_pk_fma_f16 v12, v3, v21, v12 op_sel_hi:[1,0,1]
	v_pk_fma_f16 v20, v3, v21, v1 op_sel:[0,1,0]
	ds_read_b128 v[0:3], v145 offset:336
	s_waitcnt lgkmcnt(1)
	v_pk_fma_f16 v15, v4, v8, v15 op_sel_hi:[1,0,1]
	v_pk_fma_f16 v13, v4, v8, v13 op_sel:[0,1,0]
	v_pk_fma_f16 v16, v4, v9, v16 op_sel_hi:[1,0,1]
	v_pk_fma_f16 v17, v4, v9, v17 op_sel:[0,1,0]
	;; [unrolled: 2-line block ×8, first 2 shown]
	s_waitcnt lgkmcnt(0)
	v_pk_fma_f16 v20, v6, v0, v15 op_sel_hi:[1,0,1]
	v_pk_fma_f16 v43, v6, v0, v13 op_sel:[0,1,0]
	v_pk_fma_f16 v16, v6, v1, v16 op_sel_hi:[1,0,1]
	v_pk_fma_f16 v17, v6, v1, v17 op_sel:[0,1,0]
	;; [unrolled: 2-line block ×5, first 2 shown]
	v_pk_fma_f16 v44, v7, v1, v9 op_sel:[0,1,0]
	ds_read2_b64 v[8:11], v54 offset0:168 offset1:196
	ds_read_b128 v[12:15], v145 offset:352
	v_pk_fma_f16 v18, v7, v1, v18 op_sel_hi:[1,0,1]
	v_pk_fma_f16 v19, v7, v2, v19 op_sel_hi:[1,0,1]
	v_pk_fma_f16 v25, v7, v2, v25 op_sel:[0,1,0]
	v_pk_fma_f16 v42, v7, v3, v42 op_sel_hi:[1,0,1]
	v_pk_fma_f16 v5, v7, v3, v5 op_sel:[0,1,0]
	ds_read_b128 v[0:3], v145 offset:368
	s_waitcnt lgkmcnt(1)
	v_pk_fma_f16 v7, v8, v12, v20 op_sel_hi:[1,0,1]
	v_pk_fma_f16 v20, v8, v12, v43 op_sel:[0,1,0]
	v_pk_fma_f16 v16, v8, v13, v16 op_sel_hi:[1,0,1]
	v_pk_fma_f16 v17, v8, v13, v17 op_sel:[0,1,0]
	;; [unrolled: 2-line block ×8, first 2 shown]
	s_waitcnt lgkmcnt(0)
	v_pk_fma_f16 v25, v10, v0, v7 op_sel_hi:[1,0,1]
	v_pk_fma_f16 v20, v10, v0, v20 op_sel:[0,1,0]
	v_pk_fma_f16 v16, v10, v1, v16 op_sel_hi:[1,0,1]
	v_pk_fma_f16 v17, v10, v1, v17 op_sel:[0,1,0]
	;; [unrolled: 2-line block ×4, first 2 shown]
	v_pk_fma_f16 v42, v11, v0, v6 op_sel_hi:[1,0,1]
	v_pk_fma_f16 v43, v11, v1, v12 op_sel_hi:[1,0,1]
	v_pk_fma_f16 v44, v11, v1, v13 op_sel:[0,1,0]
	ds_read2_b64 v[4:7], v54 offset0:224 offset1:252
	ds_read_b128 v[12:15], v145 offset:384
	v_pk_fma_f16 v8, v11, v0, v8 op_sel:[0,1,0]
	v_pk_fma_f16 v18, v11, v2, v18 op_sel_hi:[1,0,1]
	v_pk_fma_f16 v19, v11, v2, v19 op_sel:[0,1,0]
	v_pk_fma_f16 v24, v11, v3, v24 op_sel_hi:[1,0,1]
	v_pk_fma_f16 v9, v11, v3, v9 op_sel:[0,1,0]
	ds_read_b128 v[0:3], v145 offset:400
	s_waitcnt lgkmcnt(1)
	v_pk_fma_f16 v11, v4, v12, v25 op_sel_hi:[1,0,1]
	v_pk_fma_f16 v20, v4, v12, v20 op_sel:[0,1,0]
	v_pk_fma_f16 v16, v4, v13, v16 op_sel_hi:[1,0,1]
	v_pk_fma_f16 v17, v4, v13, v17 op_sel:[0,1,0]
	;; [unrolled: 2-line block ×6, first 2 shown]
	v_add_u32_e32 v45, 0x4000, v176
	v_pk_fma_f16 v18, v5, v14, v18 op_sel_hi:[1,0,1]
	v_pk_fma_f16 v19, v5, v14, v19 op_sel:[0,1,0]
	v_pk_fma_f16 v24, v5, v15, v24 op_sel_hi:[1,0,1]
	v_pk_fma_f16 v5, v5, v15, v9 op_sel:[0,1,0]
	s_waitcnt lgkmcnt(0)
	v_pk_fma_f16 v25, v6, v0, v11 op_sel_hi:[1,0,1]
	v_pk_fma_f16 v20, v6, v0, v20 op_sel:[0,1,0]
	v_pk_fma_f16 v16, v6, v1, v16 op_sel_hi:[1,0,1]
	v_pk_fma_f16 v17, v6, v1, v17 op_sel:[0,1,0]
	;; [unrolled: 2-line block ×6, first 2 shown]
	ds_read2_b64 v[8:11], v45 offset0:24 offset1:52
	ds_read_b128 v[12:15], v145 offset:416
	v_pk_fma_f16 v18, v7, v2, v18 op_sel_hi:[1,0,1]
	v_pk_fma_f16 v19, v7, v2, v19 op_sel:[0,1,0]
	v_pk_fma_f16 v24, v7, v3, v24 op_sel_hi:[1,0,1]
	v_pk_fma_f16 v5, v7, v3, v5 op_sel:[0,1,0]
	ds_read_b128 v[0:3], v145 offset:432
	s_waitcnt lgkmcnt(1)
	v_pk_fma_f16 v7, v8, v12, v25 op_sel_hi:[1,0,1]
	v_pk_fma_f16 v20, v8, v12, v20 op_sel:[0,1,0]
	v_pk_fma_f16 v16, v8, v13, v16 op_sel_hi:[1,0,1]
	v_pk_fma_f16 v17, v8, v13, v17 op_sel:[0,1,0]
	;; [unrolled: 2-line block ×8, first 2 shown]
	s_waitcnt lgkmcnt(0)
	v_pk_fma_f16 v25, v10, v0, v7 op_sel_hi:[1,0,1]
	v_pk_fma_f16 v20, v10, v0, v20 op_sel:[0,1,0]
	v_pk_fma_f16 v16, v10, v1, v16 op_sel_hi:[1,0,1]
	v_pk_fma_f16 v17, v10, v1, v17 op_sel:[0,1,0]
	;; [unrolled: 2-line block ×4, first 2 shown]
	v_pk_fma_f16 v42, v11, v0, v6 op_sel_hi:[1,0,1]
	v_pk_fma_f16 v43, v11, v1, v12 op_sel_hi:[1,0,1]
	v_pk_fma_f16 v44, v11, v1, v13 op_sel:[0,1,0]
	ds_read2_b64 v[4:7], v45 offset0:80 offset1:108
	ds_read_b128 v[12:15], v145 offset:448
	v_pk_fma_f16 v8, v11, v0, v8 op_sel:[0,1,0]
	v_pk_fma_f16 v18, v11, v2, v18 op_sel_hi:[1,0,1]
	v_pk_fma_f16 v19, v11, v2, v19 op_sel:[0,1,0]
	v_pk_fma_f16 v24, v11, v3, v24 op_sel_hi:[1,0,1]
	v_pk_fma_f16 v9, v11, v3, v9 op_sel:[0,1,0]
	ds_read_b128 v[0:3], v145 offset:464
	s_waitcnt lgkmcnt(1)
	v_pk_fma_f16 v11, v4, v12, v25 op_sel_hi:[1,0,1]
	v_pk_fma_f16 v20, v4, v12, v20 op_sel:[0,1,0]
	v_pk_fma_f16 v16, v4, v13, v16 op_sel_hi:[1,0,1]
	v_pk_fma_f16 v17, v4, v13, v17 op_sel:[0,1,0]
	v_pk_fma_f16 v21, v4, v14, v21 op_sel_hi:[1,0,1]
	v_pk_fma_f16 v22, v4, v14, v22 op_sel:[0,1,0]
	v_pk_fma_f16 v23, v4, v15, v23 op_sel_hi:[1,0,1]
	v_pk_fma_f16 v4, v4, v15, v10 op_sel:[0,1,0]
	v_pk_fma_f16 v10, v5, v12, v42 op_sel_hi:[1,0,1]
	v_pk_fma_f16 v8, v5, v12, v8 op_sel:[0,1,0]
	v_pk_fma_f16 v12, v5, v13, v43 op_sel_hi:[1,0,1]
	v_pk_fma_f16 v13, v5, v13, v44 op_sel:[0,1,0]
	v_pk_fma_f16 v18, v5, v14, v18 op_sel_hi:[1,0,1]
	v_pk_fma_f16 v19, v5, v14, v19 op_sel:[0,1,0]
	v_pk_fma_f16 v24, v5, v15, v24 op_sel_hi:[1,0,1]
	v_pk_fma_f16 v5, v5, v15, v9 op_sel:[0,1,0]
	s_waitcnt lgkmcnt(0)
	v_pk_fma_f16 v25, v6, v0, v11 op_sel_hi:[1,0,1]
	v_pk_fma_f16 v20, v6, v0, v20 op_sel:[0,1,0]
	v_pk_fma_f16 v16, v6, v1, v16 op_sel_hi:[1,0,1]
	v_pk_fma_f16 v17, v6, v1, v17 op_sel:[0,1,0]
	;; [unrolled: 2-line block ×6, first 2 shown]
	ds_read2_b64 v[8:11], v45 offset0:136 offset1:164
	ds_read_b128 v[12:15], v145 offset:480
	v_pk_fma_f16 v18, v7, v2, v18 op_sel_hi:[1,0,1]
	v_pk_fma_f16 v19, v7, v2, v19 op_sel:[0,1,0]
	v_pk_fma_f16 v24, v7, v3, v24 op_sel_hi:[1,0,1]
	v_pk_fma_f16 v5, v7, v3, v5 op_sel:[0,1,0]
	ds_read_b128 v[0:3], v145 offset:496
	s_waitcnt lgkmcnt(1)
	v_pk_fma_f16 v7, v8, v12, v25 op_sel_hi:[1,0,1]
	v_pk_fma_f16 v20, v8, v12, v20 op_sel:[0,1,0]
	v_pk_fma_f16 v16, v8, v13, v16 op_sel_hi:[1,0,1]
	v_pk_fma_f16 v17, v8, v13, v17 op_sel:[0,1,0]
	v_pk_fma_f16 v21, v8, v14, v21 op_sel_hi:[1,0,1]
	v_pk_fma_f16 v22, v8, v14, v22 op_sel:[0,1,0]
	v_pk_fma_f16 v23, v8, v15, v23 op_sel_hi:[1,0,1]
	v_pk_fma_f16 v4, v8, v15, v4 op_sel:[0,1,0]
	v_pk_fma_f16 v6, v9, v12, v6 op_sel_hi:[1,0,1]
	v_pk_fma_f16 v8, v9, v12, v42 op_sel:[0,1,0]
	v_pk_fma_f16 v12, v9, v13, v43 op_sel_hi:[1,0,1]
	v_pk_fma_f16 v13, v9, v13, v44 op_sel:[0,1,0]
	v_pk_fma_f16 v18, v9, v14, v18 op_sel_hi:[1,0,1]
	v_pk_fma_f16 v14, v9, v14, v19 op_sel:[0,1,0]
	v_pk_fma_f16 v19, v9, v15, v24 op_sel_hi:[1,0,1]
	v_pk_fma_f16 v5, v9, v15, v5 op_sel:[0,1,0]
	s_waitcnt lgkmcnt(0)
	v_pk_fma_f16 v187, v10, v0, v7 op_sel_hi:[1,0,1]
	v_pk_fma_f16 v185, v10, v0, v20 op_sel:[0,1,0]
	v_pk_fma_f16 v183, v10, v1, v16 op_sel_hi:[1,0,1]
	v_pk_fma_f16 v181, v10, v1, v17 op_sel:[0,1,0]
	;; [unrolled: 2-line block ×8, first 2 shown]
	v_mov_b64_e32 v[10:11], v[26:27]
	v_mov_b64_e32 v[12:13], v[28:29]
	;; [unrolled: 1-line block ×4, first 2 shown]
	s_barrier
.LBB52_135:
	v_cmp_lt_i32_e32 vcc, v141, v139
	s_cmp_eq_u64 s[52:53], 0
	s_cselect_b64 s[0:1], -1, 0
	v_cndmask_b32_e32 v0, v138, v141, vcc
	v_lshlrev_b32_e32 v9, 2, v0
	ds_bpermute_b32 v4, v9, v36
	ds_bpermute_b32 v5, v9, v37
	v_cmp_lt_i32_e32 vcc, v144, v139
	ds_bpermute_b32 v0, v9, v34
	ds_bpermute_b32 v1, v9, v35
	v_cndmask_b32_e32 v2, v138, v144, vcc
	v_cmp_lt_i32_e32 vcc, v142, v139
	v_lshlrev_b32_e32 v23, 2, v2
	s_waitcnt lgkmcnt(2)
	v_pk_add_f32 v[4:5], v[36:37], v[4:5]
	v_cndmask_b32_e32 v2, v138, v142, vcc
	v_cmp_lt_i32_e32 vcc, v143, v139
	ds_bpermute_b32 v7, v23, v5
	v_lshlrev_b32_e32 v24, 2, v2
	v_cndmask_b32_e32 v6, v138, v143, vcc
	v_lshlrev_b32_e32 v25, 2, v6
	ds_bpermute_b32 v6, v23, v4
	ds_bpermute_b32 v18, v9, v40
	;; [unrolled: 1-line block ×3, first 2 shown]
	s_waitcnt lgkmcnt(4)
	v_pk_add_f32 v[0:1], v[34:35], v[0:1]
	v_cmp_lt_i32_e32 vcc, v140, v139
	s_waitcnt lgkmcnt(2)
	v_pk_add_f32 v[4:5], v[4:5], v[6:7]
	ds_bpermute_b32 v6, v24, v4
	ds_bpermute_b32 v7, v24, v5
	s_waitcnt lgkmcnt(2)
	v_pk_add_f32 v[18:19], v[40:41], v[18:19]
	ds_bpermute_b32 v2, v23, v0
	ds_bpermute_b32 v3, v23, v1
	v_cndmask_b32_e32 v8, v138, v140, vcc
	s_waitcnt lgkmcnt(2)
	v_pk_add_f32 v[4:5], v[4:5], v[6:7]
	ds_bpermute_b32 v6, v9, v38
	ds_bpermute_b32 v7, v9, v39
	;; [unrolled: 1-line block ×3, first 2 shown]
	v_lshlrev_b32_e32 v29, 2, v8
	ds_bpermute_b32 v8, v25, v4
	ds_bpermute_b32 v9, v25, v5
	s_waitcnt lgkmcnt(3)
	v_pk_add_f32 v[6:7], v[38:39], v[6:7]
	ds_bpermute_b32 v20, v23, v6
	ds_bpermute_b32 v21, v23, v7
	ds_bpermute_b32 v23, v23, v19
	v_pk_add_f32 v[0:1], v[0:1], v[2:3]
	ds_bpermute_b32 v2, v24, v0
	ds_bpermute_b32 v3, v24, v1
	s_waitcnt lgkmcnt(3)
	v_pk_add_f32 v[6:7], v[6:7], v[20:21]
	s_waitcnt lgkmcnt(2)
	v_pk_add_f32 v[18:19], v[18:19], v[22:23]
	v_pk_add_f32 v[4:5], v[4:5], v[8:9]
	ds_bpermute_b32 v8, v24, v6
	ds_bpermute_b32 v9, v24, v7
	;; [unrolled: 1-line block ×4, first 2 shown]
	s_waitcnt lgkmcnt(4)
	v_pk_add_f32 v[0:1], v[0:1], v[2:3]
	ds_bpermute_b32 v2, v25, v0
	s_waitcnt lgkmcnt(3)
	v_pk_add_f32 v[6:7], v[6:7], v[8:9]
	ds_bpermute_b32 v3, v25, v1
	;; [unrolled: 3-line block ×3, first 2 shown]
	ds_bpermute_b32 v9, v25, v7
	ds_bpermute_b32 v20, v25, v18
	;; [unrolled: 1-line block ×3, first 2 shown]
	s_waitcnt lgkmcnt(4)
	v_pk_add_f32 v[0:1], v[0:1], v[2:3]
	ds_bpermute_b32 v2, v29, v0
	s_waitcnt lgkmcnt(3)
	v_pk_add_f32 v[6:7], v[6:7], v[8:9]
	ds_bpermute_b32 v3, v29, v1
	;; [unrolled: 3-line block ×3, first 2 shown]
	ds_bpermute_b32 v25, v29, v5
	ds_bpermute_b32 v8, v29, v6
	;; [unrolled: 1-line block ×5, first 2 shown]
	s_cmp_lg_u32 s5, 0
	s_cselect_b64 s[6:7], -1, 0
	s_or_b64 s[0:1], s[6:7], s[0:1]
	s_waitcnt lgkmcnt(6)
	v_pk_add_f32 v[22:23], v[0:1], v[2:3]
	s_waitcnt lgkmcnt(4)
	v_pk_add_f32 v[20:21], v[4:5], v[24:25]
	;; [unrolled: 2-line block ×4, first 2 shown]
	s_and_b64 vcc, exec, s[0:1]
	s_cbranch_vccnz .LBB52_137
; %bb.136:
	s_lshl_b64 s[0:1], s[64:65], 2
	s_add_u32 s0, s52, s0
	s_addc_u32 s1, s53, s1
	v_mov_b32_e32 v0, 0
	global_load_dword v24, v0, s[0:1]
	v_max_f32_e32 v0, v11, v11
	v_max_f32_e32 v2, v10, v10
	;; [unrolled: 1-line block ×4, first 2 shown]
	s_mov_b32 s4, 0x3fb8aa3b
	v_mov_b32_e32 v25, 0x7f800000
	s_mov_b32 s1, 0xc2ce8ed0
	s_mov_b32 s0, 0x42b17218
	s_waitcnt vmcnt(0)
	v_max_f32_e32 v26, v24, v24
	v_max_f32_e32 v1, v0, v26
	;; [unrolled: 1-line block ×5, first 2 shown]
	v_pk_add_f32 v[4:5], v[10:11], v[0:1] neg_lo:[0,1] neg_hi:[0,1]
	v_pk_add_f32 v[10:11], v[12:13], v[2:3] neg_lo:[0,1] neg_hi:[0,1]
	v_mul_f32_e32 v12, 0x3fb8aa3b, v5
	v_pk_add_f32 v[6:7], v[24:25], v[0:1] op_sel_hi:[0,1] neg_lo:[0,1] neg_hi:[0,1]
	v_mul_f32_e32 v13, 0x3fb8aa3b, v4
	v_fma_f32 v31, v5, s4, -v12
	v_rndne_f32_e32 v32, v12
	v_mul_f32_e32 v27, 0x3fb8aa3b, v7
	v_fma_f32 v33, v4, s4, -v13
	v_rndne_f32_e32 v34, v13
	v_fmac_f32_e32 v31, 0x32a5705f, v5
	v_sub_f32_e32 v12, v12, v32
	v_mul_f32_e32 v28, 0x3fb8aa3b, v6
	v_fma_f32 v35, v7, s4, -v27
	v_rndne_f32_e32 v36, v27
	v_fmac_f32_e32 v33, 0x32a5705f, v4
	v_sub_f32_e32 v13, v13, v34
	v_add_f32_e32 v12, v12, v31
	v_mul_f32_e32 v29, 0x3fb8aa3b, v11
	v_fma_f32 v37, v6, s4, -v28
	v_rndne_f32_e32 v38, v28
	v_cvt_i32_f32_e32 v32, v32
	v_fmac_f32_e32 v35, 0x32a5705f, v7
	v_sub_f32_e32 v27, v27, v36
	v_add_f32_e32 v13, v13, v33
	v_exp_f32_e32 v12, v12
	v_mul_f32_e32 v30, 0x3fb8aa3b, v10
	v_fma_f32 v39, v11, s4, -v29
	v_rndne_f32_e32 v40, v29
	v_cvt_i32_f32_e32 v34, v34
	v_fmac_f32_e32 v37, 0x32a5705f, v6
	v_sub_f32_e32 v28, v28, v38
	v_add_f32_e32 v27, v27, v35
	v_exp_f32_e32 v13, v13
	v_fma_f32 v41, v10, s4, -v30
	v_rndne_f32_e32 v42, v30
	v_cvt_i32_f32_e32 v36, v36
	v_fmac_f32_e32 v39, 0x32a5705f, v11
	v_sub_f32_e32 v29, v29, v40
	v_add_f32_e32 v28, v28, v37
	v_exp_f32_e32 v27, v27
	v_cvt_i32_f32_e32 v38, v38
	v_fmac_f32_e32 v41, 0x32a5705f, v10
	v_sub_f32_e32 v30, v30, v42
	v_add_f32_e32 v29, v29, v39
	v_exp_f32_e32 v28, v28
	v_cvt_i32_f32_e32 v40, v40
	v_add_f32_e32 v30, v30, v41
	v_exp_f32_e32 v29, v29
	v_ldexp_f32 v12, v12, v32
	v_cmp_ngt_f32_e32 vcc, s1, v5
	v_cvt_i32_f32_e32 v42, v42
	v_exp_f32_e32 v30, v30
	v_ldexp_f32 v13, v13, v34
	v_cndmask_b32_e32 v12, 0, v12, vcc
	v_cmp_ngt_f32_e32 vcc, s1, v4
	v_ldexp_f32 v27, v27, v36
	v_ldexp_f32 v28, v28, v38
	v_cndmask_b32_e32 v13, 0, v13, vcc
	v_cmp_ngt_f32_e32 vcc, s1, v7
	v_ldexp_f32 v29, v29, v40
	v_ldexp_f32 v30, v30, v42
	v_cndmask_b32_e32 v27, 0, v27, vcc
	v_cmp_ngt_f32_e32 vcc, s1, v6
	s_nop 1
	v_cndmask_b32_e32 v28, 0, v28, vcc
	v_cmp_ngt_f32_e32 vcc, s1, v11
	s_nop 1
	;; [unrolled: 3-line block ×3, first 2 shown]
	v_cndmask_b32_e32 v30, 0, v30, vcc
	v_cmp_nlt_f32_e32 vcc, s0, v5
	s_nop 1
	v_cndmask_b32_e32 v5, v25, v12, vcc
	v_cmp_nlt_f32_e32 vcc, s0, v4
	s_nop 1
	v_cndmask_b32_e32 v4, v25, v13, vcc
	v_cmp_nlt_f32_e32 vcc, s0, v7
	v_cvt_f16_f32_e32 v12, v4
	v_cvt_f16_f32_e32 v13, v5
	v_cndmask_b32_e32 v7, v25, v27, vcc
	v_cmp_nlt_f32_e32 vcc, s0, v6
	v_pk_mul_f16 v187, v12, v187 op_sel_hi:[0,1]
	v_pk_mul_f16 v188, v12, v188 op_sel_hi:[0,1]
	v_cndmask_b32_e32 v6, v25, v28, vcc
	v_pk_fma_f32 v[22:23], v[22:23], v[4:5], v[6:7]
	v_pk_add_f32 v[6:7], v[24:25], v[2:3] op_sel_hi:[0,1] neg_lo:[0,1] neg_hi:[0,1]
	v_mul_f32_e32 v5, 0x3fb8aa3b, v7
	v_pk_mul_f16 v185, v13, v185 op_sel_hi:[0,1]
	v_pk_mul_f16 v186, v13, v186 op_sel_hi:[0,1]
	v_fma_f32 v12, v7, s4, -v5
	v_rndne_f32_e32 v13, v5
	v_cmp_nlt_f32_e32 vcc, s0, v10
	v_fmac_f32_e32 v12, 0x32a5705f, v7
	v_sub_f32_e32 v5, v5, v13
	v_cndmask_b32_e32 v4, v25, v30, vcc
	v_add_f32_e32 v5, v5, v12
	v_cvt_f16_f32_e32 v10, v4
	v_exp_f32_e32 v12, v5
	v_cvt_i32_f32_e32 v13, v13
	v_cmp_nlt_f32_e32 vcc, s0, v11
	v_mul_f32_e32 v11, 0x3fb8aa3b, v6
	v_pk_mul_f16 v183, v10, v183 op_sel_hi:[0,1]
	v_pk_mul_f16 v184, v10, v184 op_sel_hi:[0,1]
	v_ldexp_f32 v10, v12, v13
	v_fma_f32 v12, v6, s4, -v11
	v_rndne_f32_e32 v13, v11
	v_fmac_f32_e32 v12, 0x32a5705f, v6
	v_sub_f32_e32 v11, v11, v13
	v_add_f32_e32 v11, v11, v12
	v_exp_f32_e32 v11, v11
	v_cvt_i32_f32_e32 v12, v13
	v_cndmask_b32_e32 v5, v25, v29, vcc
	v_cmp_ngt_f32_e32 vcc, s1, v7
	s_nop 1
	v_cndmask_b32_e32 v10, 0, v10, vcc
	v_cmp_nlt_f32_e32 vcc, s0, v7
	s_nop 1
	v_cndmask_b32_e32 v7, v25, v10, vcc
	v_ldexp_f32 v10, v11, v12
	v_cmp_ngt_f32_e32 vcc, s1, v6
	v_cvt_f16_f32_e32 v11, v5
	v_pk_mul_f16 v181, v11, v181 op_sel_hi:[0,1]
	v_cndmask_b32_e32 v10, 0, v10, vcc
	v_cmp_nlt_f32_e32 vcc, s0, v6
	v_pk_mul_f16 v182, v11, v182 op_sel_hi:[0,1]
	s_nop 0
	v_cndmask_b32_e32 v6, v25, v10, vcc
	v_pk_fma_f32 v[20:21], v[20:21], v[4:5], v[6:7]
	v_max_f32_e32 v4, v15, v15
	v_max_f32_e32 v5, v4, v26
	;; [unrolled: 1-line block ×4, first 2 shown]
	v_pk_add_f32 v[6:7], v[14:15], v[4:5] neg_lo:[0,1] neg_hi:[0,1]
	s_nop 0
	v_mul_f32_e32 v10, 0x3fb8aa3b, v7
	v_fma_f32 v11, v7, s4, -v10
	v_rndne_f32_e32 v12, v10
	v_fmac_f32_e32 v11, 0x32a5705f, v7
	v_sub_f32_e32 v10, v10, v12
	v_add_f32_e32 v10, v10, v11
	v_cvt_i32_f32_e32 v11, v12
	v_mul_f32_e32 v12, 0x3fb8aa3b, v6
	v_fma_f32 v13, v6, s4, -v12
	v_rndne_f32_e32 v14, v12
	v_fmac_f32_e32 v13, 0x32a5705f, v6
	v_sub_f32_e32 v12, v12, v14
	v_exp_f32_e32 v10, v10
	v_add_f32_e32 v12, v12, v13
	v_exp_f32_e32 v12, v12
	v_cvt_i32_f32_e32 v13, v14
	v_ldexp_f32 v10, v10, v11
	v_cmp_ngt_f32_e32 vcc, s1, v7
	s_nop 1
	v_cndmask_b32_e32 v14, 0, v10, vcc
	v_ldexp_f32 v10, v12, v13
	v_cmp_ngt_f32_e32 vcc, s1, v6
	s_nop 1
	v_cndmask_b32_e32 v10, 0, v10, vcc
	v_cmp_nlt_f32_e32 vcc, s0, v6
	s_nop 1
	v_cndmask_b32_e32 v6, v25, v10, vcc
	v_pk_add_f32 v[10:11], v[24:25], v[4:5] op_sel_hi:[0,1] neg_lo:[0,1] neg_hi:[0,1]
	v_mul_f32_e32 v13, 0x3fb8aa3b, v11
	v_fma_f32 v15, v11, s4, -v13
	v_rndne_f32_e32 v27, v13
	v_fmac_f32_e32 v15, 0x32a5705f, v11
	v_sub_f32_e32 v13, v13, v27
	v_add_f32_e32 v13, v13, v15
	v_cvt_f16_f32_e32 v12, v6
	v_exp_f32_e32 v13, v13
	v_cvt_i32_f32_e32 v15, v27
	v_cmp_nlt_f32_e32 vcc, s0, v7
	v_pk_mul_f16 v179, v12, v179 op_sel_hi:[0,1]
	v_pk_mul_f16 v180, v12, v180 op_sel_hi:[0,1]
	v_ldexp_f32 v12, v13, v15
	v_mul_f32_e32 v13, 0x3fb8aa3b, v10
	v_cndmask_b32_e32 v7, v25, v14, vcc
	v_fma_f32 v14, v10, s4, -v13
	v_rndne_f32_e32 v15, v13
	v_fmac_f32_e32 v14, 0x32a5705f, v10
	v_sub_f32_e32 v13, v13, v15
	v_add_f32_e32 v13, v13, v14
	v_exp_f32_e32 v13, v13
	v_cvt_i32_f32_e32 v14, v15
	v_cmp_ngt_f32_e32 vcc, s1, v11
	s_nop 1
	v_cndmask_b32_e32 v12, 0, v12, vcc
	v_cmp_nlt_f32_e32 vcc, s0, v11
	s_nop 1
	v_cndmask_b32_e32 v11, v25, v12, vcc
	v_ldexp_f32 v12, v13, v14
	v_cmp_ngt_f32_e32 vcc, s1, v10
	v_cvt_f16_f32_e32 v13, v7
	v_pk_mul_f16 v177, v13, v177 op_sel_hi:[0,1]
	v_cndmask_b32_e32 v12, 0, v12, vcc
	v_cmp_nlt_f32_e32 vcc, s0, v10
	v_pk_mul_f16 v178, v13, v178 op_sel_hi:[0,1]
	s_nop 0
	v_cndmask_b32_e32 v10, v25, v12, vcc
	v_pk_fma_f32 v[18:19], v[18:19], v[6:7], v[10:11]
	v_max_f32_e32 v6, v17, v17
	v_max_f32_e32 v7, v6, v26
	;; [unrolled: 1-line block ×4, first 2 shown]
	v_pk_add_f32 v[10:11], v[16:17], v[6:7] neg_lo:[0,1] neg_hi:[0,1]
	s_nop 0
	v_mul_f32_e32 v12, 0x3fb8aa3b, v11
	v_fma_f32 v13, v11, s4, -v12
	v_rndne_f32_e32 v14, v12
	v_fmac_f32_e32 v13, 0x32a5705f, v11
	v_sub_f32_e32 v12, v12, v14
	v_add_f32_e32 v12, v12, v13
	v_cvt_i32_f32_e32 v13, v14
	v_mul_f32_e32 v14, 0x3fb8aa3b, v10
	v_fma_f32 v15, v10, s4, -v14
	v_rndne_f32_e32 v16, v14
	v_fmac_f32_e32 v15, 0x32a5705f, v10
	v_sub_f32_e32 v14, v14, v16
	v_exp_f32_e32 v12, v12
	v_add_f32_e32 v14, v14, v15
	v_exp_f32_e32 v14, v14
	v_cvt_i32_f32_e32 v15, v16
	v_ldexp_f32 v12, v12, v13
	v_cmp_ngt_f32_e32 vcc, s1, v11
	s_nop 1
	v_cndmask_b32_e32 v16, 0, v12, vcc
	v_ldexp_f32 v12, v14, v15
	v_cmp_ngt_f32_e32 vcc, s1, v10
	s_nop 1
	v_cndmask_b32_e32 v12, 0, v12, vcc
	v_cmp_nlt_f32_e32 vcc, s0, v10
	s_nop 1
	v_cndmask_b32_e32 v10, v25, v12, vcc
	v_pk_add_f32 v[12:13], v[24:25], v[6:7] op_sel_hi:[0,1] neg_lo:[0,1] neg_hi:[0,1]
	v_mul_f32_e32 v15, 0x3fb8aa3b, v13
	v_fma_f32 v17, v13, s4, -v15
	v_rndne_f32_e32 v24, v15
	v_fmac_f32_e32 v17, 0x32a5705f, v13
	v_sub_f32_e32 v15, v15, v24
	v_add_f32_e32 v15, v15, v17
	v_cvt_f16_f32_e32 v14, v10
	v_exp_f32_e32 v15, v15
	v_cvt_i32_f32_e32 v17, v24
	v_cmp_nlt_f32_e32 vcc, s0, v11
	v_pk_mul_f16 v174, v14, v174 op_sel_hi:[0,1]
	v_pk_mul_f16 v175, v14, v175 op_sel_hi:[0,1]
	v_ldexp_f32 v14, v15, v17
	v_mul_f32_e32 v15, 0x3fb8aa3b, v12
	v_cndmask_b32_e32 v11, v25, v16, vcc
	v_fma_f32 v16, v12, s4, -v15
	v_rndne_f32_e32 v17, v15
	v_fmac_f32_e32 v16, 0x32a5705f, v12
	v_sub_f32_e32 v15, v15, v17
	v_add_f32_e32 v15, v15, v16
	v_exp_f32_e32 v15, v15
	v_cvt_i32_f32_e32 v16, v17
	v_cmp_ngt_f32_e32 vcc, s1, v13
	s_nop 1
	v_cndmask_b32_e32 v14, 0, v14, vcc
	v_cmp_nlt_f32_e32 vcc, s0, v13
	s_nop 1
	v_cndmask_b32_e32 v13, v25, v14, vcc
	v_ldexp_f32 v14, v15, v16
	v_cvt_f16_f32_e32 v15, v11
	v_cmp_ngt_f32_e32 vcc, s1, v12
	v_pk_mul_f16 v172, v15, v172 op_sel_hi:[0,1]
	s_nop 0
	v_cndmask_b32_e32 v14, 0, v14, vcc
	v_cmp_nlt_f32_e32 vcc, s0, v12
	v_pk_mul_f16 v173, v15, v173 op_sel_hi:[0,1]
	s_nop 0
	v_cndmask_b32_e32 v12, v25, v14, vcc
	v_pk_fma_f32 v[8:9], v[8:9], v[10:11], v[12:13]
	v_mov_b64_e32 v[16:17], v[6:7]
	v_mov_b64_e32 v[14:15], v[4:5]
	;; [unrolled: 1-line block ×4, first 2 shown]
.LBB52_137:
	v_cmp_gt_i32_e32 vcc, s62, v171
	s_and_saveexec_b64 s[0:1], vcc
	s_cbranch_execz .LBB52_193
; %bb.138:
	s_load_dword s4, s[2:3], 0xd4
	v_mov_b32_e32 v2, 1.0
	s_waitcnt lgkmcnt(0)
	s_cmp_lg_u32 s4, 1
	s_cselect_b64 s[0:1], -1, 0
	s_cmp_eq_u32 s4, 1
	s_cselect_b64 s[6:7], -1, 0
	s_and_b64 vcc, exec, s[0:1]
	s_cbranch_vccnz .LBB52_140
; %bb.139:
	v_div_scale_f32 v0, s[2:3], v22, v22, 1.0
	v_rcp_f32_e32 v1, v0
	v_div_scale_f32 v2, vcc, 1.0, v22, 1.0
	v_fma_f32 v3, -v0, v1, 1.0
	v_fmac_f32_e32 v1, v3, v1
	v_mul_f32_e32 v3, v2, v1
	v_fma_f32 v4, -v0, v3, v2
	v_fmac_f32_e32 v3, v4, v1
	v_fma_f32 v0, -v0, v3, v2
	v_div_fmas_f32 v0, v0, v1, v3
	v_div_fixup_f32 v2, v0, v22, 1.0
.LBB52_140:
	s_mul_i32 s8, s74, s62
	s_add_i32 s8, s8, s33
	v_add_u32_e32 v0, s8, v170
	v_mul_lo_u32 v0, v0, s63
	v_add_u32_e32 v0, s64, v0
	v_mul_lo_u32 v0, s4, v0
	v_add_u32_e32 v0, s5, v0
	s_and_saveexec_b64 s[2:3], s[50:51]
	s_cbranch_execz .LBB52_142
; %bb.141:
	v_cvt_f32_f16_sdwa v7, v187 dst_sel:DWORD dst_unused:UNUSED_PAD src0_sel:WORD_1
	v_cvt_f32_f16_e32 v6, v187
	v_cvt_f32_f16_sdwa v25, v188 dst_sel:DWORD dst_unused:UNUSED_PAD src0_sel:WORD_1
	v_cvt_f32_f16_e32 v24, v188
	s_movk_i32 s9, 0x70
	v_mad_u64_u32 v[4:5], s[10:11], v0, s9, v[122:123]
	v_mov_b32_e32 v5, 0
	v_lshl_add_u64 v[26:27], v[4:5], 2, s[56:57]
	v_pk_mul_f32 v[4:5], v[2:3], v[6:7] op_sel_hi:[0,1]
	v_pk_mul_f32 v[6:7], v[2:3], v[24:25] op_sel_hi:[0,1]
	global_store_dwordx4 v[26:27], v[4:7], off
.LBB52_142:
	s_or_b64 exec, exec, s[2:3]
	v_cmp_eq_u32_e32 vcc, 0, v167
	s_and_b64 s[2:3], vcc, s[0:1]
	s_and_saveexec_b64 s[0:1], s[2:3]
	s_cbranch_execz .LBB52_144
; %bb.143:
	v_ashrrev_i32_e32 v1, 31, v0
	v_lshl_add_u64 v[0:1], v[0:1], 3, s[58:59]
	v_mov_b32_e32 v2, v10
	v_mov_b32_e32 v3, v22
	global_store_dwordx2 v[0:1], v[2:3], off
.LBB52_144:
	s_or_b64 exec, exec, s[0:1]
	v_cmp_gt_i32_e32 vcc, s62, v169
	s_and_b64 exec, exec, vcc
	s_cbranch_execz .LBB52_193
; %bb.145:
	v_cndmask_b32_e64 v0, 0, 1, s[6:7]
	v_cmp_ne_u32_e64 s[0:1], 1, v0
	s_andn2_b64 vcc, exec, s[6:7]
	v_mov_b32_e32 v2, 1.0
	s_cbranch_vccnz .LBB52_147
; %bb.146:
	v_div_scale_f32 v0, s[6:7], v23, v23, 1.0
	v_rcp_f32_e32 v1, v0
	v_div_scale_f32 v2, vcc, 1.0, v23, 1.0
	v_fma_f32 v3, -v0, v1, 1.0
	v_fmac_f32_e32 v1, v3, v1
	v_mul_f32_e32 v3, v2, v1
	v_fma_f32 v4, -v0, v3, v2
	v_fmac_f32_e32 v3, v4, v1
	v_fma_f32 v0, -v0, v3, v2
	v_div_fmas_f32 v0, v0, v1, v3
	v_div_fixup_f32 v2, v0, v23, 1.0
.LBB52_147:
	v_add_u32_e32 v0, s8, v168
	v_mul_lo_u32 v0, v0, s63
	v_add_u32_e32 v0, s64, v0
	v_mul_lo_u32 v0, s4, v0
	v_add_u32_e32 v0, s5, v0
	s_and_saveexec_b64 s[6:7], s[50:51]
	s_cbranch_execz .LBB52_149
; %bb.148:
	v_cvt_f32_f16_sdwa v7, v185 dst_sel:DWORD dst_unused:UNUSED_PAD src0_sel:WORD_1
	v_cvt_f32_f16_e32 v6, v185
	v_cvt_f32_f16_sdwa v25, v186 dst_sel:DWORD dst_unused:UNUSED_PAD src0_sel:WORD_1
	v_cvt_f32_f16_e32 v24, v186
	s_movk_i32 s9, 0x70
	v_mad_u64_u32 v[4:5], s[10:11], v0, s9, v[122:123]
	v_mov_b32_e32 v5, 0
	v_lshl_add_u64 v[26:27], v[4:5], 2, s[56:57]
	v_pk_mul_f32 v[4:5], v[2:3], v[6:7] op_sel_hi:[0,1]
	v_pk_mul_f32 v[6:7], v[2:3], v[24:25] op_sel_hi:[0,1]
	global_store_dwordx4 v[26:27], v[4:7], off
.LBB52_149:
	s_or_b64 exec, exec, s[6:7]
	s_and_saveexec_b64 s[6:7], s[2:3]
	s_cbranch_execz .LBB52_151
; %bb.150:
	v_ashrrev_i32_e32 v1, 31, v0
	v_lshl_add_u64 v[0:1], v[0:1], 3, s[58:59]
	v_mov_b32_e32 v22, v11
	global_store_dwordx2 v[0:1], v[22:23], off
.LBB52_151:
	s_or_b64 exec, exec, s[6:7]
	v_add_u32_e32 v0, s33, v166
	v_cmp_gt_i32_e32 vcc, s62, v0
	s_and_b64 exec, exec, vcc
	s_cbranch_execz .LBB52_193
; %bb.152:
	s_and_b64 vcc, exec, s[0:1]
	v_mov_b32_e32 v2, 1.0
	s_cbranch_vccnz .LBB52_154
; %bb.153:
	v_div_scale_f32 v0, s[6:7], v20, v20, 1.0
	v_rcp_f32_e32 v1, v0
	v_div_scale_f32 v2, vcc, 1.0, v20, 1.0
	v_fma_f32 v3, -v0, v1, 1.0
	v_fmac_f32_e32 v1, v3, v1
	v_mul_f32_e32 v3, v2, v1
	v_fma_f32 v4, -v0, v3, v2
	v_fmac_f32_e32 v3, v4, v1
	v_fma_f32 v0, -v0, v3, v2
	v_div_fmas_f32 v0, v0, v1, v3
	v_div_fixup_f32 v2, v0, v20, 1.0
.LBB52_154:
	v_add_u32_e32 v0, s8, v166
	v_mul_lo_u32 v0, v0, s63
	v_add_u32_e32 v0, s64, v0
	v_mul_lo_u32 v0, s4, v0
	v_add_u32_e32 v0, s5, v0
	s_and_saveexec_b64 s[6:7], s[50:51]
	s_cbranch_execz .LBB52_156
; %bb.155:
	v_cvt_f32_f16_sdwa v7, v183 dst_sel:DWORD dst_unused:UNUSED_PAD src0_sel:WORD_1
	v_cvt_f32_f16_e32 v6, v183
	v_cvt_f32_f16_sdwa v11, v184 dst_sel:DWORD dst_unused:UNUSED_PAD src0_sel:WORD_1
	v_cvt_f32_f16_e32 v10, v184
	s_movk_i32 s9, 0x70
	v_mad_u64_u32 v[4:5], s[10:11], v0, s9, v[122:123]
	v_mov_b32_e32 v5, 0
	v_lshl_add_u64 v[22:23], v[4:5], 2, s[56:57]
	v_pk_mul_f32 v[4:5], v[2:3], v[6:7] op_sel_hi:[0,1]
	v_pk_mul_f32 v[6:7], v[2:3], v[10:11] op_sel_hi:[0,1]
	global_store_dwordx4 v[22:23], v[4:7], off
.LBB52_156:
	s_or_b64 exec, exec, s[6:7]
	s_and_saveexec_b64 s[6:7], s[2:3]
	s_cbranch_execz .LBB52_158
; %bb.157:
	v_ashrrev_i32_e32 v1, 31, v0
	v_lshl_add_u64 v[0:1], v[0:1], 3, s[58:59]
	v_mov_b32_e32 v2, v12
	v_mov_b32_e32 v3, v20
	global_store_dwordx2 v[0:1], v[2:3], off
.LBB52_158:
	s_or_b64 exec, exec, s[6:7]
	v_add_u32_e32 v0, s33, v165
	v_cmp_gt_i32_e32 vcc, s62, v0
	s_and_b64 exec, exec, vcc
	s_cbranch_execz .LBB52_193
; %bb.159:
	s_and_b64 vcc, exec, s[0:1]
	v_mov_b32_e32 v2, 1.0
	s_cbranch_vccnz .LBB52_161
; %bb.160:
	v_div_scale_f32 v0, s[6:7], v21, v21, 1.0
	v_rcp_f32_e32 v1, v0
	v_div_scale_f32 v2, vcc, 1.0, v21, 1.0
	v_fma_f32 v3, -v0, v1, 1.0
	v_fmac_f32_e32 v1, v3, v1
	v_mul_f32_e32 v3, v2, v1
	v_fma_f32 v4, -v0, v3, v2
	v_fmac_f32_e32 v3, v4, v1
	v_fma_f32 v0, -v0, v3, v2
	v_div_fmas_f32 v0, v0, v1, v3
	v_div_fixup_f32 v2, v0, v21, 1.0
.LBB52_161:
	v_add_u32_e32 v0, s8, v165
	v_mul_lo_u32 v0, v0, s63
	v_add_u32_e32 v0, s64, v0
	v_mul_lo_u32 v0, s4, v0
	v_add_u32_e32 v0, s5, v0
	s_and_saveexec_b64 s[6:7], s[50:51]
	s_cbranch_execz .LBB52_163
; %bb.162:
	v_cvt_f32_f16_sdwa v7, v181 dst_sel:DWORD dst_unused:UNUSED_PAD src0_sel:WORD_1
	v_cvt_f32_f16_e32 v6, v181
	v_cvt_f32_f16_sdwa v11, v182 dst_sel:DWORD dst_unused:UNUSED_PAD src0_sel:WORD_1
	v_cvt_f32_f16_e32 v10, v182
	s_movk_i32 s9, 0x70
	v_mad_u64_u32 v[4:5], s[10:11], v0, s9, v[122:123]
	v_mov_b32_e32 v5, 0
	v_lshl_add_u64 v[22:23], v[4:5], 2, s[56:57]
	v_pk_mul_f32 v[4:5], v[2:3], v[6:7] op_sel_hi:[0,1]
	v_pk_mul_f32 v[6:7], v[2:3], v[10:11] op_sel_hi:[0,1]
	global_store_dwordx4 v[22:23], v[4:7], off
.LBB52_163:
	s_or_b64 exec, exec, s[6:7]
	s_and_saveexec_b64 s[6:7], s[2:3]
	s_cbranch_execz .LBB52_165
; %bb.164:
	v_ashrrev_i32_e32 v1, 31, v0
	v_lshl_add_u64 v[0:1], v[0:1], 3, s[58:59]
	v_mov_b32_e32 v20, v13
	global_store_dwordx2 v[0:1], v[20:21], off
.LBB52_165:
	s_or_b64 exec, exec, s[6:7]
	v_add_u32_e32 v0, s33, v164
	v_cmp_gt_i32_e32 vcc, s62, v0
	s_and_b64 exec, exec, vcc
	s_cbranch_execz .LBB52_193
; %bb.166:
	s_and_b64 vcc, exec, s[0:1]
	v_mov_b32_e32 v2, 1.0
	s_cbranch_vccnz .LBB52_168
; %bb.167:
	v_div_scale_f32 v0, s[6:7], v18, v18, 1.0
	v_rcp_f32_e32 v1, v0
	v_div_scale_f32 v2, vcc, 1.0, v18, 1.0
	v_fma_f32 v3, -v0, v1, 1.0
	v_fmac_f32_e32 v1, v3, v1
	v_mul_f32_e32 v3, v2, v1
	v_fma_f32 v4, -v0, v3, v2
	v_fmac_f32_e32 v3, v4, v1
	v_fma_f32 v0, -v0, v3, v2
	v_div_fmas_f32 v0, v0, v1, v3
	v_div_fixup_f32 v2, v0, v18, 1.0
.LBB52_168:
	v_add_u32_e32 v0, s8, v164
	v_mul_lo_u32 v0, v0, s63
	v_add_u32_e32 v0, s64, v0
	v_mul_lo_u32 v0, s4, v0
	v_add_u32_e32 v0, s5, v0
	s_and_saveexec_b64 s[6:7], s[50:51]
	s_cbranch_execz .LBB52_170
; %bb.169:
	v_cvt_f32_f16_sdwa v7, v179 dst_sel:DWORD dst_unused:UNUSED_PAD src0_sel:WORD_1
	v_cvt_f32_f16_e32 v6, v179
	v_cvt_f32_f16_sdwa v11, v180 dst_sel:DWORD dst_unused:UNUSED_PAD src0_sel:WORD_1
	v_cvt_f32_f16_e32 v10, v180
	s_movk_i32 s9, 0x70
	v_mad_u64_u32 v[4:5], s[10:11], v0, s9, v[122:123]
	v_mov_b32_e32 v5, 0
	v_lshl_add_u64 v[12:13], v[4:5], 2, s[56:57]
	v_pk_mul_f32 v[4:5], v[2:3], v[6:7] op_sel_hi:[0,1]
	v_pk_mul_f32 v[6:7], v[2:3], v[10:11] op_sel_hi:[0,1]
	global_store_dwordx4 v[12:13], v[4:7], off
.LBB52_170:
	s_or_b64 exec, exec, s[6:7]
	s_and_saveexec_b64 s[6:7], s[2:3]
	s_cbranch_execz .LBB52_172
; %bb.171:
	v_ashrrev_i32_e32 v1, 31, v0
	v_lshl_add_u64 v[0:1], v[0:1], 3, s[58:59]
	v_mov_b32_e32 v2, v14
	v_mov_b32_e32 v3, v18
	global_store_dwordx2 v[0:1], v[2:3], off
.LBB52_172:
	s_or_b64 exec, exec, s[6:7]
	v_add_u32_e32 v0, s33, v163
	v_cmp_gt_i32_e32 vcc, s62, v0
	s_and_b64 exec, exec, vcc
	s_cbranch_execz .LBB52_193
; %bb.173:
	s_and_b64 vcc, exec, s[0:1]
	v_mov_b32_e32 v2, 1.0
	s_cbranch_vccnz .LBB52_175
; %bb.174:
	v_div_scale_f32 v0, s[6:7], v19, v19, 1.0
	v_rcp_f32_e32 v1, v0
	v_div_scale_f32 v2, vcc, 1.0, v19, 1.0
	v_fma_f32 v3, -v0, v1, 1.0
	v_fmac_f32_e32 v1, v3, v1
	v_mul_f32_e32 v3, v2, v1
	v_fma_f32 v4, -v0, v3, v2
	v_fmac_f32_e32 v3, v4, v1
	v_fma_f32 v0, -v0, v3, v2
	v_div_fmas_f32 v0, v0, v1, v3
	v_div_fixup_f32 v2, v0, v19, 1.0
.LBB52_175:
	v_add_u32_e32 v0, s8, v163
	v_mul_lo_u32 v0, v0, s63
	v_add_u32_e32 v0, s64, v0
	v_mul_lo_u32 v0, s4, v0
	v_add_u32_e32 v0, s5, v0
	s_and_saveexec_b64 s[6:7], s[50:51]
	s_cbranch_execz .LBB52_177
; %bb.176:
	v_cvt_f32_f16_sdwa v7, v177 dst_sel:DWORD dst_unused:UNUSED_PAD src0_sel:WORD_1
	v_cvt_f32_f16_e32 v6, v177
	v_cvt_f32_f16_sdwa v11, v178 dst_sel:DWORD dst_unused:UNUSED_PAD src0_sel:WORD_1
	v_cvt_f32_f16_e32 v10, v178
	s_movk_i32 s9, 0x70
	v_mad_u64_u32 v[4:5], s[10:11], v0, s9, v[122:123]
	v_mov_b32_e32 v5, 0
	v_lshl_add_u64 v[12:13], v[4:5], 2, s[56:57]
	v_pk_mul_f32 v[4:5], v[2:3], v[6:7] op_sel_hi:[0,1]
	v_pk_mul_f32 v[6:7], v[2:3], v[10:11] op_sel_hi:[0,1]
	global_store_dwordx4 v[12:13], v[4:7], off
.LBB52_177:
	s_or_b64 exec, exec, s[6:7]
	s_and_saveexec_b64 s[6:7], s[2:3]
	s_cbranch_execz .LBB52_179
; %bb.178:
	v_ashrrev_i32_e32 v1, 31, v0
	v_lshl_add_u64 v[0:1], v[0:1], 3, s[58:59]
	v_mov_b32_e32 v18, v15
	global_store_dwordx2 v[0:1], v[18:19], off
.LBB52_179:
	s_or_b64 exec, exec, s[6:7]
	v_add_u32_e32 v0, s33, v162
	v_cmp_gt_i32_e32 vcc, s62, v0
	s_and_b64 exec, exec, vcc
	s_cbranch_execz .LBB52_193
; %bb.180:
	s_and_b64 vcc, exec, s[0:1]
	v_mov_b32_e32 v2, 1.0
	s_cbranch_vccnz .LBB52_182
; %bb.181:
	v_div_scale_f32 v0, s[6:7], v8, v8, 1.0
	v_rcp_f32_e32 v1, v0
	v_div_scale_f32 v2, vcc, 1.0, v8, 1.0
	v_fma_f32 v3, -v0, v1, 1.0
	v_fmac_f32_e32 v1, v3, v1
	v_mul_f32_e32 v3, v2, v1
	v_fma_f32 v4, -v0, v3, v2
	v_fmac_f32_e32 v3, v4, v1
	v_fma_f32 v0, -v0, v3, v2
	v_div_fmas_f32 v0, v0, v1, v3
	v_div_fixup_f32 v2, v0, v8, 1.0
.LBB52_182:
	v_add_u32_e32 v0, s8, v162
	v_mul_lo_u32 v0, v0, s63
	v_add_u32_e32 v0, s64, v0
	v_mul_lo_u32 v0, s4, v0
	v_add_u32_e32 v0, s5, v0
	s_and_saveexec_b64 s[6:7], s[50:51]
	s_cbranch_execz .LBB52_184
; %bb.183:
	v_cvt_f32_f16_sdwa v7, v174 dst_sel:DWORD dst_unused:UNUSED_PAD src0_sel:WORD_1
	v_cvt_f32_f16_e32 v6, v174
	v_cvt_f32_f16_sdwa v11, v175 dst_sel:DWORD dst_unused:UNUSED_PAD src0_sel:WORD_1
	v_cvt_f32_f16_e32 v10, v175
	s_movk_i32 s9, 0x70
	v_mad_u64_u32 v[4:5], s[10:11], v0, s9, v[122:123]
	v_mov_b32_e32 v5, 0
	v_lshl_add_u64 v[12:13], v[4:5], 2, s[56:57]
	v_pk_mul_f32 v[4:5], v[2:3], v[6:7] op_sel_hi:[0,1]
	v_pk_mul_f32 v[6:7], v[2:3], v[10:11] op_sel_hi:[0,1]
	global_store_dwordx4 v[12:13], v[4:7], off
.LBB52_184:
	s_or_b64 exec, exec, s[6:7]
	s_and_saveexec_b64 s[6:7], s[2:3]
	s_cbranch_execz .LBB52_186
; %bb.185:
	v_ashrrev_i32_e32 v1, 31, v0
	v_lshl_add_u64 v[0:1], v[0:1], 3, s[58:59]
	v_mov_b32_e32 v2, v16
	v_mov_b32_e32 v3, v8
	global_store_dwordx2 v[0:1], v[2:3], off
.LBB52_186:
	s_or_b64 exec, exec, s[6:7]
	v_add_u32_e32 v0, s33, v123
	v_cmp_gt_i32_e32 vcc, s62, v0
	s_and_b64 exec, exec, vcc
	s_cbranch_execz .LBB52_193
; %bb.187:
	s_and_b64 vcc, exec, s[0:1]
	v_mov_b32_e32 v2, 1.0
	s_cbranch_vccnz .LBB52_189
; %bb.188:
	v_div_scale_f32 v0, s[0:1], v9, v9, 1.0
	v_rcp_f32_e32 v1, v0
	v_div_scale_f32 v2, vcc, 1.0, v9, 1.0
	v_fma_f32 v3, -v0, v1, 1.0
	v_fmac_f32_e32 v1, v3, v1
	v_mul_f32_e32 v3, v2, v1
	v_fma_f32 v4, -v0, v3, v2
	v_fmac_f32_e32 v3, v4, v1
	v_fma_f32 v0, -v0, v3, v2
	v_div_fmas_f32 v0, v0, v1, v3
	v_div_fixup_f32 v2, v0, v9, 1.0
.LBB52_189:
	v_add_u32_e32 v0, s8, v123
	v_mul_lo_u32 v0, v0, s63
	v_add_u32_e32 v0, s64, v0
	v_mul_lo_u32 v0, s4, v0
	v_add_u32_e32 v0, s5, v0
	s_and_saveexec_b64 s[0:1], s[50:51]
	s_cbranch_execz .LBB52_191
; %bb.190:
	v_cvt_f32_f16_sdwa v7, v172 dst_sel:DWORD dst_unused:UNUSED_PAD src0_sel:WORD_1
	v_cvt_f32_f16_e32 v6, v172
	v_cvt_f32_f16_sdwa v11, v173 dst_sel:DWORD dst_unused:UNUSED_PAD src0_sel:WORD_1
	v_cvt_f32_f16_e32 v10, v173
	s_movk_i32 s4, 0x70
	v_mad_u64_u32 v[4:5], s[4:5], v0, s4, v[122:123]
	v_mov_b32_e32 v5, 0
	v_lshl_add_u64 v[12:13], v[4:5], 2, s[56:57]
	v_pk_mul_f32 v[4:5], v[2:3], v[6:7] op_sel_hi:[0,1]
	v_pk_mul_f32 v[6:7], v[2:3], v[10:11] op_sel_hi:[0,1]
	global_store_dwordx4 v[12:13], v[4:7], off
.LBB52_191:
	s_or_b64 exec, exec, s[0:1]
	s_and_b64 exec, exec, s[2:3]
	s_cbranch_execz .LBB52_193
; %bb.192:
	v_ashrrev_i32_e32 v1, 31, v0
	v_lshl_add_u64 v[0:1], v[0:1], 3, s[58:59]
	v_mov_b32_e32 v8, v17
	global_store_dwordx2 v[0:1], v[8:9], off
.LBB52_193:
	s_endpgm
	.section	.rodata,"a",@progbits
	.p2align	6, 0x0
	.amdhsa_kernel _ZL15flash_attn_tileILi112ELi112ELi64ELi1ELb0EEvPKcS1_S1_S1_S1_PKiPfP15HIP_vector_typeIfLj2EEffffjfiS5_IjLj3EEiiiiiiiiiiiliiliiiiil
		.amdhsa_group_segment_fixed_size 30784
		.amdhsa_private_segment_fixed_size 32
		.amdhsa_kernarg_size 464
		.amdhsa_user_sgpr_count 4
		.amdhsa_user_sgpr_dispatch_ptr 1
		.amdhsa_user_sgpr_queue_ptr 0
		.amdhsa_user_sgpr_kernarg_segment_ptr 1
		.amdhsa_user_sgpr_dispatch_id 0
		.amdhsa_user_sgpr_kernarg_preload_length 0
		.amdhsa_user_sgpr_kernarg_preload_offset 0
		.amdhsa_user_sgpr_private_segment_size 0
		.amdhsa_uses_dynamic_stack 0
		.amdhsa_enable_private_segment 1
		.amdhsa_system_sgpr_workgroup_id_x 1
		.amdhsa_system_sgpr_workgroup_id_y 1
		.amdhsa_system_sgpr_workgroup_id_z 1
		.amdhsa_system_sgpr_workgroup_info 0
		.amdhsa_system_vgpr_workitem_id 2
		.amdhsa_next_free_vgpr 220
		.amdhsa_next_free_sgpr 81
		.amdhsa_accum_offset 220
		.amdhsa_reserve_vcc 1
		.amdhsa_float_round_mode_32 0
		.amdhsa_float_round_mode_16_64 0
		.amdhsa_float_denorm_mode_32 3
		.amdhsa_float_denorm_mode_16_64 3
		.amdhsa_dx10_clamp 1
		.amdhsa_ieee_mode 1
		.amdhsa_fp16_overflow 0
		.amdhsa_tg_split 0
		.amdhsa_exception_fp_ieee_invalid_op 0
		.amdhsa_exception_fp_denorm_src 0
		.amdhsa_exception_fp_ieee_div_zero 0
		.amdhsa_exception_fp_ieee_overflow 0
		.amdhsa_exception_fp_ieee_underflow 0
		.amdhsa_exception_fp_ieee_inexact 0
		.amdhsa_exception_int_div_zero 0
	.end_amdhsa_kernel
	.section	.text._ZL15flash_attn_tileILi112ELi112ELi64ELi1ELb0EEvPKcS1_S1_S1_S1_PKiPfP15HIP_vector_typeIfLj2EEffffjfiS5_IjLj3EEiiiiiiiiiiiliiliiiiil,"axG",@progbits,_ZL15flash_attn_tileILi112ELi112ELi64ELi1ELb0EEvPKcS1_S1_S1_S1_PKiPfP15HIP_vector_typeIfLj2EEffffjfiS5_IjLj3EEiiiiiiiiiiiliiliiiiil,comdat
.Lfunc_end52:
	.size	_ZL15flash_attn_tileILi112ELi112ELi64ELi1ELb0EEvPKcS1_S1_S1_S1_PKiPfP15HIP_vector_typeIfLj2EEffffjfiS5_IjLj3EEiiiiiiiiiiiliiliiiiil, .Lfunc_end52-_ZL15flash_attn_tileILi112ELi112ELi64ELi1ELb0EEvPKcS1_S1_S1_S1_PKiPfP15HIP_vector_typeIfLj2EEffffjfiS5_IjLj3EEiiiiiiiiiiiliiliiiiil
                                        ; -- End function
	.section	.AMDGPU.csdata,"",@progbits
; Kernel info:
; codeLenInByte = 40000
; NumSgprs: 87
; NumVgprs: 220
; NumAgprs: 0
; TotalNumVgprs: 220
; ScratchSize: 32
; MemoryBound: 0
; FloatMode: 240
; IeeeMode: 1
; LDSByteSize: 30784 bytes/workgroup (compile time only)
; SGPRBlocks: 10
; VGPRBlocks: 27
; NumSGPRsForWavesPerEU: 87
; NumVGPRsForWavesPerEU: 220
; AccumOffset: 220
; Occupancy: 2
; WaveLimiterHint : 1
; COMPUTE_PGM_RSRC2:SCRATCH_EN: 1
; COMPUTE_PGM_RSRC2:USER_SGPR: 4
; COMPUTE_PGM_RSRC2:TRAP_HANDLER: 0
; COMPUTE_PGM_RSRC2:TGID_X_EN: 1
; COMPUTE_PGM_RSRC2:TGID_Y_EN: 1
; COMPUTE_PGM_RSRC2:TGID_Z_EN: 1
; COMPUTE_PGM_RSRC2:TIDIG_COMP_CNT: 2
; COMPUTE_PGM_RSRC3_GFX90A:ACCUM_OFFSET: 54
; COMPUTE_PGM_RSRC3_GFX90A:TG_SPLIT: 0
	.section	.text._ZL25flash_attn_mask_to_KV_maxILi64EEvPK7__half2Piiii,"axG",@progbits,_ZL25flash_attn_mask_to_KV_maxILi64EEvPK7__half2Piiii,comdat
	.globl	_ZL25flash_attn_mask_to_KV_maxILi64EEvPK7__half2Piiii ; -- Begin function _ZL25flash_attn_mask_to_KV_maxILi64EEvPK7__half2Piiii
	.p2align	8
	.type	_ZL25flash_attn_mask_to_KV_maxILi64EEvPK7__half2Piiii,@function
_ZL25flash_attn_mask_to_KV_maxILi64EEvPK7__half2Piiii: ; @_ZL25flash_attn_mask_to_KV_maxILi64EEvPK7__half2Piiii
; %bb.0:
	s_load_dwordx4 s[4:7], s[0:1], 0x0
	v_cmp_gt_u32_e32 vcc, 32, v0
	s_and_saveexec_b64 s[8:9], vcc
	s_cbranch_execz .LBB53_2
; %bb.1:
	v_lshlrev_b32_e32 v1, 2, v0
	v_mov_b32_e32 v2, 1
	ds_write_b32 v1, v2
.LBB53_2:
	s_or_b64 exec, exec, s[8:9]
	s_load_dwordx4 s[8:11], s[0:1], 0x10
	s_load_dword s33, s[0:1], 0x20
	v_and_b32_e32 v2, 31, v0
	v_lshlrev_b32_e32 v6, 2, v2
	v_lshrrev_b32_e32 v1, 3, v0
	s_waitcnt lgkmcnt(0)
	s_mul_i32 s1, s2, s9
	s_mul_i32 s0, s3, s10
	s_lshl_b32 s1, s1, 6
	s_add_i32 s0, s0, s1
	s_ashr_i32 s1, s0, 31
	s_lshl_b64 s[0:1], s[0:1], 2
	s_add_u32 s10, s4, s0
	s_addc_u32 s11, s5, s1
	v_cmp_eq_u32_e64 s[0:1], 0, v2
	v_mbcnt_lo_u32_b32 v2, -1, 0
	s_lshl_b32 s8, s8, 8
	s_mov_b64 s[12:13], 0
	v_mov_b32_e32 v3, 0
	s_movk_i32 s98, 0x204
	s_movk_i32 s99, 0x7fff
	s_movk_i32 s96, 0x7c00
	v_mbcnt_hi_u32_b32 v7, -1, v2
	s_barrier
	s_waitcnt lgkmcnt(0)
                                        ; implicit-def: $sgpr4_sgpr5
	s_branch .LBB53_5
.LBB53_3:                               ;   in Loop: Header=BB53_5 Depth=1
	s_or_b64 exec, exec, s[14:15]
	s_waitcnt lgkmcnt(0)
	s_barrier
	ds_read_b32 v10, v6
	s_waitcnt lgkmcnt(0)
	s_barrier
	ds_bpermute_b32 v2, v2, v10
	v_cmp_ne_u32_e32 vcc, 0, v10
	s_waitcnt lgkmcnt(0)
	v_cmp_ne_u32_e64 s[4:5], 0, v2
	s_and_b64 s[4:5], vcc, s[4:5]
	s_nop 0
	v_cndmask_b32_e64 v2, 0, 1, s[4:5]
	ds_bpermute_b32 v2, v4, v2
	s_waitcnt lgkmcnt(0)
	v_cmp_ne_u32_e32 vcc, 0, v2
	s_and_b64 s[4:5], vcc, s[4:5]
	v_cndmask_b32_e64 v2, 0, 1, s[4:5]
	ds_bpermute_b32 v2, v5, v2
	s_waitcnt lgkmcnt(0)
	v_cmp_ne_u32_e32 vcc, 0, v2
	s_and_b64 s[4:5], vcc, s[4:5]
	;; [unrolled: 5-line block ×3, first 2 shown]
	v_cndmask_b32_e64 v2, 0, 1, s[4:5]
	ds_bpermute_b32 v2, v9, v2
	s_xor_b64 s[4:5], s[4:5], -1
	s_waitcnt lgkmcnt(0)
	v_cmp_eq_u32_e32 vcc, 0, v2
	s_or_b64 s[4:5], vcc, s[4:5]
.LBB53_4:                               ;   in Loop: Header=BB53_5 Depth=1
	s_and_b64 s[14:15], exec, s[4:5]
	s_or_b64 s[12:13], s[14:15], s[12:13]
	v_mov_b32_e32 v2, s8
	s_mov_b32 s8, s97
	s_andn2_b64 exec, exec, s[12:13]
	s_cbranch_execz .LBB53_260
.LBB53_5:                               ; =>This Inner Loop Header: Depth=1
	s_add_i32 s97, s8, 0xffffff00
	s_or_b64 s[4:5], s[4:5], exec
	s_cmp_lt_i32 s97, 0
	s_cbranch_scc1 .LBB53_4
; %bb.6:                                ;   in Loop: Header=BB53_5 Depth=1
	s_lshr_b32 s4, s97, 1
	v_add_u32_e32 v2, s4, v0
	v_lshl_add_u64 v[4:5], v[2:3], 2, s[10:11]
	global_load_dword v4, v[4:5], off
	s_mov_b64 s[14:15], 0
	s_waitcnt vmcnt(0)
	v_cmp_class_f16_e64 s[4:5], v4, s98
	v_and_b32_sdwa v4, s99, v4 dst_sel:DWORD dst_unused:UNUSED_PAD src0_sel:DWORD src1_sel:WORD_1
	v_cmp_eq_f16_e32 vcc, s96, v4
	s_and_b64 s[16:17], s[4:5], vcc
	s_and_saveexec_b64 s[4:5], s[16:17]
	s_cbranch_execz .LBB53_258
; %bb.7:                                ;   in Loop: Header=BB53_5 Depth=1
	v_add_u32_e32 v4, s9, v2
	v_ashrrev_i32_e32 v5, 31, v4
	v_lshl_add_u64 v[8:9], v[4:5], 2, s[10:11]
	global_load_dword v2, v[8:9], off
	s_mov_b64 s[16:17], 0
	s_waitcnt vmcnt(0)
	v_cmp_class_f16_e64 s[18:19], v2, s98
	s_and_saveexec_b64 s[14:15], s[18:19]
	s_cbranch_execz .LBB53_257
; %bb.8:                                ;   in Loop: Header=BB53_5 Depth=1
	v_cmp_class_f16_sdwa s[20:21], v2, s98 src0_sel:WORD_1 src1_sel:DWORD
	s_mov_b64 s[18:19], 0
	s_and_saveexec_b64 s[16:17], s[20:21]
	s_cbranch_execz .LBB53_256
; %bb.9:                                ;   in Loop: Header=BB53_5 Depth=1
	v_add_u32_e32 v4, s9, v4
	v_ashrrev_i32_e32 v5, 31, v4
	v_lshl_add_u64 v[8:9], v[4:5], 2, s[10:11]
	global_load_dword v2, v[8:9], off
	s_mov_b64 s[20:21], 0
	s_waitcnt vmcnt(0)
	v_cmp_class_f16_e64 s[22:23], v2, s98
	s_and_saveexec_b64 s[18:19], s[22:23]
	s_cbranch_execz .LBB53_255
; %bb.10:                               ;   in Loop: Header=BB53_5 Depth=1
	v_cmp_class_f16_sdwa s[24:25], v2, s98 src0_sel:WORD_1 src1_sel:DWORD
	s_mov_b64 s[22:23], 0
	s_and_saveexec_b64 s[20:21], s[24:25]
	s_cbranch_execz .LBB53_254
; %bb.11:                               ;   in Loop: Header=BB53_5 Depth=1
	v_add_u32_e32 v4, s9, v4
	v_ashrrev_i32_e32 v5, 31, v4
	v_lshl_add_u64 v[8:9], v[4:5], 2, s[10:11]
	global_load_dword v2, v[8:9], off
	s_mov_b64 s[24:25], 0
	s_waitcnt vmcnt(0)
	v_cmp_class_f16_e64 s[26:27], v2, s98
	s_and_saveexec_b64 s[22:23], s[26:27]
	s_cbranch_execz .LBB53_253
; %bb.12:                               ;   in Loop: Header=BB53_5 Depth=1
	v_cmp_class_f16_sdwa s[28:29], v2, s98 src0_sel:WORD_1 src1_sel:DWORD
	s_mov_b64 s[26:27], 0
	s_and_saveexec_b64 s[24:25], s[28:29]
	s_cbranch_execz .LBB53_252
; %bb.13:                               ;   in Loop: Header=BB53_5 Depth=1
	;; [unrolled: 15-line block ×18, first 2 shown]
	v_add_u32_e32 v4, s9, v4
	v_ashrrev_i32_e32 v5, 31, v4
	v_lshl_add_u64 v[8:9], v[4:5], 2, s[10:11]
	global_load_dword v2, v[8:9], off
	s_mov_b64 s[94:95], 0
	s_waitcnt vmcnt(0)
	v_cmp_class_f16_e64 vcc, v2, s98
	s_mov_b64 s[92:93], exec
                                        ; implicit-def: $vgpr14 : SGPR spill to VGPR lane
	v_writelane_b32 v14, s92, 0
	s_and_b64 vcc, s[92:93], vcc
	s_nop 0
	v_writelane_b32 v14, s93, 1
	s_mov_b64 exec, vcc
	s_cbranch_execz .LBB53_219
; %bb.46:                               ;   in Loop: Header=BB53_5 Depth=1
	v_cmp_class_f16_sdwa s[94:95], v2, s98 src0_sel:WORD_1 src1_sel:DWORD
	s_mov_b64 vcc, 0
	s_mov_b64 s[92:93], exec
	v_writelane_b32 v14, s92, 2
	s_and_b64 s[94:95], s[92:93], s[94:95]
	s_nop 0
	v_writelane_b32 v14, s93, 3
	s_mov_b64 exec, s[94:95]
	s_cbranch_execz .LBB53_218
; %bb.47:                               ;   in Loop: Header=BB53_5 Depth=1
	v_add_u32_e32 v4, s9, v4
	v_ashrrev_i32_e32 v5, 31, v4
	v_lshl_add_u64 v[8:9], v[4:5], 2, s[10:11]
	global_load_dword v2, v[8:9], off
	s_waitcnt vmcnt(0)
	v_cmp_class_f16_e64 s[94:95], v2, s98
	s_mov_b64 s[92:93], exec
	v_writelane_b32 v14, s92, 4
	s_and_b64 s[94:95], s[92:93], s[94:95]
	s_nop 0
	v_writelane_b32 v14, s93, 5
	s_mov_b64 exec, s[94:95]
	s_cbranch_execz .LBB53_217
; %bb.48:                               ;   in Loop: Header=BB53_5 Depth=1
	v_cmp_class_f16_sdwa s[94:95], v2, s98 src0_sel:WORD_1 src1_sel:DWORD
	s_mov_b64 vcc, 0
	s_mov_b64 s[92:93], exec
	v_writelane_b32 v14, s92, 6
	s_and_b64 s[94:95], s[92:93], s[94:95]
	s_nop 0
	v_writelane_b32 v14, s93, 7
	s_mov_b64 exec, s[94:95]
	s_cbranch_execz .LBB53_216
; %bb.49:                               ;   in Loop: Header=BB53_5 Depth=1
	v_add_u32_e32 v4, s9, v4
	v_ashrrev_i32_e32 v5, 31, v4
	v_lshl_add_u64 v[8:9], v[4:5], 2, s[10:11]
	global_load_dword v2, v[8:9], off
	s_waitcnt vmcnt(0)
	v_cmp_class_f16_e64 s[94:95], v2, s98
	s_mov_b64 s[92:93], exec
	v_writelane_b32 v14, s92, 8
	s_and_b64 s[94:95], s[92:93], s[94:95]
	s_nop 0
	v_writelane_b32 v14, s93, 9
	s_mov_b64 exec, s[94:95]
	;; [unrolled: 24-line block ×15, first 2 shown]
	s_cbranch_execz .LBB53_189
; %bb.76:                               ;   in Loop: Header=BB53_5 Depth=1
	v_cmp_class_f16_sdwa s[94:95], v2, s98 src0_sel:WORD_1 src1_sel:DWORD
	s_mov_b64 vcc, 0
	s_mov_b64 s[92:93], exec
	v_writelane_b32 v14, s92, 62
	s_and_b64 s[94:95], s[92:93], s[94:95]
	s_nop 0
	v_writelane_b32 v14, s93, 63
	s_mov_b64 exec, s[94:95]
	s_cbranch_execz .LBB53_188
; %bb.77:                               ;   in Loop: Header=BB53_5 Depth=1
	v_add_u32_e32 v4, s9, v4
	v_ashrrev_i32_e32 v5, 31, v4
	v_lshl_add_u64 v[8:9], v[4:5], 2, s[10:11]
	global_load_dword v2, v[8:9], off
	s_waitcnt vmcnt(0)
	v_cmp_class_f16_e64 s[94:95], v2, s98
	s_mov_b64 s[92:93], exec
                                        ; implicit-def: $vgpr13 : SGPR spill to VGPR lane
	v_writelane_b32 v13, s92, 0
	s_and_b64 s[94:95], s[92:93], s[94:95]
	s_nop 0
	v_writelane_b32 v13, s93, 1
	s_mov_b64 exec, s[94:95]
	s_cbranch_execz .LBB53_187
; %bb.78:                               ;   in Loop: Header=BB53_5 Depth=1
	v_cmp_class_f16_sdwa s[94:95], v2, s98 src0_sel:WORD_1 src1_sel:DWORD
	s_mov_b64 vcc, 0
	s_mov_b64 s[92:93], exec
	v_writelane_b32 v13, s92, 2
	s_and_b64 s[94:95], s[92:93], s[94:95]
	s_nop 0
	v_writelane_b32 v13, s93, 3
	s_mov_b64 exec, s[94:95]
	s_cbranch_execz .LBB53_186
; %bb.79:                               ;   in Loop: Header=BB53_5 Depth=1
	v_add_u32_e32 v4, s9, v4
	v_ashrrev_i32_e32 v5, 31, v4
	v_lshl_add_u64 v[8:9], v[4:5], 2, s[10:11]
	global_load_dword v2, v[8:9], off
	s_waitcnt vmcnt(0)
	v_cmp_class_f16_e64 s[94:95], v2, s98
	s_mov_b64 s[92:93], exec
	v_writelane_b32 v13, s92, 4
	s_and_b64 s[94:95], s[92:93], s[94:95]
	s_nop 0
	v_writelane_b32 v13, s93, 5
	s_mov_b64 exec, s[94:95]
	s_cbranch_execz .LBB53_185
; %bb.80:                               ;   in Loop: Header=BB53_5 Depth=1
	v_cmp_class_f16_sdwa s[94:95], v2, s98 src0_sel:WORD_1 src1_sel:DWORD
	s_mov_b64 vcc, 0
	s_mov_b64 s[92:93], exec
	v_writelane_b32 v13, s92, 6
	s_and_b64 s[94:95], s[92:93], s[94:95]
	s_nop 0
	v_writelane_b32 v13, s93, 7
	s_mov_b64 exec, s[94:95]
	s_cbranch_execz .LBB53_184
; %bb.81:                               ;   in Loop: Header=BB53_5 Depth=1
	v_add_u32_e32 v4, s9, v4
	v_ashrrev_i32_e32 v5, 31, v4
	v_lshl_add_u64 v[8:9], v[4:5], 2, s[10:11]
	global_load_dword v2, v[8:9], off
	s_waitcnt vmcnt(0)
	v_cmp_class_f16_e64 s[94:95], v2, s98
	s_mov_b64 s[92:93], exec
	;; [unrolled: 24-line block ×11, first 2 shown]
	v_writelane_b32 v13, s92, 44
	s_and_b64 s[94:95], s[92:93], s[94:95]
	s_nop 0
	v_writelane_b32 v13, s93, 45
	s_mov_b64 exec, s[94:95]
	s_cbranch_execz .LBB53_165
; %bb.100:                              ;   in Loop: Header=BB53_5 Depth=1
	v_cmp_class_f16_sdwa s[94:95], v2, s98 src0_sel:WORD_1 src1_sel:DWORD
	s_mov_b64 vcc, 0
	s_mov_b64 s[92:93], exec
	v_writelane_b32 v13, s92, 46
	s_and_b64 s[94:95], s[92:93], s[94:95]
	s_nop 0
	v_writelane_b32 v13, s93, 47
	s_mov_b64 exec, s[94:95]
	s_cbranch_execz .LBB53_164
; %bb.101:                              ;   in Loop: Header=BB53_5 Depth=1
	v_add_u32_e32 v4, s9, v4
	v_ashrrev_i32_e32 v5, 31, v4
	v_lshl_add_u64 v[8:9], v[4:5], 2, s[10:11]
	global_load_dword v2, v[8:9], off
	s_waitcnt vmcnt(0)
	v_cmp_class_f16_e64 s[94:95], v2, s98
	s_mov_b64 s[92:93], exec
	v_writelane_b32 v13, s92, 48
	s_and_b64 s[94:95], s[92:93], s[94:95]
	s_nop 0
	v_writelane_b32 v13, s93, 49
	s_mov_b64 exec, s[94:95]
	s_cbranch_execz .LBB53_163
; %bb.102:                              ;   in Loop: Header=BB53_5 Depth=1
	v_cmp_class_f16_sdwa s[94:95], v2, s98 src0_sel:WORD_1 src1_sel:DWORD
	s_mov_b64 vcc, 0
	s_mov_b64 s[92:93], exec
	v_writelane_b32 v13, s92, 50
	s_and_b64 s[94:95], s[92:93], s[94:95]
	s_nop 0
	v_writelane_b32 v13, s93, 51
	s_mov_b64 exec, s[94:95]
	s_cbranch_execz .LBB53_162
; %bb.103:                              ;   in Loop: Header=BB53_5 Depth=1
	v_add_u32_e32 v4, s9, v4
	v_ashrrev_i32_e32 v5, 31, v4
	v_lshl_add_u64 v[8:9], v[4:5], 2, s[10:11]
	global_load_dword v2, v[8:9], off
	s_waitcnt vmcnt(0)
	v_cmp_class_f16_e64 s[94:95], v2, s98
	s_mov_b64 s[92:93], exec
	;; [unrolled: 24-line block ×5, first 2 shown]
                                        ; implicit-def: $vgpr12 : SGPR spill to VGPR lane
	v_writelane_b32 v12, s92, 0
	s_and_b64 s[94:95], s[92:93], s[94:95]
	s_nop 0
	v_writelane_b32 v12, s93, 1
	s_mov_b64 exec, s[94:95]
	s_cbranch_execz .LBB53_155
; %bb.110:                              ;   in Loop: Header=BB53_5 Depth=1
	v_cmp_class_f16_sdwa s[94:95], v2, s98 src0_sel:WORD_1 src1_sel:DWORD
	s_mov_b64 vcc, 0
	s_mov_b64 s[92:93], exec
	v_writelane_b32 v12, s92, 2
	s_and_b64 s[94:95], s[92:93], s[94:95]
	s_nop 0
	v_writelane_b32 v12, s93, 3
	s_mov_b64 exec, s[94:95]
	s_cbranch_execz .LBB53_154
; %bb.111:                              ;   in Loop: Header=BB53_5 Depth=1
	v_add_u32_e32 v4, s9, v4
	v_ashrrev_i32_e32 v5, 31, v4
	v_lshl_add_u64 v[8:9], v[4:5], 2, s[10:11]
	global_load_dword v2, v[8:9], off
	s_waitcnt vmcnt(0)
	v_cmp_class_f16_e64 s[94:95], v2, s98
	s_mov_b64 s[92:93], exec
	v_writelane_b32 v12, s92, 4
	s_and_b64 s[94:95], s[92:93], s[94:95]
	s_nop 0
	v_writelane_b32 v12, s93, 5
	s_mov_b64 exec, s[94:95]
	s_cbranch_execz .LBB53_153
; %bb.112:                              ;   in Loop: Header=BB53_5 Depth=1
	v_cmp_class_f16_sdwa s[94:95], v2, s98 src0_sel:WORD_1 src1_sel:DWORD
	s_mov_b64 vcc, 0
	s_mov_b64 s[92:93], exec
	v_writelane_b32 v12, s92, 6
	s_and_b64 s[94:95], s[92:93], s[94:95]
	s_nop 0
	v_writelane_b32 v12, s93, 7
	s_mov_b64 exec, s[94:95]
	s_cbranch_execz .LBB53_152
; %bb.113:                              ;   in Loop: Header=BB53_5 Depth=1
	v_add_u32_e32 v4, s9, v4
	v_ashrrev_i32_e32 v5, 31, v4
	v_lshl_add_u64 v[8:9], v[4:5], 2, s[10:11]
	global_load_dword v2, v[8:9], off
	s_waitcnt vmcnt(0)
	v_cmp_class_f16_e64 s[94:95], v2, s98
	s_mov_b64 s[92:93], exec
	;; [unrolled: 24-line block ×10, first 2 shown]
	v_writelane_b32 v12, s92, 40
	s_and_b64 s[94:95], s[92:93], s[94:95]
	s_nop 0
	v_writelane_b32 v12, s93, 41
	s_mov_b64 exec, s[94:95]
	s_cbranch_execz .LBB53_135
; %bb.130:                              ;   in Loop: Header=BB53_5 Depth=1
	v_cmp_class_f16_sdwa s[94:95], v2, s98 src0_sel:WORD_1 src1_sel:DWORD
	s_mov_b64 vcc, 0
	s_mov_b64 s[92:93], exec
	v_writelane_b32 v12, s92, 42
	s_and_b64 s[94:95], s[92:93], s[94:95]
	s_nop 0
	v_writelane_b32 v12, s93, 43
	s_mov_b64 exec, s[94:95]
	s_cbranch_execz .LBB53_134
; %bb.131:                              ;   in Loop: Header=BB53_5 Depth=1
	v_add_u32_e32 v4, s9, v4
	v_ashrrev_i32_e32 v5, 31, v4
	v_lshl_add_u64 v[4:5], v[4:5], 2, s[10:11]
	global_load_dword v2, v[4:5], off
	s_waitcnt vmcnt(0)
	v_cmp_class_f16_e64 s[94:95], v2, s98
	s_and_saveexec_b64 s[92:93], s[94:95]
; %bb.132:                              ;   in Loop: Header=BB53_5 Depth=1
	v_cmp_class_f16_sdwa s[94:95], v2, s98 src0_sel:WORD_1 src1_sel:DWORD
	s_and_b64 vcc, s[94:95], exec
; %bb.133:                              ;   in Loop: Header=BB53_5 Depth=1
	s_or_b64 exec, exec, s[92:93]
	s_and_b64 vcc, vcc, exec
.LBB53_134:                             ;   in Loop: Header=BB53_5 Depth=1
	v_readlane_b32 s94, v12, 42
	v_readlane_b32 s95, v12, 43
	s_or_b64 exec, exec, s[94:95]
	s_and_b64 vcc, vcc, exec
.LBB53_135:                             ;   in Loop: Header=BB53_5 Depth=1
	v_readlane_b32 s92, v12, 40
	v_readlane_b32 s93, v12, 41
	s_or_b64 exec, exec, s[92:93]
	s_and_b64 vcc, vcc, exec
.LBB53_136:                             ;   in Loop: Header=BB53_5 Depth=1
	v_readlane_b32 s94, v12, 38
	v_readlane_b32 s95, v12, 39
	s_or_b64 exec, exec, s[94:95]
	s_and_b64 vcc, vcc, exec
.LBB53_137:                             ;   in Loop: Header=BB53_5 Depth=1
	v_readlane_b32 s92, v12, 36
	v_readlane_b32 s93, v12, 37
	s_or_b64 exec, exec, s[92:93]
	s_and_b64 vcc, vcc, exec
.LBB53_138:                             ;   in Loop: Header=BB53_5 Depth=1
	v_readlane_b32 s94, v12, 34
	v_readlane_b32 s95, v12, 35
	s_or_b64 exec, exec, s[94:95]
	s_and_b64 vcc, vcc, exec
.LBB53_139:                             ;   in Loop: Header=BB53_5 Depth=1
	v_readlane_b32 s92, v12, 32
	v_readlane_b32 s93, v12, 33
	s_or_b64 exec, exec, s[92:93]
	s_and_b64 vcc, vcc, exec
.LBB53_140:                             ;   in Loop: Header=BB53_5 Depth=1
	v_readlane_b32 s94, v12, 30
	v_readlane_b32 s95, v12, 31
	s_or_b64 exec, exec, s[94:95]
	s_and_b64 vcc, vcc, exec
.LBB53_141:                             ;   in Loop: Header=BB53_5 Depth=1
	v_readlane_b32 s92, v12, 28
	v_readlane_b32 s93, v12, 29
	s_or_b64 exec, exec, s[92:93]
	s_and_b64 vcc, vcc, exec
.LBB53_142:                             ;   in Loop: Header=BB53_5 Depth=1
	v_readlane_b32 s94, v12, 26
	v_readlane_b32 s95, v12, 27
	s_or_b64 exec, exec, s[94:95]
	s_and_b64 vcc, vcc, exec
.LBB53_143:                             ;   in Loop: Header=BB53_5 Depth=1
	v_readlane_b32 s92, v12, 24
	v_readlane_b32 s93, v12, 25
	s_or_b64 exec, exec, s[92:93]
	s_and_b64 vcc, vcc, exec
.LBB53_144:                             ;   in Loop: Header=BB53_5 Depth=1
	v_readlane_b32 s94, v12, 22
	v_readlane_b32 s95, v12, 23
	s_or_b64 exec, exec, s[94:95]
	s_and_b64 vcc, vcc, exec
.LBB53_145:                             ;   in Loop: Header=BB53_5 Depth=1
	v_readlane_b32 s92, v12, 20
	v_readlane_b32 s93, v12, 21
	s_or_b64 exec, exec, s[92:93]
	s_and_b64 vcc, vcc, exec
.LBB53_146:                             ;   in Loop: Header=BB53_5 Depth=1
	v_readlane_b32 s94, v12, 18
	v_readlane_b32 s95, v12, 19
	s_or_b64 exec, exec, s[94:95]
	s_and_b64 vcc, vcc, exec
.LBB53_147:                             ;   in Loop: Header=BB53_5 Depth=1
	v_readlane_b32 s92, v12, 16
	v_readlane_b32 s93, v12, 17
	s_or_b64 exec, exec, s[92:93]
	s_and_b64 vcc, vcc, exec
.LBB53_148:                             ;   in Loop: Header=BB53_5 Depth=1
	v_readlane_b32 s94, v12, 14
	v_readlane_b32 s95, v12, 15
	s_or_b64 exec, exec, s[94:95]
	s_and_b64 vcc, vcc, exec
.LBB53_149:                             ;   in Loop: Header=BB53_5 Depth=1
	v_readlane_b32 s92, v12, 12
	v_readlane_b32 s93, v12, 13
	s_or_b64 exec, exec, s[92:93]
	s_and_b64 vcc, vcc, exec
.LBB53_150:                             ;   in Loop: Header=BB53_5 Depth=1
	v_readlane_b32 s94, v12, 10
	v_readlane_b32 s95, v12, 11
	s_or_b64 exec, exec, s[94:95]
	s_and_b64 vcc, vcc, exec
.LBB53_151:                             ;   in Loop: Header=BB53_5 Depth=1
	v_readlane_b32 s92, v12, 8
	v_readlane_b32 s93, v12, 9
	s_or_b64 exec, exec, s[92:93]
	s_and_b64 vcc, vcc, exec
.LBB53_152:                             ;   in Loop: Header=BB53_5 Depth=1
	v_readlane_b32 s94, v12, 6
	v_readlane_b32 s95, v12, 7
	s_or_b64 exec, exec, s[94:95]
	s_and_b64 vcc, vcc, exec
.LBB53_153:                             ;   in Loop: Header=BB53_5 Depth=1
	v_readlane_b32 s92, v12, 4
	v_readlane_b32 s93, v12, 5
	s_or_b64 exec, exec, s[92:93]
	s_and_b64 vcc, vcc, exec
.LBB53_154:                             ;   in Loop: Header=BB53_5 Depth=1
	v_readlane_b32 s94, v12, 2
	v_readlane_b32 s95, v12, 3
	s_or_b64 exec, exec, s[94:95]
	s_and_b64 vcc, vcc, exec
.LBB53_155:                             ;   in Loop: Header=BB53_5 Depth=1
	v_readlane_b32 s92, v12, 0
	v_readlane_b32 s93, v12, 1
	s_or_b64 exec, exec, s[92:93]
	s_and_b64 vcc, vcc, exec
.LBB53_156:                             ;   in Loop: Header=BB53_5 Depth=1
	v_readlane_b32 s94, v13, 62
	v_readlane_b32 s95, v13, 63
	s_or_b64 exec, exec, s[94:95]
	s_and_b64 vcc, vcc, exec
.LBB53_157:                             ;   in Loop: Header=BB53_5 Depth=1
	v_readlane_b32 s92, v13, 60
	v_readlane_b32 s93, v13, 61
	s_or_b64 exec, exec, s[92:93]
	s_and_b64 vcc, vcc, exec
.LBB53_158:                             ;   in Loop: Header=BB53_5 Depth=1
	v_readlane_b32 s94, v13, 58
	v_readlane_b32 s95, v13, 59
	s_or_b64 exec, exec, s[94:95]
	s_and_b64 vcc, vcc, exec
.LBB53_159:                             ;   in Loop: Header=BB53_5 Depth=1
	v_readlane_b32 s92, v13, 56
	v_readlane_b32 s93, v13, 57
	s_or_b64 exec, exec, s[92:93]
	s_and_b64 vcc, vcc, exec
.LBB53_160:                             ;   in Loop: Header=BB53_5 Depth=1
	v_readlane_b32 s94, v13, 54
	v_readlane_b32 s95, v13, 55
	s_or_b64 exec, exec, s[94:95]
	s_and_b64 vcc, vcc, exec
.LBB53_161:                             ;   in Loop: Header=BB53_5 Depth=1
	v_readlane_b32 s92, v13, 52
	v_readlane_b32 s93, v13, 53
	s_or_b64 exec, exec, s[92:93]
	s_and_b64 vcc, vcc, exec
.LBB53_162:                             ;   in Loop: Header=BB53_5 Depth=1
	v_readlane_b32 s94, v13, 50
	v_readlane_b32 s95, v13, 51
	s_or_b64 exec, exec, s[94:95]
	s_and_b64 vcc, vcc, exec
.LBB53_163:                             ;   in Loop: Header=BB53_5 Depth=1
	v_readlane_b32 s92, v13, 48
	v_readlane_b32 s93, v13, 49
	s_or_b64 exec, exec, s[92:93]
	s_and_b64 vcc, vcc, exec
.LBB53_164:                             ;   in Loop: Header=BB53_5 Depth=1
	v_readlane_b32 s94, v13, 46
	v_readlane_b32 s95, v13, 47
	s_or_b64 exec, exec, s[94:95]
	s_and_b64 vcc, vcc, exec
.LBB53_165:                             ;   in Loop: Header=BB53_5 Depth=1
	v_readlane_b32 s92, v13, 44
	v_readlane_b32 s93, v13, 45
	s_or_b64 exec, exec, s[92:93]
	s_and_b64 vcc, vcc, exec
.LBB53_166:                             ;   in Loop: Header=BB53_5 Depth=1
	v_readlane_b32 s94, v13, 42
	v_readlane_b32 s95, v13, 43
	s_or_b64 exec, exec, s[94:95]
	s_and_b64 vcc, vcc, exec
.LBB53_167:                             ;   in Loop: Header=BB53_5 Depth=1
	v_readlane_b32 s92, v13, 40
	v_readlane_b32 s93, v13, 41
	s_or_b64 exec, exec, s[92:93]
	s_and_b64 vcc, vcc, exec
.LBB53_168:                             ;   in Loop: Header=BB53_5 Depth=1
	v_readlane_b32 s94, v13, 38
	v_readlane_b32 s95, v13, 39
	s_or_b64 exec, exec, s[94:95]
	s_and_b64 vcc, vcc, exec
.LBB53_169:                             ;   in Loop: Header=BB53_5 Depth=1
	v_readlane_b32 s92, v13, 36
	v_readlane_b32 s93, v13, 37
	s_or_b64 exec, exec, s[92:93]
	s_and_b64 vcc, vcc, exec
.LBB53_170:                             ;   in Loop: Header=BB53_5 Depth=1
	v_readlane_b32 s94, v13, 34
	v_readlane_b32 s95, v13, 35
	s_or_b64 exec, exec, s[94:95]
	s_and_b64 vcc, vcc, exec
.LBB53_171:                             ;   in Loop: Header=BB53_5 Depth=1
	v_readlane_b32 s92, v13, 32
	v_readlane_b32 s93, v13, 33
	s_or_b64 exec, exec, s[92:93]
	s_and_b64 vcc, vcc, exec
.LBB53_172:                             ;   in Loop: Header=BB53_5 Depth=1
	v_readlane_b32 s94, v13, 30
	v_readlane_b32 s95, v13, 31
	s_or_b64 exec, exec, s[94:95]
	s_and_b64 vcc, vcc, exec
.LBB53_173:                             ;   in Loop: Header=BB53_5 Depth=1
	v_readlane_b32 s92, v13, 28
	v_readlane_b32 s93, v13, 29
	s_or_b64 exec, exec, s[92:93]
	s_and_b64 vcc, vcc, exec
.LBB53_174:                             ;   in Loop: Header=BB53_5 Depth=1
	v_readlane_b32 s94, v13, 26
	v_readlane_b32 s95, v13, 27
	s_or_b64 exec, exec, s[94:95]
	s_and_b64 vcc, vcc, exec
.LBB53_175:                             ;   in Loop: Header=BB53_5 Depth=1
	v_readlane_b32 s92, v13, 24
	v_readlane_b32 s93, v13, 25
	s_or_b64 exec, exec, s[92:93]
	s_and_b64 vcc, vcc, exec
.LBB53_176:                             ;   in Loop: Header=BB53_5 Depth=1
	v_readlane_b32 s94, v13, 22
	v_readlane_b32 s95, v13, 23
	s_or_b64 exec, exec, s[94:95]
	s_and_b64 vcc, vcc, exec
.LBB53_177:                             ;   in Loop: Header=BB53_5 Depth=1
	v_readlane_b32 s92, v13, 20
	v_readlane_b32 s93, v13, 21
	s_or_b64 exec, exec, s[92:93]
	s_and_b64 vcc, vcc, exec
.LBB53_178:                             ;   in Loop: Header=BB53_5 Depth=1
	v_readlane_b32 s94, v13, 18
	v_readlane_b32 s95, v13, 19
	s_or_b64 exec, exec, s[94:95]
	s_and_b64 vcc, vcc, exec
.LBB53_179:                             ;   in Loop: Header=BB53_5 Depth=1
	v_readlane_b32 s92, v13, 16
	v_readlane_b32 s93, v13, 17
	s_or_b64 exec, exec, s[92:93]
	s_and_b64 vcc, vcc, exec
.LBB53_180:                             ;   in Loop: Header=BB53_5 Depth=1
	v_readlane_b32 s94, v13, 14
	v_readlane_b32 s95, v13, 15
	s_or_b64 exec, exec, s[94:95]
	s_and_b64 vcc, vcc, exec
.LBB53_181:                             ;   in Loop: Header=BB53_5 Depth=1
	v_readlane_b32 s92, v13, 12
	v_readlane_b32 s93, v13, 13
	s_or_b64 exec, exec, s[92:93]
	s_and_b64 vcc, vcc, exec
.LBB53_182:                             ;   in Loop: Header=BB53_5 Depth=1
	v_readlane_b32 s94, v13, 10
	v_readlane_b32 s95, v13, 11
	s_or_b64 exec, exec, s[94:95]
	s_and_b64 vcc, vcc, exec
.LBB53_183:                             ;   in Loop: Header=BB53_5 Depth=1
	v_readlane_b32 s92, v13, 8
	v_readlane_b32 s93, v13, 9
	s_or_b64 exec, exec, s[92:93]
	s_and_b64 vcc, vcc, exec
.LBB53_184:                             ;   in Loop: Header=BB53_5 Depth=1
	v_readlane_b32 s94, v13, 6
	v_readlane_b32 s95, v13, 7
	s_or_b64 exec, exec, s[94:95]
	s_and_b64 vcc, vcc, exec
.LBB53_185:                             ;   in Loop: Header=BB53_5 Depth=1
	v_readlane_b32 s92, v13, 4
	v_readlane_b32 s93, v13, 5
	s_or_b64 exec, exec, s[92:93]
	s_and_b64 vcc, vcc, exec
.LBB53_186:                             ;   in Loop: Header=BB53_5 Depth=1
	v_readlane_b32 s94, v13, 2
	v_readlane_b32 s95, v13, 3
	s_or_b64 exec, exec, s[94:95]
	s_and_b64 vcc, vcc, exec
.LBB53_187:                             ;   in Loop: Header=BB53_5 Depth=1
	v_readlane_b32 s92, v13, 0
	v_readlane_b32 s93, v13, 1
	s_or_b64 exec, exec, s[92:93]
	s_and_b64 vcc, vcc, exec
.LBB53_188:                             ;   in Loop: Header=BB53_5 Depth=1
	v_readlane_b32 s94, v14, 62
	v_readlane_b32 s95, v14, 63
	s_or_b64 exec, exec, s[94:95]
	s_and_b64 vcc, vcc, exec
.LBB53_189:                             ;   in Loop: Header=BB53_5 Depth=1
	v_readlane_b32 s92, v14, 60
	v_readlane_b32 s93, v14, 61
	s_or_b64 exec, exec, s[92:93]
	s_and_b64 vcc, vcc, exec
.LBB53_190:                             ;   in Loop: Header=BB53_5 Depth=1
	v_readlane_b32 s94, v14, 58
	v_readlane_b32 s95, v14, 59
	s_or_b64 exec, exec, s[94:95]
	s_and_b64 vcc, vcc, exec
.LBB53_191:                             ;   in Loop: Header=BB53_5 Depth=1
	v_readlane_b32 s92, v14, 56
	v_readlane_b32 s93, v14, 57
	s_or_b64 exec, exec, s[92:93]
	s_and_b64 vcc, vcc, exec
.LBB53_192:                             ;   in Loop: Header=BB53_5 Depth=1
	v_readlane_b32 s94, v14, 54
	v_readlane_b32 s95, v14, 55
	s_or_b64 exec, exec, s[94:95]
	s_and_b64 vcc, vcc, exec
.LBB53_193:                             ;   in Loop: Header=BB53_5 Depth=1
	v_readlane_b32 s92, v14, 52
	v_readlane_b32 s93, v14, 53
	s_or_b64 exec, exec, s[92:93]
	s_and_b64 vcc, vcc, exec
.LBB53_194:                             ;   in Loop: Header=BB53_5 Depth=1
	v_readlane_b32 s94, v14, 50
	v_readlane_b32 s95, v14, 51
	s_or_b64 exec, exec, s[94:95]
	s_and_b64 vcc, vcc, exec
.LBB53_195:                             ;   in Loop: Header=BB53_5 Depth=1
	v_readlane_b32 s92, v14, 48
	v_readlane_b32 s93, v14, 49
	s_or_b64 exec, exec, s[92:93]
	s_and_b64 vcc, vcc, exec
.LBB53_196:                             ;   in Loop: Header=BB53_5 Depth=1
	v_readlane_b32 s94, v14, 46
	v_readlane_b32 s95, v14, 47
	s_or_b64 exec, exec, s[94:95]
	s_and_b64 vcc, vcc, exec
.LBB53_197:                             ;   in Loop: Header=BB53_5 Depth=1
	v_readlane_b32 s92, v14, 44
	v_readlane_b32 s93, v14, 45
	s_or_b64 exec, exec, s[92:93]
	s_and_b64 vcc, vcc, exec
.LBB53_198:                             ;   in Loop: Header=BB53_5 Depth=1
	v_readlane_b32 s94, v14, 42
	v_readlane_b32 s95, v14, 43
	s_or_b64 exec, exec, s[94:95]
	s_and_b64 vcc, vcc, exec
.LBB53_199:                             ;   in Loop: Header=BB53_5 Depth=1
	v_readlane_b32 s92, v14, 40
	v_readlane_b32 s93, v14, 41
	s_or_b64 exec, exec, s[92:93]
	s_and_b64 vcc, vcc, exec
.LBB53_200:                             ;   in Loop: Header=BB53_5 Depth=1
	v_readlane_b32 s94, v14, 38
	v_readlane_b32 s95, v14, 39
	s_or_b64 exec, exec, s[94:95]
	s_and_b64 vcc, vcc, exec
.LBB53_201:                             ;   in Loop: Header=BB53_5 Depth=1
	v_readlane_b32 s92, v14, 36
	v_readlane_b32 s93, v14, 37
	s_or_b64 exec, exec, s[92:93]
	s_and_b64 vcc, vcc, exec
.LBB53_202:                             ;   in Loop: Header=BB53_5 Depth=1
	v_readlane_b32 s94, v14, 34
	v_readlane_b32 s95, v14, 35
	s_or_b64 exec, exec, s[94:95]
	s_and_b64 vcc, vcc, exec
.LBB53_203:                             ;   in Loop: Header=BB53_5 Depth=1
	v_readlane_b32 s92, v14, 32
	v_readlane_b32 s93, v14, 33
	s_or_b64 exec, exec, s[92:93]
	s_and_b64 vcc, vcc, exec
.LBB53_204:                             ;   in Loop: Header=BB53_5 Depth=1
	v_readlane_b32 s94, v14, 30
	v_readlane_b32 s95, v14, 31
	s_or_b64 exec, exec, s[94:95]
	s_and_b64 vcc, vcc, exec
.LBB53_205:                             ;   in Loop: Header=BB53_5 Depth=1
	v_readlane_b32 s92, v14, 28
	v_readlane_b32 s93, v14, 29
	s_or_b64 exec, exec, s[92:93]
	s_and_b64 vcc, vcc, exec
.LBB53_206:                             ;   in Loop: Header=BB53_5 Depth=1
	v_readlane_b32 s94, v14, 26
	v_readlane_b32 s95, v14, 27
	s_or_b64 exec, exec, s[94:95]
	s_and_b64 vcc, vcc, exec
.LBB53_207:                             ;   in Loop: Header=BB53_5 Depth=1
	v_readlane_b32 s92, v14, 24
	v_readlane_b32 s93, v14, 25
	s_or_b64 exec, exec, s[92:93]
	s_and_b64 vcc, vcc, exec
.LBB53_208:                             ;   in Loop: Header=BB53_5 Depth=1
	v_readlane_b32 s94, v14, 22
	v_readlane_b32 s95, v14, 23
	s_or_b64 exec, exec, s[94:95]
	s_and_b64 vcc, vcc, exec
.LBB53_209:                             ;   in Loop: Header=BB53_5 Depth=1
	v_readlane_b32 s92, v14, 20
	v_readlane_b32 s93, v14, 21
	s_or_b64 exec, exec, s[92:93]
	s_and_b64 vcc, vcc, exec
.LBB53_210:                             ;   in Loop: Header=BB53_5 Depth=1
	v_readlane_b32 s94, v14, 18
	v_readlane_b32 s95, v14, 19
	s_or_b64 exec, exec, s[94:95]
	s_and_b64 vcc, vcc, exec
.LBB53_211:                             ;   in Loop: Header=BB53_5 Depth=1
	v_readlane_b32 s92, v14, 16
	v_readlane_b32 s93, v14, 17
	s_or_b64 exec, exec, s[92:93]
	s_and_b64 vcc, vcc, exec
.LBB53_212:                             ;   in Loop: Header=BB53_5 Depth=1
	v_readlane_b32 s94, v14, 14
	v_readlane_b32 s95, v14, 15
	s_or_b64 exec, exec, s[94:95]
	s_and_b64 vcc, vcc, exec
.LBB53_213:                             ;   in Loop: Header=BB53_5 Depth=1
	v_readlane_b32 s92, v14, 12
	v_readlane_b32 s93, v14, 13
	s_or_b64 exec, exec, s[92:93]
	s_and_b64 vcc, vcc, exec
.LBB53_214:                             ;   in Loop: Header=BB53_5 Depth=1
	v_readlane_b32 s94, v14, 10
	v_readlane_b32 s95, v14, 11
	s_or_b64 exec, exec, s[94:95]
	s_and_b64 vcc, vcc, exec
.LBB53_215:                             ;   in Loop: Header=BB53_5 Depth=1
	v_readlane_b32 s92, v14, 8
	v_readlane_b32 s93, v14, 9
	s_or_b64 exec, exec, s[92:93]
	s_and_b64 vcc, vcc, exec
.LBB53_216:                             ;   in Loop: Header=BB53_5 Depth=1
	v_readlane_b32 s94, v14, 6
	v_readlane_b32 s95, v14, 7
	s_or_b64 exec, exec, s[94:95]
	s_and_b64 vcc, vcc, exec
.LBB53_217:                             ;   in Loop: Header=BB53_5 Depth=1
	v_readlane_b32 s92, v14, 4
	v_readlane_b32 s93, v14, 5
	s_or_b64 exec, exec, s[92:93]
	s_and_b64 vcc, vcc, exec
.LBB53_218:                             ;   in Loop: Header=BB53_5 Depth=1
	v_readlane_b32 s94, v14, 2
	v_readlane_b32 s95, v14, 3
	s_or_b64 exec, exec, s[94:95]
	s_and_b64 s[94:95], vcc, exec
.LBB53_219:                             ;   in Loop: Header=BB53_5 Depth=1
	v_readlane_b32 s92, v14, 0
	v_readlane_b32 s93, v14, 1
	s_or_b64 exec, exec, s[92:93]
	s_and_b64 s[92:93], s[94:95], exec
.LBB53_220:                             ;   in Loop: Header=BB53_5 Depth=1
	s_or_b64 exec, exec, s[90:91]
	s_and_b64 s[90:91], s[92:93], exec
.LBB53_221:                             ;   in Loop: Header=BB53_5 Depth=1
	s_or_b64 exec, exec, s[88:89]
	s_and_b64 s[88:89], s[90:91], exec
.LBB53_222:                             ;   in Loop: Header=BB53_5 Depth=1
	s_or_b64 exec, exec, s[86:87]
	s_and_b64 s[86:87], s[88:89], exec
.LBB53_223:                             ;   in Loop: Header=BB53_5 Depth=1
	s_or_b64 exec, exec, s[84:85]
	s_and_b64 s[84:85], s[86:87], exec
.LBB53_224:                             ;   in Loop: Header=BB53_5 Depth=1
	s_or_b64 exec, exec, s[82:83]
	s_and_b64 s[82:83], s[84:85], exec
.LBB53_225:                             ;   in Loop: Header=BB53_5 Depth=1
	s_or_b64 exec, exec, s[80:81]
	s_and_b64 s[80:81], s[82:83], exec
.LBB53_226:                             ;   in Loop: Header=BB53_5 Depth=1
	s_or_b64 exec, exec, s[78:79]
	s_and_b64 s[78:79], s[80:81], exec
.LBB53_227:                             ;   in Loop: Header=BB53_5 Depth=1
	s_or_b64 exec, exec, s[76:77]
	s_and_b64 s[76:77], s[78:79], exec
.LBB53_228:                             ;   in Loop: Header=BB53_5 Depth=1
	s_or_b64 exec, exec, s[74:75]
	s_and_b64 s[74:75], s[76:77], exec
.LBB53_229:                             ;   in Loop: Header=BB53_5 Depth=1
	s_or_b64 exec, exec, s[72:73]
	s_and_b64 s[72:73], s[74:75], exec
.LBB53_230:                             ;   in Loop: Header=BB53_5 Depth=1
	s_or_b64 exec, exec, s[70:71]
	s_and_b64 s[70:71], s[72:73], exec
.LBB53_231:                             ;   in Loop: Header=BB53_5 Depth=1
	s_or_b64 exec, exec, s[68:69]
	s_and_b64 s[68:69], s[70:71], exec
.LBB53_232:                             ;   in Loop: Header=BB53_5 Depth=1
	s_or_b64 exec, exec, s[66:67]
	s_and_b64 s[66:67], s[68:69], exec
.LBB53_233:                             ;   in Loop: Header=BB53_5 Depth=1
	s_or_b64 exec, exec, s[64:65]
	s_and_b64 s[64:65], s[66:67], exec
.LBB53_234:                             ;   in Loop: Header=BB53_5 Depth=1
	s_or_b64 exec, exec, s[62:63]
	s_and_b64 s[62:63], s[64:65], exec
.LBB53_235:                             ;   in Loop: Header=BB53_5 Depth=1
	s_or_b64 exec, exec, s[60:61]
	s_and_b64 s[60:61], s[62:63], exec
.LBB53_236:                             ;   in Loop: Header=BB53_5 Depth=1
	s_or_b64 exec, exec, s[58:59]
	s_and_b64 s[58:59], s[60:61], exec
.LBB53_237:                             ;   in Loop: Header=BB53_5 Depth=1
	s_or_b64 exec, exec, s[56:57]
	s_and_b64 s[56:57], s[58:59], exec
.LBB53_238:                             ;   in Loop: Header=BB53_5 Depth=1
	s_or_b64 exec, exec, s[54:55]
	s_and_b64 s[54:55], s[56:57], exec
.LBB53_239:                             ;   in Loop: Header=BB53_5 Depth=1
	s_or_b64 exec, exec, s[52:53]
	s_and_b64 s[52:53], s[54:55], exec
.LBB53_240:                             ;   in Loop: Header=BB53_5 Depth=1
	s_or_b64 exec, exec, s[50:51]
	s_and_b64 s[50:51], s[52:53], exec
.LBB53_241:                             ;   in Loop: Header=BB53_5 Depth=1
	s_or_b64 exec, exec, s[48:49]
	s_and_b64 s[48:49], s[50:51], exec
.LBB53_242:                             ;   in Loop: Header=BB53_5 Depth=1
	s_or_b64 exec, exec, s[46:47]
	s_and_b64 s[46:47], s[48:49], exec
.LBB53_243:                             ;   in Loop: Header=BB53_5 Depth=1
	s_or_b64 exec, exec, s[44:45]
	s_and_b64 s[44:45], s[46:47], exec
.LBB53_244:                             ;   in Loop: Header=BB53_5 Depth=1
	s_or_b64 exec, exec, s[42:43]
	s_and_b64 s[42:43], s[44:45], exec
.LBB53_245:                             ;   in Loop: Header=BB53_5 Depth=1
	s_or_b64 exec, exec, s[40:41]
	s_and_b64 s[40:41], s[42:43], exec
.LBB53_246:                             ;   in Loop: Header=BB53_5 Depth=1
	s_or_b64 exec, exec, s[38:39]
	s_and_b64 s[38:39], s[40:41], exec
.LBB53_247:                             ;   in Loop: Header=BB53_5 Depth=1
	s_or_b64 exec, exec, s[36:37]
	s_and_b64 s[36:37], s[38:39], exec
.LBB53_248:                             ;   in Loop: Header=BB53_5 Depth=1
	s_or_b64 exec, exec, s[34:35]
	s_and_b64 s[34:35], s[36:37], exec
.LBB53_249:                             ;   in Loop: Header=BB53_5 Depth=1
	s_or_b64 exec, exec, s[30:31]
	s_and_b64 s[30:31], s[34:35], exec
.LBB53_250:                             ;   in Loop: Header=BB53_5 Depth=1
	s_or_b64 exec, exec, s[28:29]
	s_and_b64 s[28:29], s[30:31], exec
.LBB53_251:                             ;   in Loop: Header=BB53_5 Depth=1
	s_or_b64 exec, exec, s[26:27]
	s_and_b64 s[26:27], s[28:29], exec
.LBB53_252:                             ;   in Loop: Header=BB53_5 Depth=1
	s_or_b64 exec, exec, s[24:25]
	s_and_b64 s[24:25], s[26:27], exec
.LBB53_253:                             ;   in Loop: Header=BB53_5 Depth=1
	s_or_b64 exec, exec, s[22:23]
	s_and_b64 s[22:23], s[24:25], exec
.LBB53_254:                             ;   in Loop: Header=BB53_5 Depth=1
	s_or_b64 exec, exec, s[20:21]
	s_and_b64 s[20:21], s[22:23], exec
.LBB53_255:                             ;   in Loop: Header=BB53_5 Depth=1
	s_or_b64 exec, exec, s[18:19]
	s_and_b64 s[18:19], s[20:21], exec
.LBB53_256:                             ;   in Loop: Header=BB53_5 Depth=1
	s_or_b64 exec, exec, s[16:17]
	s_and_b64 s[16:17], s[18:19], exec
.LBB53_257:                             ;   in Loop: Header=BB53_5 Depth=1
	s_or_b64 exec, exec, s[14:15]
	s_and_b64 s[14:15], s[16:17], exec
.LBB53_258:                             ;   in Loop: Header=BB53_5 Depth=1
	s_or_b64 exec, exec, s[4:5]
	v_and_b32_e32 v2, 0x60, v7
	v_add_u32_e32 v9, 32, v2
	v_xor_b32_e32 v2, 16, v7
	v_cmp_lt_i32_e32 vcc, v2, v9
	v_cndmask_b32_e64 v4, 0, 1, s[14:15]
	v_xor_b32_e32 v11, 1, v7
	v_cndmask_b32_e32 v2, v7, v2, vcc
	v_lshlrev_b32_e32 v2, 2, v2
	ds_bpermute_b32 v4, v2, v4
	s_waitcnt lgkmcnt(0)
	v_cmp_ne_u32_e32 vcc, 0, v4
	v_xor_b32_e32 v4, 8, v7
	s_and_b64 s[4:5], s[14:15], vcc
	v_cmp_lt_i32_e32 vcc, v4, v9
	v_cndmask_b32_e64 v5, 0, 1, s[4:5]
	s_nop 0
	v_cndmask_b32_e32 v4, v7, v4, vcc
	v_lshlrev_b32_e32 v4, 2, v4
	ds_bpermute_b32 v5, v4, v5
	s_waitcnt lgkmcnt(0)
	v_cmp_ne_u32_e32 vcc, 0, v5
	v_xor_b32_e32 v5, 4, v7
	s_and_b64 s[4:5], vcc, s[4:5]
	v_cmp_lt_i32_e32 vcc, v5, v9
	v_cndmask_b32_e64 v8, 0, 1, s[4:5]
	s_nop 0
	v_cndmask_b32_e32 v5, v7, v5, vcc
	v_lshlrev_b32_e32 v5, 2, v5
	ds_bpermute_b32 v8, v5, v8
	s_waitcnt lgkmcnt(0)
	v_cmp_ne_u32_e32 vcc, 0, v8
	v_xor_b32_e32 v8, 2, v7
	s_and_b64 s[4:5], vcc, s[4:5]
	v_cmp_lt_i32_e32 vcc, v8, v9
	v_cndmask_b32_e64 v10, 0, 1, s[4:5]
	s_nop 0
	v_cndmask_b32_e32 v8, v7, v8, vcc
	v_lshlrev_b32_e32 v8, 2, v8
	ds_bpermute_b32 v10, v8, v10
	s_waitcnt lgkmcnt(0)
	v_cmp_ne_u32_e32 vcc, 0, v10
	s_and_b64 s[4:5], vcc, s[4:5]
	v_cmp_lt_i32_e32 vcc, v11, v9
	v_cndmask_b32_e64 v10, 0, 1, s[4:5]
	s_nop 0
	v_cndmask_b32_e32 v9, v7, v11, vcc
	v_lshlrev_b32_e32 v9, 2, v9
	ds_bpermute_b32 v10, v9, v10
	s_and_saveexec_b64 s[14:15], s[0:1]
	s_cbranch_execz .LBB53_3
; %bb.259:                              ;   in Loop: Header=BB53_5 Depth=1
	s_waitcnt lgkmcnt(0)
	v_cmp_ne_u32_e32 vcc, 0, v10
	s_and_b64 s[4:5], vcc, s[4:5]
	v_cndmask_b32_e64 v10, 0, 1, s[4:5]
	ds_write_b32 v1, v10
	s_branch .LBB53_3
.LBB53_260:
	s_or_b64 exec, exec, s[12:13]
	v_cmp_eq_u32_e32 vcc, 0, v0
	s_and_saveexec_b64 s[0:1], vcc
	s_cbranch_execz .LBB53_262
; %bb.261:
	s_mul_i32 s0, s33, s3
	s_add_i32 s0, s0, s2
	s_ashr_i32 s1, s0, 31
	s_lshl_b64 s[0:1], s[0:1], 2
	s_add_u32 s0, s6, s0
	s_addc_u32 s1, s7, s1
	v_mov_b32_e32 v0, 0
	global_store_dword v0, v2, s[0:1]
.LBB53_262:
	s_endpgm
	.section	.rodata,"a",@progbits
	.p2align	6, 0x0
	.amdhsa_kernel _ZL25flash_attn_mask_to_KV_maxILi64EEvPK7__half2Piiii
		.amdhsa_group_segment_fixed_size 128
		.amdhsa_private_segment_fixed_size 0
		.amdhsa_kernarg_size 288
		.amdhsa_user_sgpr_count 2
		.amdhsa_user_sgpr_dispatch_ptr 0
		.amdhsa_user_sgpr_queue_ptr 0
		.amdhsa_user_sgpr_kernarg_segment_ptr 1
		.amdhsa_user_sgpr_dispatch_id 0
		.amdhsa_user_sgpr_kernarg_preload_length 0
		.amdhsa_user_sgpr_kernarg_preload_offset 0
		.amdhsa_user_sgpr_private_segment_size 0
		.amdhsa_uses_dynamic_stack 0
		.amdhsa_enable_private_segment 0
		.amdhsa_system_sgpr_workgroup_id_x 1
		.amdhsa_system_sgpr_workgroup_id_y 1
		.amdhsa_system_sgpr_workgroup_id_z 0
		.amdhsa_system_sgpr_workgroup_info 0
		.amdhsa_system_vgpr_workitem_id 0
		.amdhsa_next_free_vgpr 15
		.amdhsa_next_free_sgpr 100
		.amdhsa_accum_offset 16
		.amdhsa_reserve_vcc 1
		.amdhsa_float_round_mode_32 0
		.amdhsa_float_round_mode_16_64 0
		.amdhsa_float_denorm_mode_32 3
		.amdhsa_float_denorm_mode_16_64 3
		.amdhsa_dx10_clamp 1
		.amdhsa_ieee_mode 1
		.amdhsa_fp16_overflow 0
		.amdhsa_tg_split 0
		.amdhsa_exception_fp_ieee_invalid_op 0
		.amdhsa_exception_fp_denorm_src 0
		.amdhsa_exception_fp_ieee_div_zero 0
		.amdhsa_exception_fp_ieee_overflow 0
		.amdhsa_exception_fp_ieee_underflow 0
		.amdhsa_exception_fp_ieee_inexact 0
		.amdhsa_exception_int_div_zero 0
	.end_amdhsa_kernel
	.section	.text._ZL25flash_attn_mask_to_KV_maxILi64EEvPK7__half2Piiii,"axG",@progbits,_ZL25flash_attn_mask_to_KV_maxILi64EEvPK7__half2Piiii,comdat
.Lfunc_end53:
	.size	_ZL25flash_attn_mask_to_KV_maxILi64EEvPK7__half2Piiii, .Lfunc_end53-_ZL25flash_attn_mask_to_KV_maxILi64EEvPK7__half2Piiii
                                        ; -- End function
	.section	.AMDGPU.csdata,"",@progbits
; Kernel info:
; codeLenInByte = 9668
; NumSgprs: 106
; NumVgprs: 15
; NumAgprs: 0
; TotalNumVgprs: 15
; ScratchSize: 0
; MemoryBound: 0
; FloatMode: 240
; IeeeMode: 1
; LDSByteSize: 128 bytes/workgroup (compile time only)
; SGPRBlocks: 13
; VGPRBlocks: 1
; NumSGPRsForWavesPerEU: 106
; NumVGPRsForWavesPerEU: 15
; AccumOffset: 16
; Occupancy: 7
; WaveLimiterHint : 0
; COMPUTE_PGM_RSRC2:SCRATCH_EN: 0
; COMPUTE_PGM_RSRC2:USER_SGPR: 2
; COMPUTE_PGM_RSRC2:TRAP_HANDLER: 0
; COMPUTE_PGM_RSRC2:TGID_X_EN: 1
; COMPUTE_PGM_RSRC2:TGID_Y_EN: 1
; COMPUTE_PGM_RSRC2:TGID_Z_EN: 0
; COMPUTE_PGM_RSRC2:TIDIG_COMP_CNT: 0
; COMPUTE_PGM_RSRC3_GFX90A:ACCUM_OFFSET: 3
; COMPUTE_PGM_RSRC3_GFX90A:TG_SPLIT: 0
	.section	.text._ZL33flash_attn_stream_k_fixup_uniformILi112ELi64ELi1EEvPfPK15HIP_vector_typeIfLj2EEiiiiiiS1_IjLj3EES5_S5_,"axG",@progbits,_ZL33flash_attn_stream_k_fixup_uniformILi112ELi64ELi1EEvPfPK15HIP_vector_typeIfLj2EEiiiiiiS1_IjLj3EES5_S5_,comdat
	.globl	_ZL33flash_attn_stream_k_fixup_uniformILi112ELi64ELi1EEvPfPK15HIP_vector_typeIfLj2EEiiiiiiS1_IjLj3EES5_S5_ ; -- Begin function _ZL33flash_attn_stream_k_fixup_uniformILi112ELi64ELi1EEvPfPK15HIP_vector_typeIfLj2EEiiiiiiS1_IjLj3EES5_S5_
	.p2align	8
	.type	_ZL33flash_attn_stream_k_fixup_uniformILi112ELi64ELi1EEvPfPK15HIP_vector_typeIfLj2EEiiiiiiS1_IjLj3EES5_S5_,@function
_ZL33flash_attn_stream_k_fixup_uniformILi112ELi64ELi1EEvPfPK15HIP_vector_typeIfLj2EEiiiiiiS1_IjLj3EES5_S5_: ; @_ZL33flash_attn_stream_k_fixup_uniformILi112ELi64ELi1EEvPfPK15HIP_vector_typeIfLj2EEiiiiiiS1_IjLj3EES5_S5_
; %bb.0:
	s_load_dwordx8 s[8:15], s[0:1], 0x1c
	s_load_dwordx2 s[6:7], s[0:1], 0x10
	s_load_dwordx4 s[16:19], s[0:1], 0x3c
	s_waitcnt lgkmcnt(0)
	s_mul_hi_u32 s5, s11, s2
	s_add_i32 s5, s2, s5
	s_lshr_b32 s5, s5, s12
	s_mul_i32 s11, s5, s13
	s_sub_i32 s12, s2, s11
	s_mul_hi_u32 s11, s12, s14
	s_add_i32 s11, s12, s11
	s_lshr_b32 s11, s11, s15
	s_mul_i32 s13, s11, s16
	s_sub_i32 s12, s12, s13
	;; [unrolled: 5-line block ×3, first 2 shown]
	s_lshl_b32 s12, s17, 6
	s_add_i32 s12, s12, s3
	s_cmp_lt_i32 s12, s6
	s_cselect_b64 s[12:13], -1, 0
	s_add_i32 s16, s16, s4
	s_cmp_lt_i32 s16, s9
	s_cselect_b64 s[14:15], -1, 0
	s_and_b64 s[12:13], s[12:13], s[14:15]
	s_andn2_b64 vcc, exec, s[12:13]
	s_cbranch_vccnz .LBB54_6
; %bb.1:
	s_load_dwordx4 s[12:15], s[0:1], 0x0
	s_mul_i32 s0, s5, s6
	s_mul_i32 s11, s11, s9
	s_add_i32 s0, s0, s3
	s_mul_i32 s1, s7, s17
	s_mul_i32 s0, s0, s7
	s_add_i32 s5, s16, s11
	s_mulk_i32 s1, 0x1c00
	s_add_i32 s0, s5, s0
	s_mulk_i32 s0, 0x70
	v_or_b32_e32 v1, s1, v0
	v_add_u32_e32 v4, s0, v1
	s_waitcnt lgkmcnt(0)
	v_mov_b32_e32 v2, s12
	v_mov_b32_e32 v3, s13
	v_ashrrev_i32_e32 v5, 31, v4
	v_lshl_add_u64 v[2:3], v[4:5], 2, v[2:3]
	global_load_dword v7, v[2:3], off
	s_mul_i32 s6, s2, s10
	s_add_i32 s7, s6, s10
	s_add_i32 s3, s3, s4
	s_lshl_b32 s0, s7, 6
	s_add_i32 s0, s3, s0
	s_sub_i32 s0, s0, 64
	s_ashr_i32 s1, s0, 31
	s_lshl_b64 s[0:1], s[0:1], 3
	s_add_u32 s0, s14, s0
	s_addc_u32 s1, s15, s1
	s_load_dword s9, s[0:1], 0x4
	s_add_i32 s4, s7, -2
	s_cmp_lt_i32 s4, s6
	s_cbranch_scc1 .LBB54_4
; %bb.2:
	s_lshl_b32 s4, s8, 8
	s_ashr_i32 s5, s4, 31
	s_lshl_b64 s[4:5], s[4:5], 2
	s_add_u32 s4, s14, s4
	s_addc_u32 s5, s15, s5
	s_load_dword s0, s[0:1], 0x0
	s_add_i32 s2, s2, 1
	s_mul_i32 s10, s10, s2
	s_mul_i32 s1, s3, 0x70
	s_lshl_b32 s2, s10, 6
	s_mulk_i32 s10, 0x1c00
	s_add_i32 s2, s3, s2
	s_lshl_b32 s3, s8, 6
	s_add_i32 s1, s1, s10
	s_add_i32 s2, s2, s3
	v_add_u32_e32 v0, s1, v0
	s_add_i32 s7, s7, -1
	s_addk_i32 s2, 0xff80
	v_add_u32_e32 v0, 0xffffc800, v0
	s_waitcnt lgkmcnt(0)
	v_mov_b32_e32 v6, s9
	v_mov_b32_e32 v5, s0
	s_mov_b32 s8, 0x3fb8aa3b
	s_mov_b32 s9, 0xc2ce8ed0
	;; [unrolled: 1-line block ×3, first 2 shown]
	v_mov_b32_e32 v4, 0x7f800000
	s_mov_b32 s11, 0xc1a00000
.LBB54_3:                               ; =>This Inner Loop Header: Depth=1
	v_ashrrev_i32_e32 v1, 31, v0
	v_lshl_add_u64 v[8:9], v[0:1], 2, s[4:5]
	global_load_dword v1, v[8:9], off
	s_ashr_i32 s3, s2, 31
	s_lshl_b64 s[0:1], s[2:3], 3
	s_add_u32 s0, s14, s0
	s_addc_u32 s1, s15, s1
	s_load_dwordx2 s[12:13], s[0:1], 0x0
	s_waitcnt vmcnt(1)
	v_mov_b32_e32 v8, v7
	v_max_f32_e32 v7, v5, v5
	v_mov_b32_e32 v9, v6
	s_add_i32 s7, s7, -1
	s_waitcnt lgkmcnt(0)
	v_max_f32_e64 v6, s12, s12
	v_max_f32_e32 v6, v7, v6
	v_sub_f32_e32 v10, s12, v6
	v_sub_f32_e32 v7, v5, v6
	v_mul_f32_e32 v11, 0x3fb8aa3b, v10
	v_mov_b32_e32 v5, v6
	v_mul_f32_e32 v6, 0x3fb8aa3b, v7
	v_fma_f32 v14, v10, s8, -v11
	v_rndne_f32_e32 v15, v11
	v_fma_f32 v12, v7, s8, -v6
	v_rndne_f32_e32 v13, v6
	v_fmac_f32_e32 v14, 0x32a5705f, v10
	v_sub_f32_e32 v11, v11, v15
	v_fmac_f32_e32 v12, 0x32a5705f, v7
	v_sub_f32_e32 v6, v6, v13
	v_add_f32_e32 v11, v11, v14
	v_cvt_i32_f32_e32 v15, v15
	v_add_f32_e32 v6, v6, v12
	v_exp_f32_e32 v11, v11
	v_cvt_i32_f32_e32 v13, v13
	v_exp_f32_e32 v6, v6
	v_cmp_ngt_f32_e32 vcc, s9, v10
	v_ldexp_f32 v11, v11, v15
	v_cmp_ngt_f32_e64 s[0:1], s9, v7
	v_ldexp_f32 v6, v6, v13
	v_cndmask_b32_e32 v11, 0, v11, vcc
	v_cmp_nlt_f32_e32 vcc, s10, v10
	v_cndmask_b32_e64 v6, 0, v6, s[0:1]
	v_cmp_nlt_f32_e64 s[0:1], s10, v7
	v_cndmask_b32_e32 v11, v4, v11, vcc
	v_cmp_le_f32_e32 vcc, s11, v10
	v_cndmask_b32_e64 v6, v4, v6, s[0:1]
	v_cmp_le_f32_e64 s[0:1], s11, v7
	v_cndmask_b32_e32 v7, 0, v11, vcc
	s_sub_i32 s2, s2, 64
	v_cndmask_b32_e64 v10, 0, v6, s[0:1]
	v_mul_f32_e32 v6, s13, v7
	v_add_u32_e32 v0, 0xffffe400, v0
	s_cmp_le_i32 s7, s6
	v_fmac_f32_e32 v6, v9, v10
	s_waitcnt vmcnt(0)
	v_mul_f32_e32 v7, v1, v7
	v_fmac_f32_e32 v7, v8, v10
	s_cbranch_scc0 .LBB54_3
	s_branch .LBB54_5
.LBB54_4:
	s_waitcnt lgkmcnt(0)
	v_mov_b32_e32 v6, s9
.LBB54_5:
	s_waitcnt vmcnt(0)
	v_div_scale_f32 v0, s[0:1], v6, v6, v7
	v_rcp_f32_e32 v1, v0
	v_div_scale_f32 v4, vcc, v7, v6, v7
	v_fma_f32 v5, -v0, v1, 1.0
	v_fmac_f32_e32 v1, v5, v1
	v_mul_f32_e32 v5, v4, v1
	v_fma_f32 v8, -v0, v5, v4
	v_fmac_f32_e32 v5, v8, v1
	v_fma_f32 v0, -v0, v5, v4
	v_div_fmas_f32 v0, v0, v1, v5
	v_div_fixup_f32 v0, v0, v6, v7
	global_store_dword v[2:3], v0, off
.LBB54_6:
	s_endpgm
	.section	.rodata,"a",@progbits
	.p2align	6, 0x0
	.amdhsa_kernel _ZL33flash_attn_stream_k_fixup_uniformILi112ELi64ELi1EEvPfPK15HIP_vector_typeIfLj2EEiiiiiiS1_IjLj3EES5_S5_
		.amdhsa_group_segment_fixed_size 0
		.amdhsa_private_segment_fixed_size 0
		.amdhsa_kernarg_size 76
		.amdhsa_user_sgpr_count 2
		.amdhsa_user_sgpr_dispatch_ptr 0
		.amdhsa_user_sgpr_queue_ptr 0
		.amdhsa_user_sgpr_kernarg_segment_ptr 1
		.amdhsa_user_sgpr_dispatch_id 0
		.amdhsa_user_sgpr_kernarg_preload_length 0
		.amdhsa_user_sgpr_kernarg_preload_offset 0
		.amdhsa_user_sgpr_private_segment_size 0
		.amdhsa_uses_dynamic_stack 0
		.amdhsa_enable_private_segment 0
		.amdhsa_system_sgpr_workgroup_id_x 1
		.amdhsa_system_sgpr_workgroup_id_y 1
		.amdhsa_system_sgpr_workgroup_id_z 1
		.amdhsa_system_sgpr_workgroup_info 0
		.amdhsa_system_vgpr_workitem_id 0
		.amdhsa_next_free_vgpr 16
		.amdhsa_next_free_sgpr 20
		.amdhsa_accum_offset 16
		.amdhsa_reserve_vcc 1
		.amdhsa_float_round_mode_32 0
		.amdhsa_float_round_mode_16_64 0
		.amdhsa_float_denorm_mode_32 3
		.amdhsa_float_denorm_mode_16_64 3
		.amdhsa_dx10_clamp 1
		.amdhsa_ieee_mode 1
		.amdhsa_fp16_overflow 0
		.amdhsa_tg_split 0
		.amdhsa_exception_fp_ieee_invalid_op 0
		.amdhsa_exception_fp_denorm_src 0
		.amdhsa_exception_fp_ieee_div_zero 0
		.amdhsa_exception_fp_ieee_overflow 0
		.amdhsa_exception_fp_ieee_underflow 0
		.amdhsa_exception_fp_ieee_inexact 0
		.amdhsa_exception_int_div_zero 0
	.end_amdhsa_kernel
	.section	.text._ZL33flash_attn_stream_k_fixup_uniformILi112ELi64ELi1EEvPfPK15HIP_vector_typeIfLj2EEiiiiiiS1_IjLj3EES5_S5_,"axG",@progbits,_ZL33flash_attn_stream_k_fixup_uniformILi112ELi64ELi1EEvPfPK15HIP_vector_typeIfLj2EEiiiiiiS1_IjLj3EES5_S5_,comdat
.Lfunc_end54:
	.size	_ZL33flash_attn_stream_k_fixup_uniformILi112ELi64ELi1EEvPfPK15HIP_vector_typeIfLj2EEiiiiiiS1_IjLj3EES5_S5_, .Lfunc_end54-_ZL33flash_attn_stream_k_fixup_uniformILi112ELi64ELi1EEvPfPK15HIP_vector_typeIfLj2EEiiiiiiS1_IjLj3EES5_S5_
                                        ; -- End function
	.section	.AMDGPU.csdata,"",@progbits
; Kernel info:
; codeLenInByte = 820
; NumSgprs: 26
; NumVgprs: 16
; NumAgprs: 0
; TotalNumVgprs: 16
; ScratchSize: 0
; MemoryBound: 0
; FloatMode: 240
; IeeeMode: 1
; LDSByteSize: 0 bytes/workgroup (compile time only)
; SGPRBlocks: 3
; VGPRBlocks: 1
; NumSGPRsForWavesPerEU: 26
; NumVGPRsForWavesPerEU: 16
; AccumOffset: 16
; Occupancy: 8
; WaveLimiterHint : 0
; COMPUTE_PGM_RSRC2:SCRATCH_EN: 0
; COMPUTE_PGM_RSRC2:USER_SGPR: 2
; COMPUTE_PGM_RSRC2:TRAP_HANDLER: 0
; COMPUTE_PGM_RSRC2:TGID_X_EN: 1
; COMPUTE_PGM_RSRC2:TGID_Y_EN: 1
; COMPUTE_PGM_RSRC2:TGID_Z_EN: 1
; COMPUTE_PGM_RSRC2:TIDIG_COMP_CNT: 0
; COMPUTE_PGM_RSRC3_GFX90A:ACCUM_OFFSET: 3
; COMPUTE_PGM_RSRC3_GFX90A:TG_SPLIT: 0
	.section	.text._ZL33flash_attn_stream_k_fixup_generalILi112ELi64ELi1EEvPfPK15HIP_vector_typeIfLj2EEiiiiS1_IjLj3EES5_S5_S5_,"axG",@progbits,_ZL33flash_attn_stream_k_fixup_generalILi112ELi64ELi1EEvPfPK15HIP_vector_typeIfLj2EEiiiiS1_IjLj3EES5_S5_S5_,comdat
	.globl	_ZL33flash_attn_stream_k_fixup_generalILi112ELi64ELi1EEvPfPK15HIP_vector_typeIfLj2EEiiiiS1_IjLj3EES5_S5_S5_ ; -- Begin function _ZL33flash_attn_stream_k_fixup_generalILi112ELi64ELi1EEvPfPK15HIP_vector_typeIfLj2EEiiiiS1_IjLj3EES5_S5_S5_
	.p2align	8
	.type	_ZL33flash_attn_stream_k_fixup_generalILi112ELi64ELi1EEvPfPK15HIP_vector_typeIfLj2EEiiiiS1_IjLj3EES5_S5_S5_,@function
_ZL33flash_attn_stream_k_fixup_generalILi112ELi64ELi1EEvPfPK15HIP_vector_typeIfLj2EEiiiiS1_IjLj3EES5_S5_S5_: ; @_ZL33flash_attn_stream_k_fixup_generalILi112ELi64ELi1EEvPfPK15HIP_vector_typeIfLj2EEiiiiS1_IjLj3EES5_S5_S5_
; %bb.0:
	s_load_dwordx4 s[12:15], s[0:1], 0x10
	s_load_dword s22, s[0:1], 0x50
	s_mov_b32 s8, 0
	s_waitcnt lgkmcnt(0)
	s_mul_hi_i32 s9, s15, s2
	s_cmp_lg_u64 s[8:9], 0
	s_mul_i32 s5, s15, s2
	s_cbranch_scc0 .LBB55_21
; %bb.1:
	v_cvt_f32_u32_e32 v1, s22
	v_cvt_f32_ubyte0_e32 v2, 0
	s_sub_u32 s8, 0, s22
	s_subb_u32 s10, 0, 0
	v_fmamk_f32 v1, v2, 0x4f800000, v1
	v_rcp_f32_e32 v1, v1
	s_nop 0
	v_mul_f32_e32 v1, 0x5f7ffffc, v1
	v_mul_f32_e32 v2, 0x2f800000, v1
	v_trunc_f32_e32 v2, v2
	v_fmamk_f32 v1, v2, 0xcf800000, v1
	v_cvt_u32_f32_e32 v2, v2
	v_cvt_u32_f32_e32 v1, v1
	v_readfirstlane_b32 s11, v2
	v_readfirstlane_b32 s16, v1
	s_mul_i32 s17, s8, s11
	s_mul_hi_u32 s19, s8, s16
	s_mul_i32 s18, s10, s16
	s_add_i32 s17, s19, s17
	s_add_i32 s17, s17, s18
	s_mul_i32 s20, s8, s16
	s_mul_hi_u32 s18, s16, s17
	s_mul_i32 s19, s16, s17
	s_mul_hi_u32 s16, s16, s20
	s_add_u32 s16, s16, s19
	s_addc_u32 s18, 0, s18
	s_mul_hi_u32 s21, s11, s20
	s_mul_i32 s20, s11, s20
	s_add_u32 s16, s16, s20
	s_mul_hi_u32 s19, s11, s17
	s_addc_u32 s16, s18, s21
	s_addc_u32 s18, s19, 0
	s_mul_i32 s17, s11, s17
	s_add_u32 s16, s16, s17
	s_addc_u32 s17, 0, s18
	v_add_co_u32_e32 v1, vcc, s16, v1
	s_cmp_lg_u64 vcc, 0
	s_addc_u32 s11, s11, s17
	v_readfirstlane_b32 s17, v1
	s_mul_i32 s16, s8, s11
	s_mul_hi_u32 s18, s8, s17
	s_add_i32 s16, s18, s16
	s_mul_i32 s10, s10, s17
	s_add_i32 s16, s16, s10
	s_mul_i32 s8, s8, s17
	s_mul_hi_u32 s18, s11, s8
	s_mul_i32 s19, s11, s8
	s_mul_i32 s21, s17, s16
	s_mul_hi_u32 s8, s17, s8
	s_mul_hi_u32 s20, s17, s16
	s_add_u32 s8, s8, s21
	s_addc_u32 s17, 0, s20
	s_add_u32 s8, s8, s19
	s_mul_hi_u32 s10, s11, s16
	s_addc_u32 s8, s17, s18
	s_addc_u32 s10, s10, 0
	s_mul_i32 s16, s11, s16
	s_add_u32 s8, s8, s16
	s_addc_u32 s10, 0, s10
	v_add_co_u32_e32 v1, vcc, s8, v1
	s_cmp_lg_u64 vcc, 0
	s_addc_u32 s16, s11, s10
	s_ashr_i32 s10, s9, 31
	s_add_u32 s8, s5, s10
	s_mov_b32 s11, s10
	s_addc_u32 s9, s9, s10
	s_xor_b64 s[8:9], s[8:9], s[10:11]
	v_readfirstlane_b32 s19, v1
	s_mul_i32 s18, s8, s16
	s_mul_hi_u32 s20, s8, s19
	s_mul_hi_u32 s17, s8, s16
	s_add_u32 s18, s20, s18
	s_addc_u32 s17, 0, s17
	s_mul_hi_u32 s21, s9, s19
	s_mul_i32 s19, s9, s19
	s_add_u32 s18, s18, s19
	s_mul_hi_u32 s20, s9, s16
	s_addc_u32 s17, s17, s21
	s_addc_u32 s18, s20, 0
	s_mul_i32 s16, s9, s16
	s_add_u32 s16, s17, s16
	s_addc_u32 s17, 0, s18
	s_add_u32 s18, s16, 1
	s_addc_u32 s19, s17, 0
	s_add_u32 s20, s16, 2
	s_mul_i32 s23, s22, s17
	s_mul_hi_u32 s24, s22, s16
	s_addc_u32 s21, s17, 0
	s_add_i32 s24, s24, s23
	s_mul_i32 s23, s22, s16
	v_mov_b32_e32 v1, s23
	v_sub_co_u32_e32 v1, vcc, s8, v1
	s_cmp_lg_u64 vcc, 0
	s_subb_u32 s8, s9, s24
	v_subrev_co_u32_e32 v2, vcc, s22, v1
	s_cmp_lg_u64 vcc, 0
	s_subb_u32 s9, s8, 0
	v_readfirstlane_b32 s23, v2
	s_cmp_ge_u32 s23, s22
	s_cselect_b32 s23, -1, 0
	s_cmp_eq_u32 s9, 0
	s_cselect_b32 s9, s23, -1
	s_cmp_lg_u32 s9, 0
	s_cselect_b32 s9, s21, s19
	v_readfirstlane_b32 s19, v1
	s_cselect_b32 s18, s20, s18
	s_cmp_ge_u32 s19, s22
	s_cselect_b32 s19, -1, 0
	s_cmp_eq_u32 s8, 0
	s_cselect_b32 s8, s19, -1
	s_cmp_lg_u32 s8, 0
	s_cselect_b32 s9, s9, s17
	s_cselect_b32 s8, s18, s16
	s_xor_b64 s[8:9], s[8:9], s[10:11]
	s_sub_u32 s20, s8, s10
	s_load_dwordx4 s[16:19], s[0:1], 0x44
	s_cbranch_execnz .LBB55_3
.LBB55_2:
	v_cvt_f32_u32_e32 v1, s22
	s_sub_i32 s6, 0, s22
	v_rcp_iflag_f32_e32 v1, v1
	s_nop 0
	v_mul_f32_e32 v1, 0x4f7ffffe, v1
	v_cvt_u32_f32_e32 v1, v1
	s_nop 0
	v_readfirstlane_b32 s7, v1
	s_mul_i32 s6, s6, s7
	s_mul_hi_u32 s6, s7, s6
	s_add_i32 s7, s7, s6
	s_mul_hi_u32 s6, s5, s7
	s_mul_i32 s8, s6, s22
	s_sub_i32 s5, s5, s8
	s_add_i32 s7, s6, 1
	s_sub_i32 s8, s5, s22
	s_cmp_ge_u32 s5, s22
	s_cselect_b32 s6, s7, s6
	s_cselect_b32 s5, s8, s5
	s_add_i32 s7, s6, 1
	s_cmp_ge_u32 s5, s22
	s_cselect_b32 s20, s7, s6
.LBB55_3:
	s_add_i32 s5, s2, 1
	s_mul_hi_i32 s9, s15, s5
	s_mov_b32 s8, 0
	s_cmp_lg_u64 s[8:9], 0
	s_mul_i32 s5, s15, s5
	s_cbranch_scc0 .LBB55_22
; %bb.4:
	v_cvt_f32_u32_e32 v1, s22
	v_cvt_f32_ubyte0_e32 v2, 0
	s_sub_u32 s8, 0, s22
	s_subb_u32 s10, 0, 0
	v_fmamk_f32 v1, v2, 0x4f800000, v1
	v_rcp_f32_e32 v1, v1
	s_nop 0
	v_mul_f32_e32 v1, 0x5f7ffffc, v1
	v_mul_f32_e32 v2, 0x2f800000, v1
	v_trunc_f32_e32 v2, v2
	v_fmamk_f32 v1, v2, 0xcf800000, v1
	v_cvt_u32_f32_e32 v2, v2
	v_cvt_u32_f32_e32 v1, v1
	v_readfirstlane_b32 s11, v2
	s_waitcnt lgkmcnt(0)
	v_readfirstlane_b32 s19, v1
	s_mul_i32 s21, s8, s11
	s_mul_hi_u32 s24, s8, s19
	s_mul_i32 s23, s10, s19
	s_add_i32 s21, s24, s21
	s_add_i32 s21, s21, s23
	s_mul_i32 s25, s8, s19
	s_mul_hi_u32 s23, s19, s21
	s_mul_i32 s24, s19, s21
	s_mul_hi_u32 s19, s19, s25
	s_add_u32 s19, s19, s24
	s_addc_u32 s23, 0, s23
	s_mul_hi_u32 s26, s11, s25
	s_mul_i32 s25, s11, s25
	s_add_u32 s19, s19, s25
	s_mul_hi_u32 s24, s11, s21
	s_addc_u32 s19, s23, s26
	s_addc_u32 s23, s24, 0
	s_mul_i32 s21, s11, s21
	s_add_u32 s19, s19, s21
	s_addc_u32 s21, 0, s23
	v_add_co_u32_e32 v1, vcc, s19, v1
	s_cmp_lg_u64 vcc, 0
	s_addc_u32 s11, s11, s21
	v_readfirstlane_b32 s21, v1
	s_mul_i32 s19, s8, s11
	s_mul_hi_u32 s23, s8, s21
	s_add_i32 s19, s23, s19
	s_mul_i32 s10, s10, s21
	s_add_i32 s19, s19, s10
	s_mul_i32 s8, s8, s21
	s_mul_hi_u32 s23, s11, s8
	s_mul_i32 s24, s11, s8
	s_mul_i32 s26, s21, s19
	s_mul_hi_u32 s8, s21, s8
	s_mul_hi_u32 s25, s21, s19
	s_add_u32 s8, s8, s26
	s_addc_u32 s21, 0, s25
	s_add_u32 s8, s8, s24
	s_mul_hi_u32 s10, s11, s19
	s_addc_u32 s8, s21, s23
	s_addc_u32 s10, s10, 0
	s_mul_i32 s19, s11, s19
	s_add_u32 s8, s8, s19
	s_addc_u32 s10, 0, s10
	v_add_co_u32_e32 v1, vcc, s8, v1
	s_cmp_lg_u64 vcc, 0
	s_addc_u32 s19, s11, s10
	s_ashr_i32 s10, s9, 31
	s_add_u32 s8, s5, s10
	s_mov_b32 s11, s10
	s_addc_u32 s9, s9, s10
	s_xor_b64 s[8:9], s[8:9], s[10:11]
	v_readfirstlane_b32 s23, v1
	s_mul_i32 s21, s8, s19
	s_mul_hi_u32 s24, s8, s23
	s_mul_hi_u32 s11, s8, s19
	s_add_u32 s21, s24, s21
	s_addc_u32 s11, 0, s11
	s_mul_hi_u32 s25, s9, s23
	s_mul_i32 s23, s9, s23
	s_add_u32 s21, s21, s23
	s_mul_hi_u32 s24, s9, s19
	s_addc_u32 s11, s11, s25
	s_addc_u32 s21, s24, 0
	s_mul_i32 s19, s9, s19
	s_add_u32 s11, s11, s19
	s_addc_u32 s19, 0, s21
	s_mul_i32 s19, s22, s19
	s_mul_hi_u32 s24, s22, s11
	s_add_i32 s24, s24, s19
	s_mul_i32 s19, s22, s11
	v_mov_b32_e32 v1, s19
	s_add_u32 s21, s11, 1
	s_add_u32 s23, s11, 2
	v_sub_co_u32_e32 v1, vcc, s8, v1
	s_cmp_lg_u64 vcc, 0
	s_subb_u32 s8, s9, s24
	v_subrev_co_u32_e32 v2, vcc, s22, v1
	s_cmp_lg_u64 vcc, 0
	s_subb_u32 s9, s8, 0
	v_cmp_le_u32_e32 vcc, s22, v2
	s_cmp_eq_u32 s9, 0
	v_mov_b32_e32 v3, s21
	v_cndmask_b32_e64 v2, 0, -1, vcc
	s_cselect_b64 vcc, -1, 0
	v_cndmask_b32_e32 v2, -1, v2, vcc
	v_mov_b32_e32 v4, s23
	v_cmp_ne_u32_e32 vcc, 0, v2
	s_cmp_eq_u32 s8, 0
	s_nop 0
	v_cndmask_b32_e32 v2, v3, v4, vcc
	v_cmp_le_u32_e32 vcc, s22, v1
	v_mov_b32_e32 v3, s11
	s_nop 0
	v_cndmask_b32_e64 v1, 0, -1, vcc
	s_cselect_b64 vcc, -1, 0
	v_cndmask_b32_e32 v1, -1, v1, vcc
	v_cmp_ne_u32_e32 vcc, 0, v1
	s_nop 1
	v_cndmask_b32_e32 v1, v3, v2, vcc
	v_xor_b32_e32 v1, s10, v1
	v_subrev_co_u32_e32 v2, vcc, s10, v1
	s_cbranch_execnz .LBB55_6
.LBB55_5:
	v_cvt_f32_u32_e32 v1, s22
	s_sub_i32 s6, 0, s22
	s_mov_b32 s7, 0
	v_rcp_iflag_f32_e32 v1, v1
	s_nop 0
	v_mul_f32_e32 v1, 0x4f7ffffe, v1
	v_cvt_u32_f32_e32 v1, v1
	s_nop 0
	v_readfirstlane_b32 s8, v1
	s_mul_i32 s6, s6, s8
	s_mul_hi_u32 s6, s8, s6
	s_add_i32 s8, s8, s6
	s_mul_hi_u32 s6, s5, s8
	s_mul_i32 s9, s6, s22
	s_sub_i32 s5, s5, s9
	s_add_i32 s8, s6, 1
	s_sub_i32 s9, s5, s22
	s_cmp_ge_u32 s5, s22
	s_cselect_b32 s6, s8, s6
	s_cselect_b32 s5, s9, s5
	s_add_i32 s8, s6, 1
	s_cmp_ge_u32 s5, s22
	s_cselect_b32 s6, s8, s6
	v_mov_b64_e32 v[2:3], s[6:7]
.LBB55_6:
	s_waitcnt lgkmcnt(0)
	s_mul_hi_u32 s5, s20, s16
	s_add_i32 s5, s5, s20
	v_mul_hi_u32 v1, v2, s16
	s_lshr_b32 s19, s5, s17
	v_add_u32_e32 v1, v1, v2
	s_mul_i32 s5, s19, s18
	v_lshrrev_b32_e32 v1, s17, v1
	s_cmp_eq_u32 s5, s20
	v_cmp_eq_u32_e64 s[6:7], s19, v1
	v_mul_lo_u32 v1, v1, s18
	v_cmp_eq_u32_e32 vcc, s20, v2
	s_cselect_b64 s[10:11], -1, 0
	v_cmp_ne_u32_e64 s[8:9], v1, v2
	s_and_b64 s[6:7], s[6:7], s[8:9]
	s_or_b64 s[8:9], vcc, s[10:11]
	s_or_b64 s[6:7], s[8:9], s[6:7]
	s_and_b64 vcc, exec, s[6:7]
	s_cbranch_vccnz .LBB55_24
; %bb.7:
	s_load_dwordx8 s[24:31], s[0:1], 0x20
	s_load_dword s5, s[0:1], 0x40
	s_waitcnt lgkmcnt(0)
	s_mul_hi_u32 s6, s20, s24
	s_add_i32 s6, s6, s20
	s_lshr_b32 s7, s6, s25
	s_mul_i32 s6, s7, s26
	s_sub_i32 s6, s20, s6
	s_mul_hi_u32 s8, s6, s27
	s_add_i32 s8, s6, s8
	s_lshr_b32 s23, s8, s28
	s_mul_i32 s8, s23, s29
	s_sub_i32 s6, s6, s8
	;; [unrolled: 5-line block ×3, first 2 shown]
	s_mul_hi_u32 s6, s5, s16
	s_add_i32 s5, s5, s6
	s_lshr_b32 s24, s5, s17
	s_lshl_b32 s5, s24, 6
	s_add_i32 s5, s5, s3
	s_cmp_lt_i32 s5, s12
	s_cselect_b64 s[8:9], -1, 0
	s_add_i32 s25, s25, s4
	s_cmp_lt_i32 s25, s14
	s_cselect_b64 s[10:11], -1, 0
	s_and_b64 s[8:9], s[8:9], s[10:11]
	s_andn2_b64 vcc, exec, s[8:9]
	s_mov_b32 s6, 0
	s_cbranch_vccnz .LBB55_24
; %bb.8:
	s_load_dwordx4 s[8:11], s[0:1], 0x0
	s_lshl_b32 s0, s22, 8
	s_mov_b32 s1, s6
	s_add_i32 s21, s3, s4
	s_lshl_b64 s[0:1], s[0:1], 2
	s_waitcnt lgkmcnt(0)
	s_add_u32 s4, s10, s0
	s_mul_i32 s0, s7, s12
	s_addc_u32 s5, s11, s1
	s_mul_i32 s23, s23, s14
	s_add_i32 s0, s0, s3
	s_mul_i32 s0, s0, s13
	s_add_i32 s3, s25, s23
	;; [unrolled: 2-line block ×3, first 2 shown]
	s_mulk_i32 s1, 0x1c00
	s_mulk_i32 s0, 0x70
	s_add_i32 s1, s1, s0
	v_add_u32_e32 v4, s1, v0
	v_mov_b32_e32 v2, s8
	v_mov_b32_e32 v3, s9
	v_ashrrev_i32_e32 v5, 31, v4
	v_lshl_add_u64 v[2:3], v[4:5], 2, v[2:3]
	global_load_dword v5, v[2:3], off
	s_lshl_b32 s0, s2, 6
	s_add_i32 s0, s0, s21
	s_ashr_i32 s1, s0, 31
	s_lshl_b64 s[0:1], s[0:1], 3
	s_add_u32 s0, s10, s0
	s_addc_u32 s1, s11, s1
	s_add_i32 s12, s2, -1
	s_mul_i32 s2, s21, 0x70
	v_add_u32_e32 v4, s2, v0
	v_cvt_f32_u32_e32 v0, s22
	v_cvt_f32_ubyte0_e32 v1, 0
	s_load_dwordx2 s[0:1], s[0:1], 0x0
	v_mov_b32_e32 v8, s20
	v_fmac_f32_e32 v0, 0x4f800000, v1
	v_rcp_f32_e32 v0, v0
	v_cvt_f32_u32_e32 v1, s22
	s_waitcnt lgkmcnt(0)
	v_mov_b32_e32 v6, s1
	v_mov_b32_e32 v7, s0
	v_mul_f32_e32 v0, 0x5f7ffffc, v0
	v_rcp_iflag_f32_e32 v1, v1
	v_mul_f32_e32 v9, 0x2f800000, v0
	v_trunc_f32_e32 v10, v9
	v_fmac_f32_e32 v0, 0xcf800000, v10
	v_cvt_u32_f32_e32 v9, v0
	v_mul_f32_e32 v0, 0x4f7ffffe, v1
	v_cvt_u32_f32_e32 v10, v10
	v_cvt_u32_f32_e32 v11, v0
	s_mov_b32 s8, 0x3fb8aa3b
	s_mov_b32 s9, 0xc2ce8ed0
	;; [unrolled: 1-line block ×4, first 2 shown]
	v_mov_b32_e32 v12, 0x7f800000
	s_mul_hi_i32 s7, s12, s15
	s_cmp_lg_u64 s[6:7], 0
	s_mul_i32 s2, s12, s15
	s_cbranch_scc0 .LBB55_15
.LBB55_9:
	s_sub_u32 s0, 0, s22
	v_readfirstlane_b32 s3, v9
	v_readfirstlane_b32 s24, v10
	s_subb_u32 s1, 0, 0
	s_mul_hi_u32 s23, s0, s3
	s_mul_i32 s25, s0, s24
	s_mul_i32 s20, s1, s3
	s_add_i32 s23, s23, s25
	s_add_i32 s23, s23, s20
	s_mul_i32 s26, s0, s3
	s_mul_hi_u32 s20, s3, s23
	s_mul_i32 s25, s3, s23
	s_mul_hi_u32 s3, s3, s26
	s_add_u32 s3, s3, s25
	s_addc_u32 s20, 0, s20
	s_mul_hi_u32 s27, s24, s26
	s_mul_i32 s26, s24, s26
	s_add_u32 s3, s3, s26
	s_mul_hi_u32 s25, s24, s23
	s_addc_u32 s3, s20, s27
	s_addc_u32 s20, s25, 0
	s_mul_i32 s23, s24, s23
	s_add_u32 s3, s3, s23
	s_addc_u32 s20, 0, s20
	v_add_co_u32_e32 v0, vcc, s3, v9
	s_cmp_lg_u64 vcc, 0
	s_addc_u32 s3, s24, s20
	v_readfirstlane_b32 s23, v0
	s_mul_i32 s20, s0, s3
	s_mul_hi_u32 s24, s0, s23
	s_add_i32 s20, s24, s20
	s_mul_i32 s1, s1, s23
	s_add_i32 s20, s20, s1
	s_mul_i32 s0, s0, s23
	s_mul_hi_u32 s24, s3, s0
	s_mul_i32 s25, s3, s0
	s_mul_i32 s27, s23, s20
	s_mul_hi_u32 s0, s23, s0
	s_mul_hi_u32 s26, s23, s20
	s_add_u32 s0, s0, s27
	s_addc_u32 s23, 0, s26
	s_add_u32 s0, s0, s25
	s_mul_hi_u32 s1, s3, s20
	s_addc_u32 s0, s23, s24
	s_addc_u32 s1, s1, 0
	s_mul_i32 s20, s3, s20
	s_add_u32 s0, s0, s20
	s_addc_u32 s1, 0, s1
	v_add_co_u32_e32 v0, vcc, s0, v0
	s_cmp_lg_u64 vcc, 0
	s_addc_u32 s3, s3, s1
	s_ashr_i32 s0, s7, 31
	s_add_u32 s24, s2, s0
	s_mov_b32 s1, s0
	s_addc_u32 s25, s7, s0
	s_xor_b64 s[24:25], s[24:25], s[0:1]
	v_readfirstlane_b32 s20, v0
	s_mul_i32 s7, s24, s3
	s_mul_hi_u32 s23, s24, s20
	s_mul_hi_u32 s1, s24, s3
	s_add_u32 s7, s23, s7
	s_addc_u32 s1, 0, s1
	s_mul_hi_u32 s26, s25, s20
	s_mul_i32 s20, s25, s20
	s_add_u32 s7, s7, s20
	s_mul_hi_u32 s23, s25, s3
	s_addc_u32 s1, s1, s26
	s_addc_u32 s7, s23, 0
	s_mul_i32 s3, s25, s3
	s_add_u32 s1, s1, s3
	s_addc_u32 s3, 0, s7
	s_mul_i32 s3, s22, s3
	s_mul_hi_u32 s23, s22, s1
	s_add_i32 s23, s23, s3
	s_mul_i32 s3, s22, s1
	v_mov_b32_e32 v0, s3
	s_add_u32 s7, s1, 1
	s_add_u32 s20, s1, 2
	v_sub_co_u32_e32 v0, vcc, s24, v0
	s_cmp_lg_u64 vcc, 0
	s_subb_u32 s3, s25, s23
	v_subrev_co_u32_e32 v1, vcc, s22, v0
	s_cmp_lg_u64 vcc, 0
	s_subb_u32 s23, s3, 0
	v_cmp_le_u32_e32 vcc, s22, v1
	s_cmp_eq_u32 s23, 0
	v_mov_b32_e32 v13, s7
	v_cndmask_b32_e64 v1, 0, -1, vcc
	s_cselect_b64 vcc, -1, 0
	v_cndmask_b32_e32 v1, -1, v1, vcc
	v_mov_b32_e32 v14, s20
	v_cmp_ne_u32_e32 vcc, 0, v1
	s_cmp_eq_u32 s3, 0
	s_nop 0
	v_cndmask_b32_e32 v1, v13, v14, vcc
	v_cmp_le_u32_e32 vcc, s22, v0
	v_mov_b32_e32 v13, s1
	s_nop 0
	v_cndmask_b32_e64 v0, 0, -1, vcc
	s_cselect_b64 vcc, -1, 0
	v_cndmask_b32_e32 v0, -1, v0, vcc
	v_cmp_ne_u32_e32 vcc, 0, v0
	s_nop 1
	v_cndmask_b32_e32 v0, v13, v1, vcc
	v_xor_b32_e32 v0, s0, v0
	v_subrev_co_u32_e32 v0, vcc, s0, v0
	s_cbranch_execnz .LBB55_11
.LBB55_10:
	s_sub_i32 s0, 0, s22
	v_mul_lo_u32 v0, s0, v11
	v_mul_hi_u32 v0, v11, v0
	v_add_u32_e32 v0, v11, v0
	v_mul_hi_u32 v0, s2, v0
	v_mul_lo_u32 v13, v0, s22
	v_sub_u32_e32 v13, s2, v13
	v_add_u32_e32 v1, 1, v0
	v_subrev_u32_e32 v14, s22, v13
	v_cmp_le_u32_e32 vcc, s22, v13
	s_nop 1
	v_cndmask_b32_e32 v13, v13, v14, vcc
	v_cndmask_b32_e32 v0, v0, v1, vcc
	v_add_u32_e32 v1, 1, v0
	v_cmp_le_u32_e32 vcc, s22, v13
	s_nop 1
	v_cndmask_b32_e32 v0, v0, v1, vcc
.LBB55_11:
	v_cmp_ne_u32_e32 vcc, v8, v0
	s_cbranch_vccz .LBB55_14
; %bb.12:
	s_add_i32 s0, s12, s22
	s_lshl_b32 s0, s0, 6
	v_mul_hi_u32 v1, v0, s16
	s_add_i32 s0, s0, s21
	s_mov_b32 s1, s6
	v_add_u32_e32 v1, v1, v0
	s_lshl_b64 s[0:1], s[0:1], 3
	v_lshrrev_b32_e32 v1, s17, v1
	s_add_u32 s2, s10, s0
	v_mul_lo_u32 v13, v1, s18
	s_addc_u32 s3, s11, s1
	v_cmp_eq_u32_e32 vcc, v13, v0
	v_cmp_gt_u32_e64 s[0:1], s19, v1
	s_or_b64 s[0:1], s[0:1], vcc
	s_and_b64 vcc, exec, s[0:1]
	s_cbranch_vccnz .LBB55_16
; %bb.13:
	s_add_i32 s7, s12, -1
	s_mov_b64 s[0:1], 0
	s_branch .LBB55_17
.LBB55_14:
                                        ; implicit-def: $sgpr0_sgpr1
                                        ; implicit-def: $vgpr14
                                        ; implicit-def: $vgpr1
                                        ; implicit-def: $vgpr13
                                        ; implicit-def: $sgpr7
                                        ; implicit-def: $vgpr0
	s_branch .LBB55_18
.LBB55_15:
                                        ; implicit-def: $vgpr0_vgpr1
	s_branch .LBB55_10
.LBB55_16:
	s_mov_b64 s[0:1], -1
	s_mov_b32 s7, s12
	v_mov_b32_e32 v0, v8
.LBB55_17:
	s_mul_i32 s20, s12, 0x1c00
	v_add_u32_e32 v14, s20, v4
	v_ashrrev_i32_e32 v15, 31, v14
	v_lshl_add_u64 v[14:15], v[14:15], 2, s[4:5]
	global_load_dword v14, v[14:15], off
	s_load_dwordx2 s[2:3], s[2:3], 0x0
	v_max_f32_e32 v1, v7, v7
	s_waitcnt lgkmcnt(0)
	v_max_f32_e64 v13, s2, s2
	v_max_f32_e32 v1, v1, v13
	v_sub_f32_e32 v13, v7, v1
	v_sub_f32_e32 v15, s2, v1
	v_mul_f32_e32 v16, 0x3fb8aa3b, v13
	v_mul_f32_e32 v17, 0x3fb8aa3b, v15
	v_fma_f32 v18, v13, s8, -v16
	v_rndne_f32_e32 v19, v16
	v_fma_f32 v20, v15, s8, -v17
	v_rndne_f32_e32 v21, v17
	v_fmac_f32_e32 v18, 0x32a5705f, v13
	v_sub_f32_e32 v16, v16, v19
	v_fmac_f32_e32 v20, 0x32a5705f, v15
	v_sub_f32_e32 v17, v17, v21
	v_add_f32_e32 v16, v16, v18
	v_cvt_i32_f32_e32 v19, v19
	v_add_f32_e32 v17, v17, v20
	v_exp_f32_e32 v16, v16
	v_cvt_i32_f32_e32 v21, v21
	v_exp_f32_e32 v17, v17
	v_cmp_ngt_f32_e32 vcc, s9, v13
	v_ldexp_f32 v16, v16, v19
	v_ldexp_f32 v17, v17, v21
	v_cndmask_b32_e32 v16, 0, v16, vcc
	v_cmp_ngt_f32_e32 vcc, s9, v15
	s_nop 1
	v_cndmask_b32_e32 v17, 0, v17, vcc
	v_cmp_nlt_f32_e32 vcc, s13, v13
	s_nop 1
	v_cndmask_b32_e32 v16, v12, v16, vcc
	v_cmp_nlt_f32_e32 vcc, s13, v15
	s_nop 1
	v_cndmask_b32_e32 v17, v12, v17, vcc
	v_cmp_le_f32_e32 vcc, s14, v13
	s_nop 1
	v_cndmask_b32_e32 v16, 0, v16, vcc
	v_cmp_le_f32_e32 vcc, s14, v15
	s_nop 1
	v_cndmask_b32_e32 v15, 0, v17, vcc
	v_mul_f32_e32 v13, s3, v15
	v_fmac_f32_e32 v13, v6, v16
	s_waitcnt vmcnt(0)
	v_mul_f32_e32 v14, v14, v15
	v_fmac_f32_e32 v14, v5, v16
	s_cbranch_execnz .LBB55_19
.LBB55_18:
	s_add_i32 s7, s12, -1
	s_mov_b64 s[0:1], 0
	v_mov_b32_e32 v0, v8
	v_mov_b32_e32 v13, v6
	;; [unrolled: 1-line block ×3, first 2 shown]
	s_waitcnt vmcnt(0)
	v_mov_b32_e32 v14, v5
.LBB55_19:
	s_andn2_b64 vcc, exec, s[0:1]
	s_cbranch_vccz .LBB55_23
; %bb.20:
	v_mov_b32_e32 v8, v0
	s_mov_b32 s12, s7
	v_mov_b32_e32 v6, v13
	v_mov_b32_e32 v7, v1
	s_waitcnt vmcnt(0)
	v_mov_b32_e32 v5, v14
	s_mul_hi_i32 s7, s12, s15
	s_cmp_lg_u64 s[6:7], 0
	s_mul_i32 s2, s12, s15
	s_cbranch_scc1 .LBB55_9
	s_branch .LBB55_15
.LBB55_21:
                                        ; implicit-def: $sgpr20_sgpr21
	s_load_dwordx4 s[16:19], s[0:1], 0x44
	s_branch .LBB55_2
.LBB55_22:
                                        ; implicit-def: $vgpr2_vgpr3
	s_branch .LBB55_5
.LBB55_23:
	v_div_scale_f32 v0, s[0:1], v13, v13, v14
	v_rcp_f32_e32 v1, v0
	v_div_scale_f32 v4, vcc, v14, v13, v14
	s_waitcnt vmcnt(0)
	v_fma_f32 v5, -v0, v1, 1.0
	v_fmac_f32_e32 v1, v5, v1
	v_mul_f32_e32 v5, v4, v1
	v_fma_f32 v6, -v0, v5, v4
	v_fmac_f32_e32 v5, v6, v1
	v_fma_f32 v0, -v0, v5, v4
	v_div_fmas_f32 v0, v0, v1, v5
	v_div_fixup_f32 v0, v0, v13, v14
	global_store_dword v[2:3], v0, off
.LBB55_24:
	s_endpgm
	.section	.rodata,"a",@progbits
	.p2align	6, 0x0
	.amdhsa_kernel _ZL33flash_attn_stream_k_fixup_generalILi112ELi64ELi1EEvPfPK15HIP_vector_typeIfLj2EEiiiiS1_IjLj3EES5_S5_S5_
		.amdhsa_group_segment_fixed_size 0
		.amdhsa_private_segment_fixed_size 0
		.amdhsa_kernarg_size 336
		.amdhsa_user_sgpr_count 2
		.amdhsa_user_sgpr_dispatch_ptr 0
		.amdhsa_user_sgpr_queue_ptr 0
		.amdhsa_user_sgpr_kernarg_segment_ptr 1
		.amdhsa_user_sgpr_dispatch_id 0
		.amdhsa_user_sgpr_kernarg_preload_length 0
		.amdhsa_user_sgpr_kernarg_preload_offset 0
		.amdhsa_user_sgpr_private_segment_size 0
		.amdhsa_uses_dynamic_stack 0
		.amdhsa_enable_private_segment 0
		.amdhsa_system_sgpr_workgroup_id_x 1
		.amdhsa_system_sgpr_workgroup_id_y 1
		.amdhsa_system_sgpr_workgroup_id_z 1
		.amdhsa_system_sgpr_workgroup_info 0
		.amdhsa_system_vgpr_workitem_id 0
		.amdhsa_next_free_vgpr 22
		.amdhsa_next_free_sgpr 32
		.amdhsa_accum_offset 24
		.amdhsa_reserve_vcc 1
		.amdhsa_float_round_mode_32 0
		.amdhsa_float_round_mode_16_64 0
		.amdhsa_float_denorm_mode_32 3
		.amdhsa_float_denorm_mode_16_64 3
		.amdhsa_dx10_clamp 1
		.amdhsa_ieee_mode 1
		.amdhsa_fp16_overflow 0
		.amdhsa_tg_split 0
		.amdhsa_exception_fp_ieee_invalid_op 0
		.amdhsa_exception_fp_denorm_src 0
		.amdhsa_exception_fp_ieee_div_zero 0
		.amdhsa_exception_fp_ieee_overflow 0
		.amdhsa_exception_fp_ieee_underflow 0
		.amdhsa_exception_fp_ieee_inexact 0
		.amdhsa_exception_int_div_zero 0
	.end_amdhsa_kernel
	.section	.text._ZL33flash_attn_stream_k_fixup_generalILi112ELi64ELi1EEvPfPK15HIP_vector_typeIfLj2EEiiiiS1_IjLj3EES5_S5_S5_,"axG",@progbits,_ZL33flash_attn_stream_k_fixup_generalILi112ELi64ELi1EEvPfPK15HIP_vector_typeIfLj2EEiiiiS1_IjLj3EES5_S5_S5_,comdat
.Lfunc_end55:
	.size	_ZL33flash_attn_stream_k_fixup_generalILi112ELi64ELi1EEvPfPK15HIP_vector_typeIfLj2EEiiiiS1_IjLj3EES5_S5_S5_, .Lfunc_end55-_ZL33flash_attn_stream_k_fixup_generalILi112ELi64ELi1EEvPfPK15HIP_vector_typeIfLj2EEiiiiS1_IjLj3EES5_S5_S5_
                                        ; -- End function
	.section	.AMDGPU.csdata,"",@progbits
; Kernel info:
; codeLenInByte = 2860
; NumSgprs: 38
; NumVgprs: 22
; NumAgprs: 0
; TotalNumVgprs: 22
; ScratchSize: 0
; MemoryBound: 0
; FloatMode: 240
; IeeeMode: 1
; LDSByteSize: 0 bytes/workgroup (compile time only)
; SGPRBlocks: 4
; VGPRBlocks: 2
; NumSGPRsForWavesPerEU: 38
; NumVGPRsForWavesPerEU: 22
; AccumOffset: 24
; Occupancy: 8
; WaveLimiterHint : 0
; COMPUTE_PGM_RSRC2:SCRATCH_EN: 0
; COMPUTE_PGM_RSRC2:USER_SGPR: 2
; COMPUTE_PGM_RSRC2:TRAP_HANDLER: 0
; COMPUTE_PGM_RSRC2:TGID_X_EN: 1
; COMPUTE_PGM_RSRC2:TGID_Y_EN: 1
; COMPUTE_PGM_RSRC2:TGID_Z_EN: 1
; COMPUTE_PGM_RSRC2:TIDIG_COMP_CNT: 0
; COMPUTE_PGM_RSRC3_GFX90A:ACCUM_OFFSET: 5
; COMPUTE_PGM_RSRC3_GFX90A:TG_SPLIT: 0
	.section	.text._ZL15flash_attn_tileILi112ELi112ELi32ELi1ELb0EEvPKcS1_S1_S1_S1_PKiPfP15HIP_vector_typeIfLj2EEffffjfiS5_IjLj3EEiiiiiiiiiiiliiliiiiil,"axG",@progbits,_ZL15flash_attn_tileILi112ELi112ELi32ELi1ELb0EEvPKcS1_S1_S1_S1_PKiPfP15HIP_vector_typeIfLj2EEffffjfiS5_IjLj3EEiiiiiiiiiiiliiliiiiil,comdat
	.globl	_ZL15flash_attn_tileILi112ELi112ELi32ELi1ELb0EEvPKcS1_S1_S1_S1_PKiPfP15HIP_vector_typeIfLj2EEffffjfiS5_IjLj3EEiiiiiiiiiiiliiliiiiil ; -- Begin function _ZL15flash_attn_tileILi112ELi112ELi32ELi1ELb0EEvPKcS1_S1_S1_S1_PKiPfP15HIP_vector_typeIfLj2EEffffjfiS5_IjLj3EEiiiiiiiiiiiliiliiiiil
	.p2align	8
	.type	_ZL15flash_attn_tileILi112ELi112ELi32ELi1ELb0EEvPKcS1_S1_S1_S1_PKiPfP15HIP_vector_typeIfLj2EEffffjfiS5_IjLj3EEiiiiiiiiiiiliiliiiiil,@function
_ZL15flash_attn_tileILi112ELi112ELi32ELi1ELb0EEvPKcS1_S1_S1_S1_PKiPfP15HIP_vector_typeIfLj2EEffffjfiS5_IjLj3EEiiiiiiiiiiiliiliiiiil: ; @_ZL15flash_attn_tileILi112ELi112ELi32ELi1ELb0EEvPKcS1_S1_S1_S1_PKiPfP15HIP_vector_typeIfLj2EEffffjfiS5_IjLj3EEiiiiiiiiiiiliiliiiiil
; %bb.0:
	s_load_dwordx4 s[52:55], s[0:1], 0x5c
	s_load_dwordx2 s[58:59], s[0:1], 0x80
	s_load_dwordx16 s[36:51], s[0:1], 0x0
	s_load_dwordx2 s[10:11], s[0:1], 0xb8
	s_mov_b64 s[56:57], 0
	s_waitcnt lgkmcnt(0)
	v_cvt_f32_u32_e32 v1, s55
	s_sub_i32 s5, 0, s55
	v_rcp_iflag_f32_e32 v1, v1
	s_nop 0
	v_mul_f32_e32 v1, 0x4f7ffffe, v1
	v_cvt_u32_f32_e32 v1, v1
	s_nop 0
	v_readfirstlane_b32 s6, v1
	s_mul_i32 s5, s5, s6
	s_mul_hi_u32 s5, s6, s5
	s_add_i32 s6, s6, s5
	s_mul_hi_u32 s5, s4, s6
	s_mul_i32 s6, s5, s55
	s_sub_i32 s6, s4, s6
	s_add_i32 s7, s5, 1
	s_sub_i32 s8, s6, s55
	s_cmp_ge_u32 s6, s55
	s_cselect_b32 s5, s7, s5
	s_cselect_b32 s6, s8, s6
	s_add_i32 s7, s5, 1
	s_cmp_ge_u32 s6, s55
	s_cselect_b32 s33, s7, s5
	s_abs_i32 s5, s59
	v_cvt_f32_u32_e32 v1, s5
	s_sub_i32 s8, 0, s5
	s_abs_i32 s7, s55
	s_xor_b32 s6, s55, s59
	v_rcp_iflag_f32_e32 v1, v1
	s_ashr_i32 s6, s6, 31
	s_cmp_eq_u64 s[42:43], 0
	v_mul_f32_e32 v1, 0x4f7ffffe, v1
	v_cvt_u32_f32_e32 v1, v1
	v_mul_lo_u32 v2, s8, v1
	v_mul_hi_u32 v2, v1, v2
	v_add_u32_e32 v1, v1, v2
	v_mul_hi_u32 v1, s7, v1
	v_mul_lo_u32 v2, v1, s5
	v_sub_u32_e32 v2, s7, v2
	v_add_u32_e32 v3, 1, v1
	v_subrev_u32_e32 v4, s5, v2
	v_cmp_le_u32_e32 vcc, s5, v2
	s_nop 1
	v_cndmask_b32_e32 v1, v1, v3, vcc
	v_cndmask_b32_e32 v2, v2, v4, vcc
	v_add_u32_e32 v3, 1, v1
	v_cmp_le_u32_e32 vcc, s5, v2
	s_mul_i32 s5, s33, s55
	s_nop 0
	v_cndmask_b32_e32 v1, v1, v3, vcc
	v_xor_b32_e32 v1, s6, v1
	v_subrev_u32_e32 v3, s6, v1
	v_sub_u32_e32 v1, 0, v3
	v_max_i32_e32 v2, v3, v1
	v_cvt_f32_u32_e32 v1, v2
	v_rcp_iflag_f32_e32 v1, v1
	s_nop 0
	v_mul_f32_e32 v1, 0x4f7ffffe, v1
	s_cbranch_scc1 .LBB56_2
; %bb.1:
	s_abs_i32 s8, s10
	v_cvt_f32_u32_e32 v4, s8
	s_sub_i32 s12, 0, s8
	s_abs_i32 s10, s33
	s_ashr_i32 s9, s33, 31
	v_rcp_iflag_f32_e32 v4, v4
	s_load_dwordx2 s[6:7], s[0:1], 0xc8
	v_mul_f32_e32 v4, 0x4f7ffffe, v4
	v_cvt_u32_f32_e32 v4, v4
	s_nop 0
	v_readfirstlane_b32 s13, v4
	s_mul_i32 s12, s12, s13
	s_mul_hi_u32 s12, s13, s12
	s_add_i32 s13, s13, s12
	s_mul_hi_u32 s12, s10, s13
	s_mul_i32 s12, s12, s8
	s_sub_i32 s10, s10, s12
	s_sub_i32 s12, s10, s8
	s_cmp_ge_u32 s10, s8
	s_cselect_b32 s10, s12, s10
	s_sub_i32 s12, s10, s8
	s_cmp_ge_u32 s10, s8
	s_cselect_b32 s8, s12, s10
	s_xor_b32 s8, s8, s9
	s_sub_i32 s8, s8, s9
	s_ashr_i32 s9, s8, 31
	s_waitcnt lgkmcnt(0)
	s_mul_i32 s7, s8, s7
	s_mul_hi_u32 s10, s8, s6
	s_add_i32 s7, s10, s7
	s_mul_i32 s9, s9, s6
	s_add_i32 s7, s7, s9
	s_mul_i32 s8, s8, s6
	s_add_u32 s56, s42, s8
	s_addc_u32 s57, s43, s7
.LBB56_2:
	s_load_dwordx4 s[12:15], s[0:1], 0x40
	s_sub_i32 s34, s4, s5
	s_load_dword s4, s[0:1], 0x50
	v_cvt_u32_f32_e32 v4, v1
	v_sub_u32_e32 v1, 0, v2
	s_waitcnt lgkmcnt(0)
	v_cmp_le_f32_e64 s[6:7], s13, 0
	s_and_b64 vcc, exec, s[6:7]
	v_mov_b32_e32 v75, 1.0
	s_cbranch_vccnz .LBB56_4
; %bb.3:
	s_sub_i32 s5, s34, s4
	s_lshl_b32 s5, s5, 1
	s_add_i32 s6, s34, 1
	s_or_b32 s7, s5, 1
	s_cmp_lt_u32 s34, s4
	s_cselect_b64 vcc, -1, 0
	s_and_b64 s[4:5], vcc, exec
	v_mov_b32_e32 v5, s15
	v_mov_b32_e32 v6, s14
	s_cselect_b32 s4, s6, s7
	v_cndmask_b32_e32 v22, v5, v6, vcc
	v_cvt_f32_i32_e32 v5, s4
	v_cmp_neq_f32_e32 vcc, 1.0, v22
	s_mov_b32 s4, 0x3f2aaaab
	s_movk_i32 s6, 0x204
	v_cndmask_b32_e32 v23, 1.0, v5, vcc
	v_cmp_eq_f32_e32 vcc, 0, v23
	s_mov_b32 s8, 0x42b17218
	s_mov_b32 s7, 0x7f800000
	v_cndmask_b32_e64 v24, |v22|, 1.0, vcc
	v_frexp_mant_f32_e32 v5, v24
	v_cmp_gt_f32_e64 s[4:5], s4, v5
	s_brev_b32 s10, -2
	s_nop 0
	v_cndmask_b32_e64 v6, 1.0, 2.0, s[4:5]
	v_mul_f32_e32 v5, v5, v6
	v_add_f32_e32 v6, 1.0, v5
	v_rcp_f32_e32 v14, v6
	v_add_f32_e32 v7, -1.0, v6
	v_sub_f32_e32 v9, v5, v7
	v_add_f32_e32 v7, -1.0, v5
	v_mul_f32_e32 v5, v7, v14
	v_mul_f32_e32 v8, v6, v5
	v_fma_f32 v10, v5, v6, -v8
	v_fmac_f32_e32 v10, v5, v9
	v_add_f32_e32 v6, v8, v10
	v_sub_f32_e32 v9, v7, v6
	v_pk_add_f32 v[12:13], v[6:7], v[8:9] neg_lo:[0,1] neg_hi:[0,1]
	v_mov_b32_e32 v11, v6
	v_pk_add_f32 v[6:7], v[12:13], v[10:11] neg_lo:[0,1] neg_hi:[0,1]
	v_mov_b32_e32 v10, 0x3e91f4c4
	v_add_f32_e32 v6, v6, v7
	v_add_f32_e32 v6, v9, v6
	v_mul_f32_e32 v7, v14, v6
	v_add_f32_e32 v6, v5, v7
	v_sub_f32_e32 v5, v6, v5
	v_sub_f32_e32 v5, v7, v5
	v_mul_f32_e32 v7, v6, v6
	v_fma_f32 v9, v6, v6, -v7
	v_add_f32_e32 v8, v5, v5
	v_fmac_f32_e32 v9, v6, v8
	v_add_f32_e32 v8, v7, v9
	v_fmac_f32_e32 v10, 0x3e76c4e1, v8
	v_fmaak_f32 v10, v8, v10, 0x3ecccdef
	v_sub_f32_e32 v7, v8, v7
	v_sub_f32_e32 v16, v9, v7
	v_mul_f32_e32 v7, v8, v10
	v_fma_f32 v9, v8, v10, -v7
	v_fmac_f32_e32 v9, v16, v10
	v_add_f32_e32 v10, v7, v9
	v_add_f32_e32 v11, 0x3f2aaaaa, v10
	v_sub_f32_e32 v7, v10, v7
	v_sub_f32_e32 v7, v9, v7
	v_add_f32_e32 v9, 0xbf2aaaaa, v11
	v_add_f32_e32 v7, 0x31739010, v7
	v_sub_f32_e32 v9, v10, v9
	v_pk_mul_f32 v[12:13], v[6:7], v[8:9]
	v_pk_add_f32 v[14:15], v[6:7], v[8:9]
	v_fma_f32 v10, v8, v6, -v12
	v_fmac_f32_e32 v10, v8, v5
	v_mov_b32_e32 v13, v15
	v_fmac_f32_e32 v10, v16, v6
	v_pk_add_f32 v[8:9], v[12:13], v[10:11]
	v_ldexp_f32 v5, v5, 1
	v_sub_f32_e32 v7, v8, v12
	v_sub_f32_e32 v7, v10, v7
	;; [unrolled: 1-line block ×3, first 2 shown]
	v_add_f32_e32 v13, v15, v10
	v_mov_b32_e32 v10, v9
	v_pk_mul_f32 v[10:11], v[8:9], v[10:11]
	v_cvt_f64_f32_e32 v[14:15], v24
	v_frexp_exp_i32_f64_e32 v11, v[14:15]
	v_subbrev_co_u32_e64 v11, s[4:5], 0, v11, s[4:5]
	v_cvt_f32_i32_e32 v11, v11
	v_fma_f32 v12, v8, v9, -v10
	v_fmac_f32_e32 v12, v8, v13
	s_mov_b32 s4, 0x3f317218
	v_mul_f32_e32 v8, 0x3f317218, v11
	v_fmac_f32_e32 v12, v7, v9
	v_fma_f32 v7, v11, s4, -v8
	v_fmamk_f32 v14, v11, 0xb102e308, v7
	v_ldexp_f32 v15, v6, 1
	v_add_f32_e32 v9, v10, v12
	v_pk_add_f32 v[6:7], v[8:9], v[14:15]
	v_mov_b32_e32 v16, v9
	v_mov_b32_e32 v17, v7
	;; [unrolled: 1-line block ×3, first 2 shown]
	v_pk_add_f32 v[10:11], v[16:17], v[10:11] neg_lo:[0,1] neg_hi:[0,1]
	v_mov_b32_e32 v13, v9
	v_pk_add_f32 v[10:11], v[12:13], v[10:11] neg_lo:[0,1] neg_hi:[0,1]
	v_mov_b32_e32 v15, v6
	v_add_f32_e32 v5, v5, v10
	v_add_f32_e32 v9, v5, v11
	v_pk_add_f32 v[10:11], v[6:7], v[8:9] neg_lo:[0,1] neg_hi:[0,1]
	v_pk_add_f32 v[12:13], v[6:7], v[8:9]
	v_mov_b32_e32 v16, v10
	v_mov_b32_e32 v17, v13
	v_pk_add_f32 v[16:17], v[14:15], v[16:17]
	v_pk_add_f32 v[10:11], v[14:15], v[10:11] neg_lo:[0,1] neg_hi:[0,1]
	v_mov_b32_e32 v8, v17
	v_pk_add_f32 v[18:19], v[8:9], v[6:7] neg_lo:[0,1] neg_hi:[0,1]
	v_mov_b32_e32 v16, v13
	v_mov_b32_e32 v5, v18
	;; [unrolled: 1-line block ×4, first 2 shown]
	v_pk_add_f32 v[20:21], v[12:13], v[4:5] neg_lo:[0,1] neg_hi:[0,1]
	v_pk_add_f32 v[6:7], v[16:17], v[6:7] neg_lo:[0,1] neg_hi:[0,1]
	v_mov_b32_e32 v14, v9
	v_pk_add_f32 v[6:7], v[14:15], v[6:7] neg_lo:[0,1] neg_hi:[0,1]
	v_mov_b32_e32 v20, v10
	v_pk_add_f32 v[12:13], v[20:21], v[6:7]
	v_mov_b32_e32 v11, v17
	v_mov_b32_e32 v14, v13
	v_pk_add_f32 v[14:15], v[12:13], v[14:15]
	s_nop 0
	v_pk_add_f32 v[8:9], v[8:9], v[14:15]
	v_mov_b32_e32 v7, v14
	v_mov_b32_e32 v13, v8
	v_pk_add_f32 v[16:17], v[12:13], v[10:11] neg_lo:[0,1] neg_hi:[0,1]
	s_nop 0
	v_sub_f32_e32 v5, v12, v16
	v_pk_add_f32 v[6:7], v[6:7], v[16:17] neg_lo:[0,1] neg_hi:[0,1]
	v_sub_f32_e32 v5, v10, v5
	v_add_f32_e32 v5, v6, v5
	v_add_f32_e32 v5, v5, v7
	;; [unrolled: 1-line block ×3, first 2 shown]
	v_sub_f32_e32 v7, v6, v8
	v_sub_f32_e32 v5, v5, v7
	v_mul_f32_e32 v7, v23, v6
	v_fma_f32 v6, v23, v6, -v7
	v_fmac_f32_e32 v6, v23, v5
	v_add_f32_e32 v5, v7, v6
	v_cmp_class_f32_e64 s[4:5], v7, s6
	v_sub_f32_e32 v8, v5, v7
	v_sub_f32_e32 v6, v6, v8
	v_cndmask_b32_e64 v5, v5, v7, s[4:5]
	v_mov_b32_e32 v7, 0x37000000
	v_cmp_eq_f32_e64 s[4:5], s8, v5
	s_nop 1
	v_cndmask_b32_e64 v7, 0, v7, s[4:5]
	v_sub_f32_e32 v8, v5, v7
	s_mov_b32 s4, 0x3fb8aa3b
	v_mul_f32_e32 v9, 0x3fb8aa3b, v8
	v_fma_f32 v10, v8, s4, -v9
	v_rndne_f32_e32 v11, v9
	v_fmamk_f32 v10, v8, 0x32a5705f, v10
	v_sub_f32_e32 v9, v9, v11
	v_add_f32_e32 v9, v9, v10
	v_exp_f32_e32 v9, v9
	v_cvt_i32_f32_e32 v10, v11
	v_cmp_neq_f32_e64 s[4:5], |v5|, s7
	s_nop 1
	v_cndmask_b32_e64 v5, 0, v6, s[4:5]
	s_mov_b32 s4, 0xc2ce8ed0
	v_ldexp_f32 v6, v9, v10
	v_cmp_ngt_f32_e64 s[4:5], s4, v8
	v_add_f32_e32 v5, v7, v5
	v_mov_b32_e32 v7, 0x7f800000
	v_cndmask_b32_e64 v6, 0, v6, s[4:5]
	v_cmp_nlt_f32_e64 s[4:5], s8, v8
	v_trunc_f32_e32 v8, v23
	v_mov_b32_e32 v9, 0x7fc00000
	v_cndmask_b32_e64 v6, v7, v6, s[4:5]
	v_fma_f32 v5, v6, v5, v6
	v_cmp_class_f32_e64 s[4:5], v6, s6
	v_cmp_gt_f32_e64 s[8:9], 0, v23
	s_nop 0
	v_cndmask_b32_e64 v5, v5, v6, s[4:5]
	v_cndmask_b32_e64 v6, v22, 1.0, vcc
	v_cmp_eq_f32_e32 vcc, v8, v23
	v_mul_f32_e32 v8, 0.5, v23
	v_trunc_f32_e32 v10, v8
	v_cmp_neq_f32_e64 s[4:5], v10, v8
	s_and_b64 s[4:5], vcc, s[4:5]
	s_nop 0
	v_cndmask_b32_e64 v8, 1.0, v6, s[4:5]
	v_bfi_b32 v5, s10, v5, v8
	v_cndmask_b32_e32 v8, v9, v5, vcc
	v_cmp_gt_f32_e32 vcc, 0, v6
	s_nop 1
	v_cndmask_b32_e32 v5, v5, v8, vcc
	v_cmp_eq_f32_e32 vcc, s7, v24
	v_cmp_eq_f32_e64 s[6:7], 0, v6
	s_xor_b64 s[8:9], s[8:9], s[6:7]
	v_cndmask_b32_e64 v7, v7, 0, s[8:9]
	v_cndmask_b32_e64 v8, 0, v6, s[4:5]
	v_bfi_b32 v7, s10, v7, v8
	s_or_b64 vcc, vcc, s[6:7]
	v_cndmask_b32_e32 v5, v5, v7, vcc
	v_cmp_o_f32_e32 vcc, v6, v6
	s_nop 1
	v_cndmask_b32_e32 v75, v9, v5, vcc
.LBB56_4:
	s_load_dwordx4 s[4:7], s[0:1], 0x70
	s_lshl_b32 s42, s2, 5
	v_bfe_u32 v73, v0, 10, 10
	v_and_b32_e32 v114, 0x3ff, v0
	v_mul_lo_u32 v6, v1, v4
	s_waitcnt lgkmcnt(0)
	s_mul_i32 s6, s33, s6
	s_ashr_i32 s7, s6, 31
	s_mul_i32 s5, s34, s5
	s_add_u32 s6, s36, s6
	s_addc_u32 s7, s37, s7
	s_ashr_i32 s8, s5, 31
	s_add_u32 s6, s6, s5
	s_addc_u32 s7, s7, s8
	v_lshlrev_b32_e32 v116, 2, v73
	s_ashr_i32 s5, s4, 31
	v_lshlrev_b32_e32 v0, 4, v114
	v_mov_b32_e32 v1, 0
	v_cmp_gt_u32_e64 s[30:31], 28, v114
	s_lshr_b64 s[4:5], s[4:5], 2
	v_lshl_add_u64 v[0:1], s[6:7], 0, v[0:1]
	v_lshlrev_b32_e32 v5, 1, v114
	v_add_u32_e32 v117, s42, v116
	s_and_saveexec_b64 s[6:7], s[30:31]
	s_cbranch_execz .LBB56_6
; %bb.5:
	v_mul_hi_u32 v7, v117, s52
	v_add_u32_e32 v7, v117, v7
	v_lshrrev_b32_e32 v7, s53, v7
	v_mul_lo_u32 v7, v7, s54
	v_sub_u32_e32 v7, v117, v7
	v_mad_u64_u32 v[8:9], s[8:9], s4, v7, 0
	v_mov_b32_e32 v10, v9
	v_mad_u64_u32 v[10:11], s[8:9], s5, v7, v[10:11]
	v_mov_b32_e32 v9, v10
	v_lshl_add_u64 v[8:9], v[8:9], 2, v[0:1]
	global_load_dwordx4 v[8:11], v[8:9], off
	s_waitcnt vmcnt(0)
	v_pk_mul_f32 v[8:9], v[8:9], s[12:13] op_sel_hi:[1,0]
	v_pk_mul_f32 v[10:11], v[10:11], s[12:13] op_sel_hi:[1,0]
	v_cvt_f16_f32_e32 v7, v9
	v_cvt_f16_f32_e32 v9, v11
	;; [unrolled: 1-line block ×4, first 2 shown]
	v_mul_u32_u24_e32 v11, 0xe0, v73
	v_add_lshl_u32 v11, v11, v5, 2
	v_pack_b32_f16 v9, v10, v9
	v_pack_b32_f16 v8, v8, v7
	ds_write_b64 v11, v[8:9]
.LBB56_6:
	s_or_b64 exec, exec, s[6:7]
	v_or_b32_e32 v113, 1, v116
	v_mul_hi_u32 v6, v4, v6
	v_add_u32_e32 v115, s42, v113
	s_and_saveexec_b64 s[6:7], s[30:31]
	s_cbranch_execz .LBB56_8
; %bb.7:
	v_mul_hi_u32 v7, v115, s52
	v_add_u32_e32 v7, v115, v7
	v_lshrrev_b32_e32 v7, s53, v7
	v_mul_lo_u32 v7, v7, s54
	v_sub_u32_e32 v7, v115, v7
	v_mad_u64_u32 v[8:9], s[8:9], s4, v7, 0
	v_mov_b32_e32 v10, v9
	v_mad_u64_u32 v[10:11], s[8:9], s5, v7, v[10:11]
	v_mov_b32_e32 v9, v10
	v_lshl_add_u64 v[8:9], v[8:9], 2, v[0:1]
	global_load_dwordx4 v[8:11], v[8:9], off
	s_waitcnt vmcnt(0)
	v_pk_mul_f32 v[8:9], v[8:9], s[12:13] op_sel_hi:[1,0]
	v_pk_mul_f32 v[10:11], v[10:11], s[12:13] op_sel_hi:[1,0]
	v_cvt_f16_f32_e32 v7, v9
	v_cvt_f16_f32_e32 v9, v11
	;; [unrolled: 1-line block ×4, first 2 shown]
	v_mul_u32_u24_e32 v11, 56, v113
	v_add_lshl_u32 v11, v11, v5, 2
	v_pack_b32_f16 v9, v10, v9
	v_pack_b32_f16 v8, v8, v7
	ds_write_b64 v11, v[8:9]
.LBB56_8:
	s_or_b64 exec, exec, s[6:7]
	s_abs_i32 s8, s34
	v_add_u32_e32 v4, v4, v6
	v_or_b32_e32 v112, 2, v116
	s_and_saveexec_b64 s[6:7], s[30:31]
	s_cbranch_execz .LBB56_10
; %bb.9:
	v_add_u32_e32 v6, s42, v112
	v_mul_hi_u32 v7, v6, s52
	v_add_u32_e32 v7, v6, v7
	v_lshrrev_b32_e32 v7, s53, v7
	v_mul_lo_u32 v7, v7, s54
	v_sub_u32_e32 v9, v6, v7
	v_mad_u64_u32 v[6:7], s[14:15], s4, v9, 0
	v_mov_b32_e32 v8, v7
	v_mad_u64_u32 v[8:9], s[14:15], s5, v9, v[8:9]
	v_mov_b32_e32 v7, v8
	v_lshl_add_u64 v[6:7], v[6:7], 2, v[0:1]
	global_load_dwordx4 v[6:9], v[6:7], off
	s_waitcnt vmcnt(0)
	v_pk_mul_f32 v[6:7], v[6:7], s[12:13] op_sel_hi:[1,0]
	v_pk_mul_f32 v[8:9], v[8:9], s[12:13] op_sel_hi:[1,0]
	v_cvt_f16_f32_e32 v10, v7
	v_cvt_f16_f32_e32 v7, v9
	v_cvt_f16_f32_e32 v8, v8
	v_cvt_f16_f32_e32 v6, v6
	v_mul_u32_u24_e32 v9, 56, v112
	v_add_lshl_u32 v9, v9, v5, 2
	v_pack_b32_f16 v7, v8, v7
	v_pack_b32_f16 v6, v6, v10
	ds_write_b64 v9, v[6:7]
.LBB56_10:
	s_or_b64 exec, exec, s[6:7]
	v_mul_hi_u32 v4, s8, v4
	v_or_b32_e32 v77, 3, v116
	s_and_saveexec_b64 s[6:7], s[30:31]
	s_cbranch_execz .LBB56_12
; %bb.11:
	v_add_u32_e32 v6, s42, v77
	v_mul_hi_u32 v7, v6, s52
	v_add_u32_e32 v7, v6, v7
	v_lshrrev_b32_e32 v7, s53, v7
	v_mul_lo_u32 v7, v7, s54
	v_sub_u32_e32 v9, v6, v7
	v_mad_u64_u32 v[6:7], s[14:15], s4, v9, 0
	v_mov_b32_e32 v8, v7
	v_mad_u64_u32 v[8:9], s[4:5], s5, v9, v[8:9]
	v_mov_b32_e32 v7, v8
	v_lshl_add_u64 v[0:1], v[6:7], 2, v[0:1]
	global_load_dwordx4 v[6:9], v[0:1], off
	s_waitcnt vmcnt(0)
	v_pk_mul_f32 v[0:1], v[6:7], s[12:13] op_sel_hi:[1,0]
	v_pk_mul_f32 v[6:7], v[8:9], s[12:13] op_sel_hi:[1,0]
	v_cvt_f16_f32_e32 v8, v1
	v_cvt_f16_f32_e32 v1, v7
	;; [unrolled: 1-line block ×4, first 2 shown]
	v_mul_u32_u24_e32 v7, 56, v77
	v_add_lshl_u32 v5, v7, v5, 2
	v_pack_b32_f16 v1, v6, v1
	v_pack_b32_f16 v0, v0, v8
	ds_write_b64 v5, v[0:1]
.LBB56_12:
	s_or_b64 exec, exec, s[6:7]
	s_ashr_i32 s35, s34, 31
	v_ashrrev_i32_e32 v0, 31, v3
	s_cmp_eq_u64 s[46:47], 0
	s_waitcnt lgkmcnt(0)
	s_barrier
	s_cbranch_scc1 .LBB56_14
; %bb.13:
	s_load_dword s4, s[0:1], 0xd0
	s_mov_b32 s5, 0
	s_waitcnt lgkmcnt(0)
	s_mul_i32 s4, s4, s33
	s_add_i32 s4, s4, s2
	s_lshl_b64 s[4:5], s[4:5], 2
	s_add_u32 s4, s46, s4
	s_addc_u32 s5, s47, s5
	s_load_dword s58, s[4:5], 0x0
.LBB56_14:
	s_load_dwordx2 s[12:13], s[0:1], 0x8c
	s_nop 0
	s_load_dwordx4 s[4:7], s[0:1], 0x98
	v_mul_lo_u32 v1, v4, v2
	v_sub_u32_e32 v1, s8, v1
	v_add_u32_e32 v3, 1, v4
	v_sub_u32_e32 v5, v1, v2
	v_cmp_ge_u32_e32 vcc, v1, v2
	s_load_dwordx2 s[14:15], s[0:1], 0xa8
	s_waitcnt lgkmcnt(0)
	s_ashr_i32 s2, s6, 2
	v_cndmask_b32_e32 v3, v4, v3, vcc
	v_cndmask_b32_e32 v1, v1, v5, vcc
	v_add_u32_e32 v4, 1, v3
	v_cmp_ge_u32_e32 vcc, v1, v2
	s_ashr_i32 s6, s33, 31
	s_mul_i32 s5, s33, s5
	s_mul_hi_u32 s9, s33, s4
	v_xor_b32_e32 v0, s35, v0
	v_cndmask_b32_e32 v1, v3, v4, vcc
	s_add_i32 s5, s9, s5
	s_mul_i32 s9, s6, s4
	v_xor_b32_e32 v1, v1, v0
	s_ashr_i32 s47, s12, 2
	s_ashr_i32 s46, s11, 1
	s_add_i32 s5, s5, s9
	s_mul_i32 s4, s33, s4
	v_sub_u32_e32 v2, v1, v0
	s_add_u32 s4, s38, s4
	v_mul_lo_u32 v0, v2, s13
	s_addc_u32 s5, s39, s5
	v_ashrrev_i32_e32 v1, 31, v0
	v_lshl_add_u64 v[82:83], s[4:5], 0, v[0:1]
	s_mul_i32 s4, s33, s15
	s_mul_hi_u32 s5, s33, s14
	s_add_i32 s4, s5, s4
	s_mul_i32 s6, s6, s14
	s_add_i32 s5, s4, s6
	s_mul_i32 s4, s33, s14
	s_add_u32 s4, s40, s4
	v_mul_lo_u32 v0, v2, s7
	v_lshlrev_b32_e32 v76, 2, v114
	s_addc_u32 s5, s41, s5
	v_ashrrev_i32_e32 v1, 31, v0
	s_lshl_b32 s43, s3, 5
	s_sub_i32 s59, s58, 32
	v_lshl_add_u64 v[78:79], s[4:5], 0, v[0:1]
	s_mov_b32 s4, 0xfeffffff
	s_cmp_ge_i32 s43, s59
	v_mov_b32_e32 v3, 0
	v_mov_b32_e32 v125, 0
	v_lshl_add_u32 v131, v73, 5, v114
	v_lshrrev_b32_e32 v130, 1, v114
	v_lshrrev_b32_e32 v81, 2, v114
	v_lshlrev_b32_e32 v129, 7, v114
	v_and_b32_e32 v74, 4, v76
	v_and_b32_e32 v80, 12, v76
	v_lshlrev_b32_e32 v118, 3, v114
	v_lshrrev_b32_e32 v127, 3, v114
	v_and_b32_e32 v72, 28, v76
	v_mbcnt_lo_u32_b32 v128, -1, 0
	s_cbranch_scc1 .LBB56_50
; %bb.15:
	v_lshl_add_u32 v0, v73, 4, v130
	v_lshlrev_b32_e32 v2, 2, v74
	v_lshl_or_b32 v3, v0, 7, v2
	v_lshl_add_u32 v1, v73, 3, v81
	v_add_u32_e32 v135, 0x1c40, v3
	v_lshlrev_b32_e32 v3, 2, v80
	v_lshl_or_b32 v4, v1, 7, v3
	v_add_u32_e32 v136, 0x1c00, v4
	v_mul_hi_u32 v4, s52, v117
	v_add_u32_e32 v4, v117, v4
	v_lshrrev_b32_e32 v4, s53, v4
	v_mul_lo_u32 v4, v4, s54
	v_sub_u32_e32 v4, v117, v4
	v_mul_lo_u32 v137, v4, s46
	v_or_b32_e32 v4, 1, v117
	v_mul_hi_u32 v5, s52, v4
	v_add_u32_e32 v5, v4, v5
	v_lshrrev_b32_e32 v5, s53, v5
	v_mul_lo_u32 v5, v5, s54
	v_sub_u32_e32 v4, v4, v5
	v_mul_lo_u32 v138, v4, s46
	v_or_b32_e32 v4, 2, v117
	;; [unrolled: 7-line block ×3, first 2 shown]
	v_mul_hi_u32 v5, s52, v4
	v_add_u32_e32 v5, v4, v5
	v_lshrrev_b32_e32 v5, s53, v5
	v_mul_lo_u32 v5, v5, s54
	v_sub_u32_e32 v4, v4, v5
	v_mul_lo_u32 v140, v4, s46
	v_mov_b32_e32 v4, 0x2c40
	v_cmp_gt_u32_e64 s[6:7], 32, v0
	v_mul_lo_u32 v86, s47, v0
	s_cmp_lg_u64 s[56:57], 0
	v_lshl_add_u32 v141, v73, 8, v4
	v_cmp_gt_u32_e64 s[10:11], 16, v0
	v_add_u32_e32 v4, v116, v127
	v_mul_u32_u24_e32 v5, 0xe0, v0
	v_mul_lo_u32 v92, s2, v0
	v_mul_u32_u24_e32 v0, 0xe0, v1
	s_movk_i32 s17, 0x1c80
	v_cmp_gt_u32_e64 s[8:9], 32, v1
	s_movk_i32 s16, 0x1c00
	v_mul_lo_u32 v84, s47, v131
	v_mov_b32_e32 v89, 0
	v_mul_lo_u32 v90, s47, v1
	s_cselect_b64 s[36:37], -1, 0
	v_cmp_gt_u32_e64 s[12:13], 16, v1
	v_or_b32_e32 v2, v5, v2
	v_add3_u32 v143, v0, v3, s17
	v_mul_lo_u32 v94, s2, v1
	v_mul_u32_u24_e32 v0, 0xe0, v4
	v_lshlrev_b32_e32 v1, 2, v72
	v_mul_lo_u32 v96, s2, v4
	s_add_u32 s38, s0, 0xd0
	v_mov_b32_e32 v8, 0xfeffffff
	v_cmp_gt_u32_e64 s[4:5], 32, v131
	v_add_u32_e32 v132, 0x1c00, v129
	v_mul_u32_u24_e32 v133, 0x380, v73
	v_add_u32_e32 v134, 0x1c60, v129
	v_ashrrev_i32_e32 v85, 31, v84
	v_ashrrev_i32_e32 v87, 31, v86
	;; [unrolled: 1-line block ×3, first 2 shown]
	v_cmp_gt_u32_e64 s[14:15], 16, v4
	v_add_u32_e32 v142, 0x1cc0, v2
	v_ashrrev_i32_e32 v93, 31, v92
	v_ashrrev_i32_e32 v95, 31, v94
	v_add3_u32 v144, v0, v1, s16
	v_ashrrev_i32_e32 v97, 31, v96
	s_addc_u32 s39, s1, 0
	v_mbcnt_hi_u32_b32 v145, -1, v128
	s_mov_b32 s60, 0x3fb8aa3b
	s_mov_b32 s61, 0xc2ce8ed0
	;; [unrolled: 1-line block ×3, first 2 shown]
	v_lshlrev_b32_e32 v88, 2, v74
	v_lshlrev_b32_e32 v98, 2, v80
	v_mov_b32_e32 v146, 0x7f800000
	v_mov_b32_e32 v120, v89
	;; [unrolled: 1-line block ×16, first 2 shown]
.LBB56_16:                              ; =>This Inner Loop Header: Depth=1
	s_mul_hi_i32 s17, s43, s47
	s_mul_i32 s16, s43, s47
	s_lshl_b64 s[16:17], s[16:17], 2
	v_lshl_add_u64 v[6:7], v[82:83], 0, s[16:17]
	v_lshl_add_u64 v[12:13], v[84:85], 2, v[6:7]
	s_and_saveexec_b64 s[16:17], s[4:5]
	s_cbranch_execnz .LBB56_42
; %bb.17:                               ;   in Loop: Header=BB56_16 Depth=1
	s_or_b64 exec, exec, s[16:17]
	v_lshl_add_u64 v[4:5], v[86:87], 2, v[6:7]
	s_and_saveexec_b64 s[16:17], s[6:7]
	s_cbranch_execnz .LBB56_43
.LBB56_18:                              ;   in Loop: Header=BB56_16 Depth=1
	s_or_b64 exec, exec, s[16:17]
	v_lshl_add_u64 v[6:7], v[90:91], 2, v[6:7]
	s_and_saveexec_b64 s[16:17], s[8:9]
	s_cbranch_execz .LBB56_20
.LBB56_19:                              ;   in Loop: Header=BB56_16 Depth=1
	v_mov_b32_e32 v99, v89
	v_lshl_add_u64 v[14:15], v[6:7], 0, v[98:99]
	global_load_dwordx4 v[14:17], v[14:15], off
	s_waitcnt vmcnt(0)
	ds_write_b128 v136, v[14:17]
.LBB56_20:                              ;   in Loop: Header=BB56_16 Depth=1
	s_or_b64 exec, exec, s[16:17]
	s_waitcnt lgkmcnt(0)
	s_barrier
	ds_read_b128 v[18:21], v132
	ds_read_b128 v[22:25], v133
	ds_read_b128 v[26:29], v133 offset:224
	ds_read_b128 v[30:33], v133 offset:448
	;; [unrolled: 1-line block ×3, first 2 shown]
	v_mov_b32_e32 v17, 0
	s_waitcnt lgkmcnt(3)
	;;#ASMSTART
	v_dot2_f32_f16 v17, v18, v22, v17
	;;#ASMEND
	v_mov_b32_e32 v16, 0
	;;#ASMSTART
	v_dot2_f32_f16 v17, v19, v23, v17
	;;#ASMEND
	v_mov_b32_e32 v14, 0
	;; [unrolled: 4-line block ×3, first 2 shown]
	;;#ASMSTART
	v_dot2_f32_f16 v17, v21, v25, v17
	;;#ASMEND
	s_waitcnt lgkmcnt(2)
	;;#ASMSTART
	v_dot2_f32_f16 v16, v18, v26, v16
	;;#ASMEND
	s_nop 0
	;;#ASMSTART
	v_dot2_f32_f16 v16, v19, v27, v16
	;;#ASMEND
	s_nop 0
	;;#ASMSTART
	v_dot2_f32_f16 v16, v20, v28, v16
	;;#ASMEND
	s_nop 0
	;;#ASMSTART
	v_dot2_f32_f16 v16, v21, v29, v16
	;;#ASMEND
	s_waitcnt lgkmcnt(1)
	;;#ASMSTART
	v_dot2_f32_f16 v14, v18, v30, v14
	;;#ASMEND
	s_nop 0
	;;#ASMSTART
	v_dot2_f32_f16 v14, v19, v31, v14
	;;#ASMEND
	s_nop 0
	;;#ASMSTART
	v_dot2_f32_f16 v14, v20, v32, v14
	;;#ASMEND
	s_nop 0
	;; [unrolled: 16-line block ×3, first 2 shown]
	;;#ASMSTART
	v_dot2_f32_f16 v15, v21, v37, v15
	;;#ASMEND
	ds_read_b128 v[18:21], v132 offset:16
	ds_read_b128 v[22:25], v133 offset:16
	;; [unrolled: 1-line block ×5, first 2 shown]
	s_waitcnt lgkmcnt(3)
	;;#ASMSTART
	v_dot2_f32_f16 v17, v18, v22, v17
	;;#ASMEND
	s_nop 0
	;;#ASMSTART
	v_dot2_f32_f16 v17, v19, v23, v17
	;;#ASMEND
	s_nop 0
	;;#ASMSTART
	v_dot2_f32_f16 v17, v20, v24, v17
	;;#ASMEND
	s_nop 0
	;;#ASMSTART
	v_dot2_f32_f16 v17, v21, v25, v17
	;;#ASMEND
	s_waitcnt lgkmcnt(2)
	;;#ASMSTART
	v_dot2_f32_f16 v16, v18, v26, v16
	;;#ASMEND
	s_nop 0
	;;#ASMSTART
	v_dot2_f32_f16 v16, v19, v27, v16
	;;#ASMEND
	s_nop 0
	;;#ASMSTART
	v_dot2_f32_f16 v16, v20, v28, v16
	;;#ASMEND
	s_nop 0
	;;#ASMSTART
	v_dot2_f32_f16 v16, v21, v29, v16
	;;#ASMEND
	;; [unrolled: 16-line block ×4, first 2 shown]
	ds_read_b128 v[18:21], v132 offset:32
	ds_read_b128 v[22:25], v133 offset:32
	;; [unrolled: 1-line block ×5, first 2 shown]
	s_waitcnt lgkmcnt(3)
	;;#ASMSTART
	v_dot2_f32_f16 v17, v18, v22, v17
	;;#ASMEND
	s_nop 0
	;;#ASMSTART
	v_dot2_f32_f16 v17, v19, v23, v17
	;;#ASMEND
	s_nop 0
	;;#ASMSTART
	v_dot2_f32_f16 v17, v20, v24, v17
	;;#ASMEND
	s_nop 0
	;;#ASMSTART
	v_dot2_f32_f16 v17, v21, v25, v17
	;;#ASMEND
	s_waitcnt lgkmcnt(2)
	;;#ASMSTART
	v_dot2_f32_f16 v16, v18, v26, v16
	;;#ASMEND
	s_nop 0
	;;#ASMSTART
	v_dot2_f32_f16 v16, v19, v27, v16
	;;#ASMEND
	s_nop 0
	;;#ASMSTART
	v_dot2_f32_f16 v16, v20, v28, v16
	;;#ASMEND
	s_nop 0
	;;#ASMSTART
	v_dot2_f32_f16 v16, v21, v29, v16
	;;#ASMEND
	s_waitcnt lgkmcnt(1)
	;;#ASMSTART
	v_dot2_f32_f16 v14, v18, v30, v14
	;;#ASMEND
	s_nop 0
	;;#ASMSTART
	v_dot2_f32_f16 v14, v19, v31, v14
	;;#ASMEND
	s_nop 0
	;;#ASMSTART
	v_dot2_f32_f16 v14, v20, v32, v14
	;;#ASMEND
	s_nop 0
	;;#ASMSTART
	v_dot2_f32_f16 v14, v21, v33, v14
	;;#ASMEND
	s_waitcnt lgkmcnt(0)
	;;#ASMSTART
	v_dot2_f32_f16 v15, v18, v34, v15
	;;#ASMEND
	s_nop 0
	;;#ASMSTART
	v_dot2_f32_f16 v15, v19, v35, v15
	;;#ASMEND
	s_nop 0
	;;#ASMSTART
	v_dot2_f32_f16 v15, v20, v36, v15
	;;#ASMEND
	s_nop 0
	;;#ASMSTART
	v_dot2_f32_f16 v15, v21, v37, v15
	;;#ASMEND
	ds_read_b128 v[18:21], v132 offset:48
	ds_read_b128 v[22:25], v133 offset:48
	;; [unrolled: 1-line block ×5, first 2 shown]
	s_waitcnt lgkmcnt(3)
	;;#ASMSTART
	v_dot2_f32_f16 v17, v18, v22, v17
	;;#ASMEND
	s_nop 0
	;;#ASMSTART
	v_dot2_f32_f16 v17, v19, v23, v17
	;;#ASMEND
	s_nop 0
	;;#ASMSTART
	v_dot2_f32_f16 v17, v20, v24, v17
	;;#ASMEND
	s_nop 0
	;;#ASMSTART
	v_dot2_f32_f16 v17, v21, v25, v17
	;;#ASMEND
	s_waitcnt lgkmcnt(2)
	;;#ASMSTART
	v_dot2_f32_f16 v16, v18, v26, v16
	;;#ASMEND
	s_nop 0
	;;#ASMSTART
	v_dot2_f32_f16 v16, v19, v27, v16
	;;#ASMEND
	s_nop 0
	;;#ASMSTART
	v_dot2_f32_f16 v16, v20, v28, v16
	;;#ASMEND
	s_nop 0
	;;#ASMSTART
	v_dot2_f32_f16 v16, v21, v29, v16
	;;#ASMEND
	;; [unrolled: 16-line block ×4, first 2 shown]
	ds_read_b128 v[18:21], v132 offset:64
	ds_read_b128 v[22:25], v133 offset:64
	;; [unrolled: 1-line block ×5, first 2 shown]
	s_waitcnt lgkmcnt(3)
	;;#ASMSTART
	v_dot2_f32_f16 v17, v18, v22, v17
	;;#ASMEND
	s_nop 0
	;;#ASMSTART
	v_dot2_f32_f16 v17, v19, v23, v17
	;;#ASMEND
	s_nop 0
	;;#ASMSTART
	v_dot2_f32_f16 v17, v20, v24, v17
	;;#ASMEND
	s_nop 0
	;;#ASMSTART
	v_dot2_f32_f16 v17, v21, v25, v17
	;;#ASMEND
	s_waitcnt lgkmcnt(2)
	;;#ASMSTART
	v_dot2_f32_f16 v16, v18, v26, v16
	;;#ASMEND
	s_nop 0
	;;#ASMSTART
	v_dot2_f32_f16 v16, v19, v27, v16
	;;#ASMEND
	s_nop 0
	;;#ASMSTART
	v_dot2_f32_f16 v16, v20, v28, v16
	;;#ASMEND
	s_nop 0
	;;#ASMSTART
	v_dot2_f32_f16 v16, v21, v29, v16
	;;#ASMEND
	;; [unrolled: 16-line block ×4, first 2 shown]
	ds_read_b128 v[18:21], v132 offset:80
	ds_read_b128 v[22:25], v133 offset:80
	;; [unrolled: 1-line block ×5, first 2 shown]
	s_waitcnt lgkmcnt(3)
	;;#ASMSTART
	v_dot2_f32_f16 v17, v18, v22, v17
	;;#ASMEND
	s_nop 0
	;;#ASMSTART
	v_dot2_f32_f16 v17, v19, v23, v17
	;;#ASMEND
	s_nop 0
	;;#ASMSTART
	v_dot2_f32_f16 v17, v20, v24, v17
	;;#ASMEND
	s_nop 0
	;;#ASMSTART
	v_dot2_f32_f16 v17, v21, v25, v17
	;;#ASMEND
	s_waitcnt lgkmcnt(2)
	;;#ASMSTART
	v_dot2_f32_f16 v16, v18, v26, v16
	;;#ASMEND
	s_nop 0
	;;#ASMSTART
	v_dot2_f32_f16 v16, v19, v27, v16
	;;#ASMEND
	s_nop 0
	;;#ASMSTART
	v_dot2_f32_f16 v16, v20, v28, v16
	;;#ASMEND
	s_nop 0
	;;#ASMSTART
	v_dot2_f32_f16 v16, v21, v29, v16
	;;#ASMEND
	;; [unrolled: 16-line block ×4, first 2 shown]
	ds_read_b128 v[18:21], v132 offset:96
	ds_read_b128 v[22:25], v133 offset:96
	;; [unrolled: 1-line block ×5, first 2 shown]
	s_waitcnt lgkmcnt(3)
	;;#ASMSTART
	v_dot2_f32_f16 v17, v18, v22, v17
	;;#ASMEND
	s_nop 0
	;;#ASMSTART
	v_dot2_f32_f16 v17, v19, v23, v17
	;;#ASMEND
	s_nop 0
	;;#ASMSTART
	v_dot2_f32_f16 v17, v20, v24, v17
	;;#ASMEND
	s_nop 0
	;;#ASMSTART
	v_dot2_f32_f16 v17, v21, v25, v17
	;;#ASMEND
	s_waitcnt lgkmcnt(2)
	;;#ASMSTART
	v_dot2_f32_f16 v16, v18, v26, v16
	;;#ASMEND
	s_nop 0
	;;#ASMSTART
	v_dot2_f32_f16 v16, v19, v27, v16
	;;#ASMEND
	s_nop 0
	;;#ASMSTART
	v_dot2_f32_f16 v16, v20, v28, v16
	;;#ASMEND
	s_nop 0
	;;#ASMSTART
	v_dot2_f32_f16 v16, v21, v29, v16
	;;#ASMEND
	;; [unrolled: 16-line block ×4, first 2 shown]
	s_barrier
	s_and_saveexec_b64 s[16:17], s[4:5]
	s_cbranch_execnz .LBB56_44
; %bb.21:                               ;   in Loop: Header=BB56_16 Depth=1
	s_or_b64 exec, exec, s[16:17]
	s_and_saveexec_b64 s[16:17], s[6:7]
	s_cbranch_execnz .LBB56_45
.LBB56_22:                              ;   in Loop: Header=BB56_16 Depth=1
	s_or_b64 exec, exec, s[16:17]
	s_and_saveexec_b64 s[16:17], s[8:9]
	s_cbranch_execz .LBB56_24
.LBB56_23:                              ;   in Loop: Header=BB56_16 Depth=1
	v_mov_b32_e32 v99, v89
	v_lshl_add_u64 v[4:5], v[6:7], 0, v[98:99]
	global_load_dwordx4 v[4:7], v[4:5], off offset:112
	s_waitcnt vmcnt(0)
	ds_write_b128 v136, v[4:7]
.LBB56_24:                              ;   in Loop: Header=BB56_16 Depth=1
	s_or_b64 exec, exec, s[16:17]
	s_waitcnt lgkmcnt(0)
	s_barrier
	ds_read_b128 v[4:7], v132
	ds_read_b128 v[18:21], v133 offset:112
	ds_read_b128 v[22:25], v133 offset:336
	;; [unrolled: 1-line block ×4, first 2 shown]
	s_waitcnt lgkmcnt(3)
	;;#ASMSTART
	v_dot2_f32_f16 v17, v4, v18, v17
	;;#ASMEND
	s_nop 0
	;;#ASMSTART
	v_dot2_f32_f16 v17, v5, v19, v17
	;;#ASMEND
	s_andn2_b64 vcc, exec, s[36:37]
	;;#ASMSTART
	v_dot2_f32_f16 v17, v6, v20, v17
	;;#ASMEND
	v_mov_b32_e32 v13, 0
	;;#ASMSTART
	v_dot2_f32_f16 v17, v7, v21, v17
	;;#ASMEND
	s_waitcnt lgkmcnt(2)
	;;#ASMSTART
	v_dot2_f32_f16 v16, v4, v22, v16
	;;#ASMEND
	s_nop 0
	;;#ASMSTART
	v_dot2_f32_f16 v16, v5, v23, v16
	;;#ASMEND
	s_nop 0
	;;#ASMSTART
	v_dot2_f32_f16 v16, v6, v24, v16
	;;#ASMEND
	s_nop 0
	;;#ASMSTART
	v_dot2_f32_f16 v16, v7, v25, v16
	;;#ASMEND
	s_waitcnt lgkmcnt(1)
	;;#ASMSTART
	v_dot2_f32_f16 v14, v4, v26, v14
	;;#ASMEND
	s_nop 0
	;;#ASMSTART
	v_dot2_f32_f16 v14, v5, v27, v14
	;;#ASMEND
	s_nop 0
	;;#ASMSTART
	v_dot2_f32_f16 v14, v6, v28, v14
	;;#ASMEND
	s_nop 0
	;; [unrolled: 16-line block ×3, first 2 shown]
	;;#ASMSTART
	v_dot2_f32_f16 v15, v7, v33, v15
	;;#ASMEND
	ds_read_b128 v[4:7], v132 offset:16
	ds_read_b128 v[18:21], v133 offset:128
	;; [unrolled: 1-line block ×5, first 2 shown]
	s_waitcnt lgkmcnt(3)
	;;#ASMSTART
	v_dot2_f32_f16 v17, v4, v18, v17
	;;#ASMEND
	s_nop 0
	;;#ASMSTART
	v_dot2_f32_f16 v17, v5, v19, v17
	;;#ASMEND
	s_nop 0
	;;#ASMSTART
	v_dot2_f32_f16 v17, v6, v20, v17
	;;#ASMEND
	s_nop 0
	;;#ASMSTART
	v_dot2_f32_f16 v17, v7, v21, v17
	;;#ASMEND
	s_waitcnt lgkmcnt(2)
	;;#ASMSTART
	v_dot2_f32_f16 v16, v4, v22, v16
	;;#ASMEND
	s_nop 0
	;;#ASMSTART
	v_dot2_f32_f16 v16, v5, v23, v16
	;;#ASMEND
	s_nop 0
	;;#ASMSTART
	v_dot2_f32_f16 v16, v6, v24, v16
	;;#ASMEND
	s_nop 0
	;;#ASMSTART
	v_dot2_f32_f16 v16, v7, v25, v16
	;;#ASMEND
	;; [unrolled: 16-line block ×4, first 2 shown]
	ds_read_b128 v[4:7], v132 offset:32
	ds_read_b128 v[18:21], v133 offset:144
	;; [unrolled: 1-line block ×5, first 2 shown]
	s_waitcnt lgkmcnt(3)
	;;#ASMSTART
	v_dot2_f32_f16 v17, v4, v18, v17
	;;#ASMEND
	s_nop 0
	;;#ASMSTART
	v_dot2_f32_f16 v17, v5, v19, v17
	;;#ASMEND
	s_nop 0
	;;#ASMSTART
	v_dot2_f32_f16 v17, v6, v20, v17
	;;#ASMEND
	s_nop 0
	;;#ASMSTART
	v_dot2_f32_f16 v17, v7, v21, v17
	;;#ASMEND
	s_waitcnt lgkmcnt(2)
	;;#ASMSTART
	v_dot2_f32_f16 v16, v4, v22, v16
	;;#ASMEND
	s_nop 0
	;;#ASMSTART
	v_dot2_f32_f16 v16, v5, v23, v16
	;;#ASMEND
	s_nop 0
	;;#ASMSTART
	v_dot2_f32_f16 v16, v6, v24, v16
	;;#ASMEND
	s_nop 0
	;;#ASMSTART
	v_dot2_f32_f16 v16, v7, v25, v16
	;;#ASMEND
	;; [unrolled: 16-line block ×4, first 2 shown]
	ds_read_b128 v[4:7], v132 offset:48
	ds_read_b128 v[18:21], v133 offset:160
	;; [unrolled: 1-line block ×5, first 2 shown]
	s_waitcnt lgkmcnt(3)
	;;#ASMSTART
	v_dot2_f32_f16 v17, v4, v18, v17
	;;#ASMEND
	s_nop 0
	;;#ASMSTART
	v_dot2_f32_f16 v17, v5, v19, v17
	;;#ASMEND
	s_nop 0
	;;#ASMSTART
	v_dot2_f32_f16 v17, v6, v20, v17
	;;#ASMEND
	s_nop 0
	;;#ASMSTART
	v_dot2_f32_f16 v17, v7, v21, v17
	;;#ASMEND
	s_waitcnt lgkmcnt(2)
	;;#ASMSTART
	v_dot2_f32_f16 v16, v4, v22, v16
	;;#ASMEND
	s_nop 0
	;;#ASMSTART
	v_dot2_f32_f16 v16, v5, v23, v16
	;;#ASMEND
	s_nop 0
	;;#ASMSTART
	v_dot2_f32_f16 v16, v6, v24, v16
	;;#ASMEND
	s_nop 0
	;;#ASMSTART
	v_dot2_f32_f16 v16, v7, v25, v16
	;;#ASMEND
	;; [unrolled: 16-line block ×4, first 2 shown]
	ds_read_b128 v[4:7], v132 offset:64
	ds_read_b128 v[18:21], v133 offset:176
	;; [unrolled: 1-line block ×5, first 2 shown]
	s_waitcnt lgkmcnt(3)
	;;#ASMSTART
	v_dot2_f32_f16 v17, v4, v18, v17
	;;#ASMEND
	s_nop 0
	;;#ASMSTART
	v_dot2_f32_f16 v17, v5, v19, v17
	;;#ASMEND
	s_nop 0
	;;#ASMSTART
	v_dot2_f32_f16 v17, v6, v20, v17
	;;#ASMEND
	s_nop 0
	;;#ASMSTART
	v_dot2_f32_f16 v17, v7, v21, v17
	;;#ASMEND
	s_waitcnt lgkmcnt(2)
	;;#ASMSTART
	v_dot2_f32_f16 v16, v4, v22, v16
	;;#ASMEND
	s_nop 0
	;;#ASMSTART
	v_dot2_f32_f16 v16, v5, v23, v16
	;;#ASMEND
	s_nop 0
	;;#ASMSTART
	v_dot2_f32_f16 v16, v6, v24, v16
	;;#ASMEND
	s_nop 0
	;;#ASMSTART
	v_dot2_f32_f16 v16, v7, v25, v16
	;;#ASMEND
	;; [unrolled: 16-line block ×4, first 2 shown]
	ds_read_b128 v[4:7], v132 offset:80
	ds_read_b128 v[18:21], v133 offset:192
	;; [unrolled: 1-line block ×5, first 2 shown]
	s_waitcnt lgkmcnt(3)
	;;#ASMSTART
	v_dot2_f32_f16 v17, v4, v18, v17
	;;#ASMEND
	s_nop 0
	;;#ASMSTART
	v_dot2_f32_f16 v17, v5, v19, v17
	;;#ASMEND
	s_nop 0
	;;#ASMSTART
	v_dot2_f32_f16 v17, v6, v20, v17
	;;#ASMEND
	s_nop 0
	;;#ASMSTART
	v_dot2_f32_f16 v17, v7, v21, v17
	;;#ASMEND
	s_waitcnt lgkmcnt(2)
	;;#ASMSTART
	v_dot2_f32_f16 v16, v4, v22, v16
	;;#ASMEND
	s_nop 0
	;;#ASMSTART
	v_dot2_f32_f16 v16, v5, v23, v16
	;;#ASMEND
	s_nop 0
	;;#ASMSTART
	v_dot2_f32_f16 v16, v6, v24, v16
	;;#ASMEND
	s_nop 0
	;;#ASMSTART
	v_dot2_f32_f16 v16, v7, v25, v16
	;;#ASMEND
	;; [unrolled: 16-line block ×4, first 2 shown]
	ds_read_b128 v[4:7], v132 offset:96
	ds_read_b128 v[18:21], v133 offset:208
	;; [unrolled: 1-line block ×5, first 2 shown]
	s_waitcnt lgkmcnt(3)
	;;#ASMSTART
	v_dot2_f32_f16 v17, v4, v18, v17
	;;#ASMEND
	s_nop 0
	;;#ASMSTART
	v_dot2_f32_f16 v17, v5, v19, v17
	;;#ASMEND
	s_nop 0
	;;#ASMSTART
	v_dot2_f32_f16 v17, v6, v20, v17
	;;#ASMEND
	s_nop 0
	;;#ASMSTART
	v_dot2_f32_f16 v17, v7, v21, v17
	;;#ASMEND
	s_waitcnt lgkmcnt(2)
	;;#ASMSTART
	v_dot2_f32_f16 v16, v4, v22, v16
	;;#ASMEND
	s_nop 0
	;;#ASMSTART
	v_dot2_f32_f16 v16, v5, v23, v16
	;;#ASMEND
	s_nop 0
	;;#ASMSTART
	v_dot2_f32_f16 v16, v6, v24, v16
	;;#ASMEND
	s_nop 0
	;;#ASMSTART
	v_dot2_f32_f16 v16, v7, v25, v16
	;;#ASMEND
	;; [unrolled: 16-line block ×3, first 2 shown]
	s_waitcnt lgkmcnt(0)
	;;#ASMSTART
	v_dot2_f32_f16 v15, v4, v30, v15
	;;#ASMEND
	v_add_u32_e32 v4, s43, v114
	;;#ASMSTART
	v_dot2_f32_f16 v15, v5, v31, v15
	;;#ASMEND
	v_cndmask_b32_e64 v5, 0, 1, s[36:37]
	;;#ASMSTART
	v_dot2_f32_f16 v15, v6, v32, v15
	;;#ASMEND
	v_cmp_ne_u32_e64 s[16:17], 1, v5
	v_mov_b32_e32 v6, 0
	;;#ASMSTART
	v_dot2_f32_f16 v15, v7, v33, v15
	;;#ASMEND
	s_cbranch_vccnz .LBB56_26
; %bb.25:                               ;   in Loop: Header=BB56_16 Depth=1
	v_add_u32_e32 v6, v4, v137
	v_ashrrev_i32_e32 v7, 31, v6
	v_lshl_add_u64 v[6:7], v[6:7], 1, s[56:57]
	flat_load_ushort v5, v[6:7]
	s_waitcnt vmcnt(0) lgkmcnt(0)
	v_cvt_f32_f16_e32 v5, v5
	v_mul_f32_e32 v6, v75, v5
.LBB56_26:                              ;   in Loop: Header=BB56_16 Depth=1
	v_and_b32_e32 v5, 0x60, v145
	v_add_u32_e32 v7, 32, v5
	v_xor_b32_e32 v5, 16, v145
	v_cmp_lt_i32_e32 vcc, v5, v7
	v_add_f32_e32 v12, v17, v6
	v_add_f32_e32 v6, 0x40051340, v12
	v_cndmask_b32_e32 v5, v145, v5, vcc
	v_max_f32_e32 v17, v8, v8
	v_lshlrev_b32_e32 v5, 2, v5
	v_max_f32_e32 v6, v17, v6
	ds_bpermute_b32 v17, v5, v6
	v_xor_b32_e32 v18, 8, v145
	v_cmp_lt_i32_e32 vcc, v18, v7
	v_xor_b32_e32 v21, 1, v145
	s_waitcnt lgkmcnt(0)
	v_max_f32_e32 v17, v17, v17
	v_cndmask_b32_e32 v18, v145, v18, vcc
	v_lshlrev_b32_e32 v18, 2, v18
	v_max_f32_e32 v17, v6, v17
	ds_bpermute_b32 v19, v18, v17
	v_xor_b32_e32 v6, 4, v145
	v_cmp_lt_i32_e32 vcc, v6, v7
	s_waitcnt lgkmcnt(0)
	v_max_f32_e32 v19, v19, v19
	v_cndmask_b32_e32 v6, v145, v6, vcc
	v_lshlrev_b32_e32 v6, 2, v6
	v_max_f32_e32 v19, v17, v19
	ds_bpermute_b32 v20, v6, v19
	v_xor_b32_e32 v17, 2, v145
	v_cmp_lt_i32_e32 vcc, v17, v7
	s_waitcnt lgkmcnt(0)
	v_max_f32_e32 v20, v20, v20
	v_cndmask_b32_e32 v17, v145, v17, vcc
	v_lshlrev_b32_e32 v17, 2, v17
	v_max_f32_e32 v19, v19, v20
	ds_bpermute_b32 v20, v17, v19
	v_cmp_lt_i32_e32 vcc, v21, v7
	s_waitcnt lgkmcnt(0)
	v_max_f32_e32 v20, v20, v20
	v_cndmask_b32_e32 v7, v145, v21, vcc
	v_lshlrev_b32_e32 v7, 2, v7
	v_max_f32_e32 v19, v19, v20
	ds_bpermute_b32 v20, v7, v19
	s_and_b64 vcc, exec, s[16:17]
	s_cbranch_vccnz .LBB56_28
; %bb.27:                               ;   in Loop: Header=BB56_16 Depth=1
	v_add_u32_e32 v22, v4, v138
	v_ashrrev_i32_e32 v23, 31, v22
	v_lshl_add_u64 v[22:23], v[22:23], 1, s[56:57]
	flat_load_ushort v13, v[22:23]
	s_waitcnt vmcnt(0) lgkmcnt(0)
	v_cvt_f32_f16_e32 v13, v13
	v_mul_f32_e32 v13, v75, v13
.LBB56_28:                              ;   in Loop: Header=BB56_16 Depth=1
	v_add_f32_e32 v13, v16, v13
	v_add_f32_e32 v16, 0x40051340, v13
	v_max_f32_e32 v21, v9, v9
	v_max_f32_e32 v16, v21, v16
	ds_bpermute_b32 v21, v5, v16
	s_and_b64 vcc, exec, s[16:17]
	v_mov_b32_e32 v22, 0
	v_mov_b32_e32 v23, 0
	s_waitcnt lgkmcnt(0)
	v_max_f32_e32 v21, v21, v21
	v_max_f32_e32 v16, v16, v21
	ds_bpermute_b32 v21, v18, v16
	s_waitcnt lgkmcnt(0)
	v_max_f32_e32 v21, v21, v21
	v_max_f32_e32 v16, v16, v21
	ds_bpermute_b32 v21, v6, v16
	;; [unrolled: 4-line block ×4, first 2 shown]
	s_cbranch_vccnz .LBB56_30
; %bb.29:                               ;   in Loop: Header=BB56_16 Depth=1
	v_add_u32_e32 v24, v4, v139
	v_ashrrev_i32_e32 v25, 31, v24
	v_lshl_add_u64 v[24:25], v[24:25], 1, s[56:57]
	flat_load_ushort v23, v[24:25]
	s_waitcnt vmcnt(0) lgkmcnt(0)
	v_cvt_f32_f16_e32 v23, v23
	v_mul_f32_e32 v23, v75, v23
.LBB56_30:                              ;   in Loop: Header=BB56_16 Depth=1
	v_add_f32_e32 v14, v14, v23
	v_add_f32_e32 v23, 0x40051340, v14
	v_max_f32_e32 v24, v10, v10
	v_max_f32_e32 v23, v24, v23
	ds_bpermute_b32 v24, v5, v23
	s_and_b64 vcc, exec, s[16:17]
	s_waitcnt lgkmcnt(0)
	v_max_f32_e32 v24, v24, v24
	v_max_f32_e32 v23, v23, v24
	ds_bpermute_b32 v24, v18, v23
	s_waitcnt lgkmcnt(0)
	v_max_f32_e32 v24, v24, v24
	v_max_f32_e32 v23, v23, v24
	ds_bpermute_b32 v24, v6, v23
	;; [unrolled: 4-line block ×4, first 2 shown]
	s_cbranch_vccnz .LBB56_32
; %bb.31:                               ;   in Loop: Header=BB56_16 Depth=1
	v_add_u32_e32 v26, v4, v140
	v_ashrrev_i32_e32 v27, 31, v26
	v_lshl_add_u64 v[26:27], v[26:27], 1, s[56:57]
	flat_load_ushort v4, v[26:27]
	s_waitcnt vmcnt(0) lgkmcnt(0)
	v_cvt_f32_f16_e32 v4, v4
	v_mul_f32_e32 v22, v75, v4
.LBB56_32:                              ;   in Loop: Header=BB56_16 Depth=1
	v_add_f32_e32 v15, v15, v22
	v_add_f32_e32 v4, 0x40051340, v15
	v_max_f32_e32 v22, v11, v11
	v_max_f32_e32 v4, v22, v4
	ds_bpermute_b32 v5, v5, v4
	s_waitcnt lgkmcnt(1)
	v_max_f32_e32 v22, v24, v24
	v_max_f32_e32 v21, v21, v21
	;; [unrolled: 1-line block ×4, first 2 shown]
	s_waitcnt lgkmcnt(0)
	v_max_f32_e32 v5, v5, v5
	v_max_f32_e32 v4, v4, v5
	ds_bpermute_b32 v5, v18, v4
	v_max_f32_e32 v18, v20, v20
	v_max_f32_e32 v23, v23, v23
	s_mul_hi_i32 s17, s43, s2
	s_mul_i32 s16, s43, s2
	s_waitcnt lgkmcnt(0)
	v_max_f32_e32 v5, v5, v5
	v_max_f32_e32 v20, v4, v5
	ds_bpermute_b32 v24, v6, v20
	v_max_f32_e32 v5, v16, v21
	v_max_f32_e32 v4, v19, v18
	v_pk_add_f32 v[12:13], v[12:13], v[4:5] neg_lo:[0,1] neg_hi:[0,1]
	v_max_f32_e32 v6, v23, v22
	s_waitcnt lgkmcnt(0)
	v_max_f32_e32 v16, v24, v24
	v_max_f32_e32 v16, v20, v16
	ds_bpermute_b32 v17, v17, v16
	v_mul_f32_e32 v18, 0x3fb8aa3b, v13
	v_fma_f32 v19, v13, s60, -v18
	v_rndne_f32_e32 v20, v18
	v_fmac_f32_e32 v19, 0x32a5705f, v13
	s_waitcnt lgkmcnt(0)
	v_max_f32_e32 v17, v17, v17
	v_max_f32_e32 v16, v16, v17
	ds_bpermute_b32 v7, v7, v16
	v_sub_f32_e32 v17, v18, v20
	v_add_f32_e32 v17, v17, v19
	v_cvt_i32_f32_e32 v18, v20
	v_exp_f32_e32 v17, v17
	s_waitcnt lgkmcnt(0)
	v_max_f32_e32 v7, v7, v7
	v_max_f32_e32 v7, v16, v7
	v_cmp_ngt_f32_e32 vcc, s61, v13
	v_ldexp_f32 v16, v17, v18
	v_mul_f32_e32 v17, 0x3fb8aa3b, v12
	v_fma_f32 v18, v12, s60, -v17
	v_rndne_f32_e32 v19, v17
	v_fmac_f32_e32 v18, 0x32a5705f, v12
	v_sub_f32_e32 v17, v17, v19
	v_add_f32_e32 v17, v17, v18
	v_exp_f32_e32 v17, v17
	v_cvt_i32_f32_e32 v18, v19
	v_cndmask_b32_e32 v16, 0, v16, vcc
	v_cmp_nlt_f32_e32 vcc, s62, v13
	v_pk_add_f32 v[14:15], v[14:15], v[6:7] neg_lo:[0,1] neg_hi:[0,1]
	v_ldexp_f32 v13, v17, v18
	v_cndmask_b32_e32 v101, v146, v16, vcc
	v_mul_f32_e32 v16, 0x3fb8aa3b, v15
	v_fma_f32 v17, v15, s60, -v16
	v_rndne_f32_e32 v18, v16
	v_fmac_f32_e32 v17, 0x32a5705f, v15
	v_sub_f32_e32 v16, v16, v18
	v_add_f32_e32 v16, v16, v17
	v_exp_f32_e32 v16, v16
	v_cvt_i32_f32_e32 v17, v18
	v_cmp_ngt_f32_e32 vcc, s61, v12
	s_lshl_b64 s[16:17], s[16:17], 2
	s_nop 0
	v_cndmask_b32_e32 v13, 0, v13, vcc
	v_cmp_nlt_f32_e32 vcc, s62, v12
	s_barrier
	s_nop 0
	v_cndmask_b32_e32 v100, v146, v13, vcc
	v_ldexp_f32 v13, v16, v17
	v_mul_f32_e32 v16, 0x3fb8aa3b, v14
	v_fma_f32 v17, v14, s60, -v16
	v_rndne_f32_e32 v18, v16
	v_fmac_f32_e32 v17, 0x32a5705f, v14
	v_sub_f32_e32 v16, v16, v18
	v_add_f32_e32 v16, v16, v17
	v_exp_f32_e32 v16, v16
	v_cvt_i32_f32_e32 v17, v18
	v_cmp_ngt_f32_e32 vcc, s61, v15
	v_cvt_f16_f32_e32 v12, v100
	s_nop 0
	v_cndmask_b32_e32 v13, 0, v13, vcc
	v_cmp_nlt_f32_e32 vcc, s62, v15
	v_cvt_f16_f32_e32 v15, v101
	v_pack_b32_f16 v12, v12, v15
	v_cndmask_b32_e32 v103, v146, v13, vcc
	v_ldexp_f32 v13, v16, v17
	v_cmp_ngt_f32_e32 vcc, s61, v14
	v_add_u32_e32 v16, v141, v118
	s_nop 0
	v_cndmask_b32_e32 v13, 0, v13, vcc
	v_cmp_nlt_f32_e32 vcc, s62, v14
	v_cvt_f16_f32_e32 v14, v103
	s_nop 0
	v_cndmask_b32_e32 v102, v146, v13, vcc
	v_cvt_f16_f32_e32 v13, v102
	v_pack_b32_f16 v13, v13, v14
	ds_write_b64 v16, v[12:13]
	v_lshl_add_u64 v[12:13], v[78:79], 0, s[16:17]
	s_and_saveexec_b64 s[16:17], s[10:11]
	s_cbranch_execnz .LBB56_46
; %bb.33:                               ;   in Loop: Header=BB56_16 Depth=1
	s_or_b64 exec, exec, s[16:17]
	s_and_saveexec_b64 s[16:17], s[12:13]
	s_cbranch_execnz .LBB56_47
.LBB56_34:                              ;   in Loop: Header=BB56_16 Depth=1
	s_or_b64 exec, exec, s[16:17]
	v_lshlrev_b32_e32 v108, 2, v72
	s_and_saveexec_b64 s[16:17], s[14:15]
	s_cbranch_execz .LBB56_36
.LBB56_35:                              ;   in Loop: Header=BB56_16 Depth=1
	v_lshl_add_u64 v[12:13], v[96:97], 2, v[12:13]
	v_mov_b32_e32 v109, v89
	v_lshl_add_u64 v[12:13], v[12:13], 0, v[108:109]
	global_load_dwordx4 v[12:15], v[12:13], off
	s_waitcnt vmcnt(0)
	ds_write_b128 v144, v[12:15]
.LBB56_36:                              ;   in Loop: Header=BB56_16 Depth=1
	s_or_b64 exec, exec, s[16:17]
	v_add_u32_e32 v150, 0x1800, v118
	v_add_u32_e32 v149, 0x1c00, v118
	;; [unrolled: 1-line block ×3, first 2 shown]
	s_waitcnt lgkmcnt(0)
	s_barrier
	ds_read2_b64 v[64:67], v150 offset0:128 offset1:156
	ds_read_b128 v[68:71], v141
	ds_read_b128 v[56:59], v141 offset:16
	ds_read_b128 v[48:51], v141 offset:32
	;; [unrolled: 1-line block ×3, first 2 shown]
	ds_read2_b64 v[60:63], v150 offset0:184 offset1:212
	ds_read2_b64 v[52:55], v149 offset0:112 offset1:140
	;; [unrolled: 1-line block ×5, first 2 shown]
	ds_read_b128 v[40:43], v141 offset:64
	ds_read_b128 v[28:31], v141 offset:80
	ds_read2_b64 v[16:19], v148 offset0:208 offset1:236
	v_add_u32_e32 v147, 0x2800, v118
	v_pk_add_f32 v[106:107], v[8:9], v[4:5] neg_lo:[0,1] neg_hi:[0,1]
	v_pk_add_f32 v[104:105], v[10:11], v[6:7] neg_lo:[0,1] neg_hi:[0,1]
	ds_read2_b64 v[8:11], v147 offset0:8 offset1:36
	ds_read_b128 v[20:23], v141 offset:96
	ds_read_b128 v[12:15], v141 offset:112
	s_or_b32 s40, s43, 16
	s_mul_hi_i32 s41, s40, s2
	s_mul_i32 s40, s40, s2
	s_lshl_b64 s[40:41], s[40:41], 2
	v_cmp_ngt_f32_e64 s[26:27], s61, v107
	v_cmp_nlt_f32_e64 s[28:29], s62, v107
	v_cmp_ngt_f32_e64 s[22:23], s61, v106
	v_cmp_nlt_f32_e64 s[24:25], s62, v106
	;; [unrolled: 2-line block ×3, first 2 shown]
	v_cmp_ngt_f32_e32 vcc, s61, v104
	v_cmp_nlt_f32_e64 s[16:17], s62, v104
	v_lshl_add_u64 v[110:111], v[78:79], 0, s[40:41]
	s_waitcnt lgkmcnt(0)
	s_barrier
	s_and_saveexec_b64 s[40:41], s[10:11]
	s_cbranch_execnz .LBB56_48
; %bb.37:                               ;   in Loop: Header=BB56_16 Depth=1
	s_or_b64 exec, exec, s[40:41]
	s_and_saveexec_b64 s[40:41], s[12:13]
	s_cbranch_execnz .LBB56_49
.LBB56_38:                              ;   in Loop: Header=BB56_16 Depth=1
	s_or_b64 exec, exec, s[40:41]
	s_and_saveexec_b64 s[40:41], s[14:15]
	s_cbranch_execz .LBB56_40
.LBB56_39:                              ;   in Loop: Header=BB56_16 Depth=1
	v_lshl_add_u64 v[110:111], v[96:97], 2, v[110:111]
	v_mov_b32_e32 v109, v89
	v_lshl_add_u64 v[108:109], v[110:111], 0, v[108:109]
	global_load_dwordx4 v[108:111], v[108:109], off
	s_waitcnt vmcnt(0)
	ds_write_b128 v144, v[108:111]
.LBB56_40:                              ;   in Loop: Header=BB56_16 Depth=1
	s_or_b64 exec, exec, s[40:41]
	v_mul_f32_e32 v99, 0x3fb8aa3b, v107
	v_fma_f32 v108, v107, s60, -v99
	v_fmac_f32_e32 v108, 0x32a5705f, v107
	v_rndne_f32_e32 v107, v99
	v_sub_f32_e32 v99, v99, v107
	v_add_f32_e32 v99, v99, v108
	v_mul_f32_e32 v108, 0x3fb8aa3b, v106
	v_fma_f32 v109, v106, s60, -v108
	v_fmac_f32_e32 v109, 0x32a5705f, v106
	v_rndne_f32_e32 v106, v108
	v_exp_f32_e32 v99, v99
	v_cvt_i32_f32_e32 v107, v107
	v_sub_f32_e32 v108, v108, v106
	v_add_f32_e32 v108, v108, v109
	v_exp_f32_e32 v108, v108
	v_cvt_i32_f32_e32 v106, v106
	v_ldexp_f32 v99, v99, v107
	v_cndmask_b32_e64 v99, 0, v99, s[26:27]
	v_cndmask_b32_e64 v107, v146, v99, s[28:29]
	v_ldexp_f32 v99, v108, v106
	v_cndmask_b32_e64 v99, 0, v99, s[22:23]
	v_cndmask_b32_e64 v106, v146, v99, s[24:25]
	v_mul_f32_e32 v99, 0x3fb8aa3b, v105
	v_fma_f32 v108, v105, s60, -v99
	v_fmac_f32_e32 v108, 0x32a5705f, v105
	v_rndne_f32_e32 v105, v99
	v_sub_f32_e32 v99, v99, v105
	v_add_f32_e32 v99, v99, v108
	v_mul_f32_e32 v108, 0x3fb8aa3b, v104
	v_fma_f32 v109, v104, s60, -v108
	v_fmac_f32_e32 v109, 0x32a5705f, v104
	v_rndne_f32_e32 v104, v108
	v_exp_f32_e32 v99, v99
	v_cvt_i32_f32_e32 v105, v105
	v_sub_f32_e32 v108, v108, v104
	v_add_f32_e32 v108, v108, v109
	v_exp_f32_e32 v108, v108
	v_cvt_i32_f32_e32 v104, v104
	v_ldexp_f32 v99, v99, v105
	v_cndmask_b32_e64 v99, 0, v99, s[18:19]
	v_cndmask_b32_e64 v105, v146, v99, s[20:21]
	v_ldexp_f32 v99, v108, v104
	v_cndmask_b32_e32 v99, 0, v99, vcc
	v_cvt_f16_f32_e32 v110, v105
	v_cndmask_b32_e64 v104, v146, v99, s[16:17]
	v_cvt_f16_f32_e32 v99, v106
	v_cvt_f16_f32_e32 v108, v107
	;; [unrolled: 1-line block ×3, first 2 shown]
	v_pk_mul_f16 v119, v110, v119 op_sel_hi:[0,1]
	v_pk_mul_f16 v110, v110, v120 op_sel_hi:[0,1]
	;; [unrolled: 1-line block ×4, first 2 shown]
	v_pk_fma_f16 v99, v99, v125, v120 op_sel_hi:[0,1,1]
	v_pk_mul_f16 v120, v64, v68 op_sel:[0,1]
	v_pk_mul_f16 v124, v108, v124 op_sel_hi:[0,1]
	v_pk_mul_f16 v122, v109, v122 op_sel_hi:[0,1]
	v_pk_fma_f16 v108, v108, v123, v120 op_sel_hi:[0,1,1]
	v_pk_mul_f16 v120, v64, v69 op_sel_hi:[1,0]
	v_pk_fma_f16 v64, v64, v69, v119 op_sel:[0,1,0]
	v_pk_fma_f16 v109, v109, v121, v120 op_sel_hi:[0,1,1]
	v_pk_fma_f16 v111, v65, v68, v111 op_sel_hi:[1,0,1]
	v_pk_fma_f16 v68, v65, v68, v124 op_sel:[0,1,0]
	v_pk_fma_f16 v119, v65, v69, v122 op_sel_hi:[1,0,1]
	v_pk_fma_f16 v65, v65, v69, v110 op_sel:[0,1,0]
	;; [unrolled: 2-line block ×62, first 2 shown]
	s_waitcnt lgkmcnt(0)
	s_barrier
	ds_read2_b64 v[8:11], v150 offset0:128 offset1:156
	ds_read_b128 v[12:15], v141 offset:128
	ds_read_b128 v[16:19], v141 offset:144
	ds_read_b128 v[20:23], v141 offset:160
	ds_read_b128 v[24:27], v141 offset:176
	v_pk_fma_f32 v[2:3], v[2:3], v[104:105], v[102:103]
	v_pk_fma_f32 v[0:1], v[0:1], v[106:107], v[100:101]
	s_waitcnt lgkmcnt(3)
	v_pk_fma_f16 v28, v8, v12, v28 op_sel_hi:[1,0,1]
	v_pk_fma_f16 v29, v8, v12, v29 op_sel:[0,1,0]
	v_pk_fma_f16 v30, v8, v13, v30 op_sel_hi:[1,0,1]
	v_pk_fma_f16 v8, v8, v13, v31 op_sel:[0,1,0]
	;; [unrolled: 2-line block ×5, first 2 shown]
	v_pk_fma_f16 v35, v10, v15, v30 op_sel_hi:[1,0,1]
	ds_read2_b64 v[28:31], v150 offset0:184 offset1:212
	v_pk_fma_f16 v8, v10, v15, v8 op_sel:[0,1,0]
	v_pk_fma_f16 v10, v11, v14, v32 op_sel_hi:[1,0,1]
	v_pk_fma_f16 v12, v11, v14, v12 op_sel:[0,1,0]
	v_pk_fma_f16 v14, v11, v15, v33 op_sel_hi:[1,0,1]
	v_pk_fma_f16 v9, v11, v15, v9 op_sel:[0,1,0]
	s_waitcnt lgkmcnt(0)
	v_pk_fma_f16 v11, v28, v16, v13 op_sel_hi:[1,0,1]
	v_pk_fma_f16 v8, v28, v17, v8 op_sel:[0,1,0]
	v_pk_fma_f16 v13, v28, v16, v34 op_sel:[0,1,0]
	v_pk_fma_f16 v15, v28, v17, v35 op_sel_hi:[1,0,1]
	v_pk_fma_f16 v28, v29, v16, v10 op_sel_hi:[1,0,1]
	v_pk_fma_f16 v12, v29, v16, v12 op_sel:[0,1,0]
	v_pk_fma_f16 v14, v29, v17, v14 op_sel_hi:[1,0,1]
	v_pk_fma_f16 v16, v29, v17, v9 op_sel:[0,1,0]
	;; [unrolled: 2-line block ×3, first 2 shown]
	ds_read2_b64 v[8:11], v149 offset0:112 offset1:140
	v_pk_fma_f16 v13, v30, v18, v13 op_sel:[0,1,0]
	v_pk_fma_f16 v15, v30, v19, v15 op_sel_hi:[1,0,1]
	v_pk_fma_f16 v28, v31, v18, v28 op_sel_hi:[1,0,1]
	v_pk_fma_f16 v12, v31, v18, v12 op_sel:[0,1,0]
	v_pk_fma_f16 v14, v31, v19, v14 op_sel_hi:[1,0,1]
	v_pk_fma_f16 v16, v31, v19, v16 op_sel:[0,1,0]
	s_waitcnt lgkmcnt(0)
	v_pk_fma_f16 v17, v8, v20, v17 op_sel_hi:[1,0,1]
	v_pk_fma_f16 v13, v8, v20, v13 op_sel:[0,1,0]
	v_pk_fma_f16 v15, v8, v21, v15 op_sel_hi:[1,0,1]
	v_pk_fma_f16 v8, v8, v21, v29 op_sel:[0,1,0]
	;; [unrolled: 2-line block ×5, first 2 shown]
	v_pk_fma_f16 v21, v10, v23, v15 op_sel_hi:[1,0,1]
	ds_read2_b64 v[12:15], v148 offset0:40 offset1:68
	v_pk_fma_f16 v8, v10, v23, v8 op_sel:[0,1,0]
	v_pk_fma_f16 v10, v11, v22, v18 op_sel_hi:[1,0,1]
	v_pk_fma_f16 v18, v11, v22, v19 op_sel:[0,1,0]
	v_pk_fma_f16 v19, v11, v23, v20 op_sel_hi:[1,0,1]
	v_pk_fma_f16 v9, v11, v23, v9 op_sel:[0,1,0]
	s_waitcnt lgkmcnt(0)
	v_pk_fma_f16 v11, v12, v24, v16 op_sel_hi:[1,0,1]
	v_pk_fma_f16 v16, v12, v24, v17 op_sel:[0,1,0]
	v_pk_fma_f16 v17, v12, v25, v21 op_sel_hi:[1,0,1]
	v_pk_fma_f16 v8, v12, v25, v8 op_sel:[0,1,0]
	;; [unrolled: 2-line block ×6, first 2 shown]
	v_pk_fma_f16 v25, v15, v26, v10 op_sel_hi:[1,0,1]
	ds_read2_b64 v[8:11], v148 offset0:96 offset1:124
	ds_read_b128 v[16:19], v141 offset:192
	v_pk_fma_f16 v26, v15, v26, v12 op_sel:[0,1,0]
	v_pk_fma_f16 v20, v15, v27, v20 op_sel_hi:[1,0,1]
	v_pk_fma_f16 v27, v15, v27, v13 op_sel:[0,1,0]
	ds_read_b128 v[12:15], v141 offset:208
	s_waitcnt lgkmcnt(1)
	v_pk_fma_f16 v21, v8, v16, v21 op_sel_hi:[1,0,1]
	v_pk_fma_f16 v22, v8, v16, v22 op_sel:[0,1,0]
	v_pk_fma_f16 v23, v8, v17, v23 op_sel_hi:[1,0,1]
	v_pk_fma_f16 v8, v8, v17, v24 op_sel:[0,1,0]
	;; [unrolled: 2-line block ×5, first 2 shown]
	v_pk_fma_f16 v27, v10, v19, v23 op_sel_hi:[1,0,1]
	ds_read2_b64 v[20:23], v148 offset0:152 offset1:180
	v_pk_fma_f16 v8, v10, v19, v8 op_sel:[0,1,0]
	v_pk_fma_f16 v10, v11, v18, v24 op_sel_hi:[1,0,1]
	v_pk_fma_f16 v16, v11, v18, v16 op_sel:[0,1,0]
	v_pk_fma_f16 v18, v11, v19, v25 op_sel_hi:[1,0,1]
	v_pk_fma_f16 v9, v11, v19, v9 op_sel:[0,1,0]
	s_waitcnt lgkmcnt(0)
	v_pk_fma_f16 v11, v20, v12, v17 op_sel_hi:[1,0,1]
	v_pk_fma_f16 v17, v20, v12, v26 op_sel:[0,1,0]
	v_pk_fma_f16 v19, v20, v13, v27 op_sel_hi:[1,0,1]
	v_pk_fma_f16 v8, v20, v13, v8 op_sel:[0,1,0]
	;; [unrolled: 2-line block ×6, first 2 shown]
	v_pk_fma_f16 v26, v23, v14, v10 op_sel_hi:[1,0,1]
	ds_read2_b64 v[8:11], v148 offset0:208 offset1:236
	ds_read_b128 v[16:19], v141 offset:224
	v_pk_fma_f16 v27, v23, v14, v12 op_sel:[0,1,0]
	v_pk_fma_f16 v20, v23, v15, v20 op_sel_hi:[1,0,1]
	v_pk_fma_f16 v23, v23, v15, v13 op_sel:[0,1,0]
	ds_read_b128 v[12:15], v141 offset:240
	s_waitcnt lgkmcnt(1)
	v_pk_fma_f16 v21, v8, v16, v21 op_sel_hi:[1,0,1]
	v_pk_fma_f16 v24, v8, v16, v24 op_sel:[0,1,0]
	v_pk_fma_f16 v25, v8, v17, v25 op_sel_hi:[1,0,1]
	v_pk_fma_f16 v8, v8, v17, v22 op_sel:[0,1,0]
	;; [unrolled: 2-line block ×4, first 2 shown]
	v_pk_fma_f16 v17, v10, v18, v21 op_sel_hi:[1,0,1]
	ds_read2_b64 v[20:23], v147 offset0:8 offset1:36
	s_waitcnt lgkmcnt(0)
	s_barrier
	s_load_dword s16, s[38:39], 0x4
	v_pk_fma_f16 v24, v10, v18, v24 op_sel:[0,1,0]
	v_pk_fma_f16 v25, v10, v19, v25 op_sel_hi:[1,0,1]
	v_pk_fma_f16 v8, v10, v19, v8 op_sel:[0,1,0]
	v_pk_fma_f16 v10, v11, v18, v26 op_sel_hi:[1,0,1]
	;; [unrolled: 2-line block ×3, first 2 shown]
	v_pk_fma_f16 v9, v11, v19, v9 op_sel:[0,1,0]
	s_waitcnt lgkmcnt(0)
	s_lshl_b32 s16, s16, 5
	v_pk_fma_f16 v11, v20, v12, v17 op_sel_hi:[1,0,1]
	v_pk_fma_f16 v17, v20, v12, v24 op_sel:[0,1,0]
	v_pk_fma_f16 v19, v20, v13, v25 op_sel_hi:[1,0,1]
	v_pk_fma_f16 v8, v20, v13, v8 op_sel:[0,1,0]
	;; [unrolled: 2-line block ×4, first 2 shown]
	s_add_i32 s43, s16, s43
	v_pk_fma_f16 v125, v22, v14, v11 op_sel_hi:[1,0,1]
	v_pk_fma_f16 v123, v22, v14, v17 op_sel:[0,1,0]
	v_pk_fma_f16 v121, v22, v15, v19 op_sel_hi:[1,0,1]
	v_pk_fma_f16 v119, v22, v15, v8 op_sel:[0,1,0]
	;; [unrolled: 2-line block ×3, first 2 shown]
	v_pk_fma_f16 v122, v23, v15, v16 op_sel_hi:[1,0,1]
	s_cmp_lt_i32 s43, s59
	v_pk_fma_f16 v120, v23, v15, v9 op_sel:[0,1,0]
	s_cbranch_scc0 .LBB56_51
; %bb.41:                               ;   in Loop: Header=BB56_16 Depth=1
	v_mov_b32_e32 v8, v4
	v_mov_b32_e32 v9, v5
	;; [unrolled: 1-line block ×4, first 2 shown]
	s_branch .LBB56_16
.LBB56_42:                              ;   in Loop: Header=BB56_16 Depth=1
	global_load_dwordx4 v[14:17], v[12:13], off offset:96
	s_waitcnt vmcnt(0)
	ds_write_b128 v134, v[14:17]
	s_or_b64 exec, exec, s[16:17]
	v_lshl_add_u64 v[4:5], v[86:87], 2, v[6:7]
	s_and_saveexec_b64 s[16:17], s[6:7]
	s_cbranch_execz .LBB56_18
.LBB56_43:                              ;   in Loop: Header=BB56_16 Depth=1
	v_lshl_add_u64 v[14:15], v[4:5], 0, v[88:89]
	global_load_dwordx4 v[14:17], v[14:15], off offset:64
	s_waitcnt vmcnt(0)
	ds_write_b128 v135, v[14:17]
	s_or_b64 exec, exec, s[16:17]
	v_lshl_add_u64 v[6:7], v[90:91], 2, v[6:7]
	s_and_saveexec_b64 s[16:17], s[8:9]
	s_cbranch_execnz .LBB56_19
	s_branch .LBB56_20
.LBB56_44:                              ;   in Loop: Header=BB56_16 Depth=1
	global_load_dwordx4 v[18:21], v[12:13], off offset:208
	s_waitcnt vmcnt(0)
	ds_write_b128 v134, v[18:21]
	s_or_b64 exec, exec, s[16:17]
	s_and_saveexec_b64 s[16:17], s[6:7]
	s_cbranch_execz .LBB56_22
.LBB56_45:                              ;   in Loop: Header=BB56_16 Depth=1
	v_lshl_add_u64 v[4:5], v[4:5], 0, v[88:89]
	global_load_dwordx4 v[18:21], v[4:5], off offset:176
	s_waitcnt vmcnt(0)
	ds_write_b128 v135, v[18:21]
	s_or_b64 exec, exec, s[16:17]
	s_and_saveexec_b64 s[16:17], s[8:9]
	s_cbranch_execnz .LBB56_23
	s_branch .LBB56_24
.LBB56_46:                              ;   in Loop: Header=BB56_16 Depth=1
	v_lshl_add_u64 v[14:15], v[92:93], 2, v[12:13]
	v_lshl_add_u64 v[14:15], v[14:15], 0, v[88:89]
	global_load_dwordx4 v[14:17], v[14:15], off offset:192
	s_waitcnt vmcnt(0)
	ds_write_b128 v142, v[14:17]
	s_or_b64 exec, exec, s[16:17]
	s_and_saveexec_b64 s[16:17], s[12:13]
	s_cbranch_execz .LBB56_34
.LBB56_47:                              ;   in Loop: Header=BB56_16 Depth=1
	v_lshl_add_u64 v[14:15], v[94:95], 2, v[12:13]
	v_mov_b32_e32 v99, v89
	v_lshl_add_u64 v[14:15], v[14:15], 0, v[98:99]
	global_load_dwordx4 v[14:17], v[14:15], off offset:128
	s_waitcnt vmcnt(0)
	ds_write_b128 v143, v[14:17]
	s_or_b64 exec, exec, s[16:17]
	v_lshlrev_b32_e32 v108, 2, v72
	s_and_saveexec_b64 s[16:17], s[14:15]
	s_cbranch_execnz .LBB56_35
	s_branch .LBB56_36
.LBB56_48:                              ;   in Loop: Header=BB56_16 Depth=1
	v_lshl_add_u64 v[152:153], v[92:93], 2, v[110:111]
	v_lshl_add_u64 v[152:153], v[152:153], 0, v[88:89]
	global_load_dwordx4 v[152:155], v[152:153], off offset:192
	s_waitcnt vmcnt(0)
	ds_write_b128 v142, v[152:155]
	s_or_b64 exec, exec, s[40:41]
	s_and_saveexec_b64 s[40:41], s[12:13]
	s_cbranch_execz .LBB56_38
.LBB56_49:                              ;   in Loop: Header=BB56_16 Depth=1
	v_lshl_add_u64 v[152:153], v[94:95], 2, v[110:111]
	v_mov_b32_e32 v99, v89
	v_lshl_add_u64 v[152:153], v[152:153], 0, v[98:99]
	global_load_dwordx4 v[152:155], v[152:153], off offset:128
	s_waitcnt vmcnt(0)
	ds_write_b128 v143, v[152:155]
	s_or_b64 exec, exec, s[40:41]
	s_and_saveexec_b64 s[40:41], s[14:15]
	s_cbranch_execnz .LBB56_39
	s_branch .LBB56_40
.LBB56_50:
	s_mov_b32 s5, s4
	s_mov_b32 s6, s4
	;; [unrolled: 1-line block ×3, first 2 shown]
	v_mov_b64_e32 v[4:5], s[4:5]
	v_mov_b64_e32 v[6:7], s[6:7]
	v_mov_b32_e32 v2, v3
	v_mov_b32_e32 v1, v3
	;; [unrolled: 1-line block ×10, first 2 shown]
.LBB56_51:
	s_cmp_gt_i32 s58, s43
	s_cbranch_scc1 .LBB56_53
; %bb.52:
	v_mbcnt_hi_u32_b32 v94, -1, v128
	v_and_b32_e32 v8, 0x60, v94
	v_mov_b64_e32 v[18:19], v[2:3]
	v_add_u32_e32 v95, 32, v8
	v_xor_b32_e32 v98, 16, v94
	v_xor_b32_e32 v99, 8, v94
	;; [unrolled: 1-line block ×5, first 2 shown]
	v_mov_b64_e32 v[16:17], v[0:1]
	s_cbranch_execz .LBB56_54
	s_branch .LBB56_99
.LBB56_53:
                                        ; implicit-def: $vgpr94
                                        ; implicit-def: $vgpr95
                                        ; implicit-def: $vgpr98
                                        ; implicit-def: $vgpr99
                                        ; implicit-def: $vgpr100
                                        ; implicit-def: $vgpr97
                                        ; implicit-def: $vgpr96
                                        ; implicit-def: $vgpr16_vgpr17_vgpr18_vgpr19
.LBB56_54:
	s_mul_hi_i32 s5, s43, s47
	s_mul_i32 s4, s43, s47
	s_lshl_b64 s[4:5], s[4:5], 2
	v_mul_lo_u32 v8, s47, v131
	s_sub_i32 s28, s58, s43
	v_lshl_add_u64 v[10:11], v[82:83], 0, s[4:5]
	v_ashrrev_i32_e32 v9, 31, v8
	v_cmp_gt_u32_e64 s[8:9], 32, v131
	s_mov_b64 s[14:15], src_private_base
	v_add_u32_e32 v20, 0x1c60, v129
	v_cmp_gt_i32_e32 vcc, s28, v131
	v_lshl_add_u64 v[12:13], v[8:9], 2, v[10:11]
	s_and_saveexec_b64 s[4:5], s[8:9]
	s_cbranch_execz .LBB56_56
; %bb.55:
	v_mov_b32_e32 v14, 0
	v_mov_b32_e32 v15, v14
	;; [unrolled: 1-line block ×3, first 2 shown]
	s_mov_b64 s[6:7], 0x60
	scratch_store_dword off, v14, off
	scratch_store_dwordx3 off, v[14:16], off offset:4
	v_lshl_add_u64 v[8:9], v[12:13], 0, s[6:7]
	s_nop 0
	v_mov_b32_e32 v14, s15
	v_cndmask_b32_e32 v9, v14, v9, vcc
	v_mov_b32_e32 v14, 0
	v_cndmask_b32_e32 v8, v14, v8, vcc
	flat_load_dwordx4 v[14:17], v[8:9]
	s_waitcnt vmcnt(0) lgkmcnt(0)
	ds_write_b128 v20, v[14:17]
.LBB56_56:
	s_or_b64 exec, exec, s[4:5]
	v_lshl_add_u32 v92, v73, 4, v130
	v_lshlrev_b32_e32 v82, 2, v74
	v_lshl_or_b32 v8, v92, 7, v82
	v_add_u32_e32 v21, 0x1c40, v8
	v_mul_lo_u32 v8, s47, v92
	v_ashrrev_i32_e32 v9, 31, v8
	v_cmp_gt_u32_e64 s[10:11], 32, v92
	v_cmp_gt_i32_e64 s[4:5], s28, v92
	v_lshl_add_u64 v[14:15], v[8:9], 2, v[10:11]
	s_and_saveexec_b64 s[6:7], s[10:11]
	s_cbranch_execz .LBB56_58
; %bb.57:
	v_mov_b32_e32 v16, 0
	v_mov_b32_e32 v83, v16
	;; [unrolled: 1-line block ×4, first 2 shown]
	v_lshl_add_u64 v[8:9], v[14:15], 0, v[82:83]
	scratch_store_dword off, v16, off
	scratch_store_dwordx3 off, v[16:18], off offset:4
	v_lshl_add_u64 v[8:9], v[8:9], 0, 64
	s_nop 0
	v_mov_b32_e32 v16, s15
	v_cndmask_b32_e64 v9, v16, v9, s[4:5]
	v_mov_b32_e32 v16, 0
	v_cndmask_b32_e64 v8, v16, v8, s[4:5]
	flat_load_dwordx4 v[16:19], v[8:9]
	s_waitcnt vmcnt(0) lgkmcnt(0)
	ds_write_b128 v21, v[16:19]
.LBB56_58:
	s_or_b64 exec, exec, s[6:7]
	v_lshl_add_u32 v93, v73, 3, v81
	v_lshlrev_b32_e32 v80, 2, v80
	v_mul_lo_u32 v16, s47, v93
	v_lshl_or_b32 v8, v93, 7, v80
	v_ashrrev_i32_e32 v17, 31, v16
	v_add_u32_e32 v18, 0x1c00, v129
	v_cmp_gt_u32_e64 s[12:13], 32, v93
	s_mov_b64 s[16:17], src_private_base
	v_mov_b32_e32 v9, 0
	v_add_u32_e32 v22, 0x1c00, v8
	v_cmp_gt_i32_e64 s[6:7], s28, v93
	v_lshl_add_u64 v[16:17], v[16:17], 2, v[10:11]
	s_and_saveexec_b64 s[18:19], s[12:13]
	s_cbranch_execz .LBB56_60
; %bb.59:
	v_mov_b32_e32 v81, v9
	v_lshl_add_u64 v[10:11], v[16:17], 0, v[80:81]
	v_mov_b32_e32 v8, s17
	v_mov_b32_e32 v24, v9
	;; [unrolled: 1-line block ×4, first 2 shown]
	v_cndmask_b32_e64 v11, v8, v11, s[6:7]
	v_mov_b32_e32 v8, 0
	scratch_store_dword off, v9, off
	scratch_store_dwordx3 off, v[24:26], off offset:4
	v_cndmask_b32_e64 v10, v8, v10, s[6:7]
	flat_load_dwordx4 v[24:27], v[10:11]
	s_waitcnt vmcnt(0) lgkmcnt(0)
	ds_write_b128 v22, v[24:27]
.LBB56_60:
	s_or_b64 exec, exec, s[18:19]
	v_mul_u32_u24_e32 v19, 0x380, v73
	s_waitcnt lgkmcnt(0)
	s_barrier
	ds_read_b128 v[24:27], v18
	ds_read_b128 v[28:31], v19
	ds_read_b128 v[32:35], v19 offset:224
	ds_read_b128 v[36:39], v19 offset:448
	;; [unrolled: 1-line block ×3, first 2 shown]
	v_mov_b32_e32 v10, 0
	s_waitcnt lgkmcnt(3)
	;;#ASMSTART
	v_dot2_f32_f16 v10, v24, v28, v10
	;;#ASMEND
	v_mov_b32_e32 v11, 0
	;;#ASMSTART
	v_dot2_f32_f16 v10, v25, v29, v10
	;;#ASMEND
	v_mov_b32_e32 v8, 0
	;;#ASMSTART
	v_dot2_f32_f16 v10, v26, v30, v10
	;;#ASMEND
	s_nop 0
	;;#ASMSTART
	v_dot2_f32_f16 v10, v27, v31, v10
	;;#ASMEND
	s_waitcnt lgkmcnt(2)
	;;#ASMSTART
	v_dot2_f32_f16 v11, v24, v32, v11
	;;#ASMEND
	s_nop 0
	;;#ASMSTART
	v_dot2_f32_f16 v11, v25, v33, v11
	;;#ASMEND
	s_nop 0
	;;#ASMSTART
	v_dot2_f32_f16 v11, v26, v34, v11
	;;#ASMEND
	s_nop 0
	;;#ASMSTART
	v_dot2_f32_f16 v11, v27, v35, v11
	;;#ASMEND
	s_waitcnt lgkmcnt(1)
	;;#ASMSTART
	v_dot2_f32_f16 v8, v24, v36, v8
	;;#ASMEND
	s_nop 0
	;;#ASMSTART
	v_dot2_f32_f16 v8, v25, v37, v8
	;;#ASMEND
	s_nop 0
	;; [unrolled: 16-line block ×3, first 2 shown]
	;;#ASMSTART
	v_dot2_f32_f16 v9, v26, v42, v9
	;;#ASMEND
	s_nop 0
	;;#ASMSTART
	v_dot2_f32_f16 v9, v27, v43, v9
	;;#ASMEND
	ds_read_b128 v[24:27], v18 offset:16
	ds_read_b128 v[28:31], v19 offset:16
	;; [unrolled: 1-line block ×5, first 2 shown]
	s_waitcnt lgkmcnt(3)
	;;#ASMSTART
	v_dot2_f32_f16 v10, v24, v28, v10
	;;#ASMEND
	s_nop 0
	;;#ASMSTART
	v_dot2_f32_f16 v10, v25, v29, v10
	;;#ASMEND
	s_nop 0
	;;#ASMSTART
	v_dot2_f32_f16 v10, v26, v30, v10
	;;#ASMEND
	s_nop 0
	;;#ASMSTART
	v_dot2_f32_f16 v10, v27, v31, v10
	;;#ASMEND
	s_waitcnt lgkmcnt(2)
	;;#ASMSTART
	v_dot2_f32_f16 v11, v24, v32, v11
	;;#ASMEND
	s_nop 0
	;;#ASMSTART
	v_dot2_f32_f16 v11, v25, v33, v11
	;;#ASMEND
	s_nop 0
	;;#ASMSTART
	v_dot2_f32_f16 v11, v26, v34, v11
	;;#ASMEND
	s_nop 0
	;;#ASMSTART
	v_dot2_f32_f16 v11, v27, v35, v11
	;;#ASMEND
	;; [unrolled: 16-line block ×4, first 2 shown]
	ds_read_b128 v[24:27], v18 offset:32
	ds_read_b128 v[28:31], v19 offset:32
	;; [unrolled: 1-line block ×5, first 2 shown]
	s_waitcnt lgkmcnt(3)
	;;#ASMSTART
	v_dot2_f32_f16 v10, v24, v28, v10
	;;#ASMEND
	s_nop 0
	;;#ASMSTART
	v_dot2_f32_f16 v10, v25, v29, v10
	;;#ASMEND
	s_nop 0
	;;#ASMSTART
	v_dot2_f32_f16 v10, v26, v30, v10
	;;#ASMEND
	s_nop 0
	;;#ASMSTART
	v_dot2_f32_f16 v10, v27, v31, v10
	;;#ASMEND
	s_waitcnt lgkmcnt(2)
	;;#ASMSTART
	v_dot2_f32_f16 v11, v24, v32, v11
	;;#ASMEND
	s_nop 0
	;;#ASMSTART
	v_dot2_f32_f16 v11, v25, v33, v11
	;;#ASMEND
	s_nop 0
	;;#ASMSTART
	v_dot2_f32_f16 v11, v26, v34, v11
	;;#ASMEND
	s_nop 0
	;;#ASMSTART
	v_dot2_f32_f16 v11, v27, v35, v11
	;;#ASMEND
	;; [unrolled: 16-line block ×4, first 2 shown]
	ds_read_b128 v[24:27], v18 offset:48
	ds_read_b128 v[28:31], v19 offset:48
	;; [unrolled: 1-line block ×5, first 2 shown]
	s_waitcnt lgkmcnt(3)
	;;#ASMSTART
	v_dot2_f32_f16 v10, v24, v28, v10
	;;#ASMEND
	s_nop 0
	;;#ASMSTART
	v_dot2_f32_f16 v10, v25, v29, v10
	;;#ASMEND
	s_nop 0
	;;#ASMSTART
	v_dot2_f32_f16 v10, v26, v30, v10
	;;#ASMEND
	s_nop 0
	;;#ASMSTART
	v_dot2_f32_f16 v10, v27, v31, v10
	;;#ASMEND
	s_waitcnt lgkmcnt(2)
	;;#ASMSTART
	v_dot2_f32_f16 v11, v24, v32, v11
	;;#ASMEND
	s_nop 0
	;;#ASMSTART
	v_dot2_f32_f16 v11, v25, v33, v11
	;;#ASMEND
	s_nop 0
	;;#ASMSTART
	v_dot2_f32_f16 v11, v26, v34, v11
	;;#ASMEND
	s_nop 0
	;;#ASMSTART
	v_dot2_f32_f16 v11, v27, v35, v11
	;;#ASMEND
	;; [unrolled: 16-line block ×4, first 2 shown]
	ds_read_b128 v[24:27], v18 offset:64
	ds_read_b128 v[28:31], v19 offset:64
	;; [unrolled: 1-line block ×5, first 2 shown]
	s_waitcnt lgkmcnt(3)
	;;#ASMSTART
	v_dot2_f32_f16 v10, v24, v28, v10
	;;#ASMEND
	s_nop 0
	;;#ASMSTART
	v_dot2_f32_f16 v10, v25, v29, v10
	;;#ASMEND
	s_nop 0
	;;#ASMSTART
	v_dot2_f32_f16 v10, v26, v30, v10
	;;#ASMEND
	s_nop 0
	;;#ASMSTART
	v_dot2_f32_f16 v10, v27, v31, v10
	;;#ASMEND
	s_waitcnt lgkmcnt(2)
	;;#ASMSTART
	v_dot2_f32_f16 v11, v24, v32, v11
	;;#ASMEND
	s_nop 0
	;;#ASMSTART
	v_dot2_f32_f16 v11, v25, v33, v11
	;;#ASMEND
	s_nop 0
	;;#ASMSTART
	v_dot2_f32_f16 v11, v26, v34, v11
	;;#ASMEND
	s_nop 0
	;;#ASMSTART
	v_dot2_f32_f16 v11, v27, v35, v11
	;;#ASMEND
	s_waitcnt lgkmcnt(1)
	;;#ASMSTART
	v_dot2_f32_f16 v8, v24, v36, v8
	;;#ASMEND
	s_nop 0
	;;#ASMSTART
	v_dot2_f32_f16 v8, v25, v37, v8
	;;#ASMEND
	s_nop 0
	;;#ASMSTART
	v_dot2_f32_f16 v8, v26, v38, v8
	;;#ASMEND
	s_nop 0
	;;#ASMSTART
	v_dot2_f32_f16 v8, v27, v39, v8
	;;#ASMEND
	s_waitcnt lgkmcnt(0)
	;;#ASMSTART
	v_dot2_f32_f16 v9, v24, v40, v9
	;;#ASMEND
	s_nop 0
	;;#ASMSTART
	v_dot2_f32_f16 v9, v25, v41, v9
	;;#ASMEND
	s_nop 0
	;;#ASMSTART
	v_dot2_f32_f16 v9, v26, v42, v9
	;;#ASMEND
	s_nop 0
	;;#ASMSTART
	v_dot2_f32_f16 v9, v27, v43, v9
	;;#ASMEND
	ds_read_b128 v[24:27], v18 offset:80
	ds_read_b128 v[28:31], v19 offset:80
	ds_read_b128 v[32:35], v19 offset:304
	ds_read_b128 v[36:39], v19 offset:528
	ds_read_b128 v[40:43], v19 offset:752
	s_waitcnt lgkmcnt(3)
	;;#ASMSTART
	v_dot2_f32_f16 v10, v24, v28, v10
	;;#ASMEND
	s_nop 0
	;;#ASMSTART
	v_dot2_f32_f16 v10, v25, v29, v10
	;;#ASMEND
	s_nop 0
	;;#ASMSTART
	v_dot2_f32_f16 v10, v26, v30, v10
	;;#ASMEND
	s_nop 0
	;;#ASMSTART
	v_dot2_f32_f16 v10, v27, v31, v10
	;;#ASMEND
	s_waitcnt lgkmcnt(2)
	;;#ASMSTART
	v_dot2_f32_f16 v11, v24, v32, v11
	;;#ASMEND
	s_nop 0
	;;#ASMSTART
	v_dot2_f32_f16 v11, v25, v33, v11
	;;#ASMEND
	s_nop 0
	;;#ASMSTART
	v_dot2_f32_f16 v11, v26, v34, v11
	;;#ASMEND
	s_nop 0
	;;#ASMSTART
	v_dot2_f32_f16 v11, v27, v35, v11
	;;#ASMEND
	;; [unrolled: 16-line block ×4, first 2 shown]
	ds_read_b128 v[24:27], v18 offset:96
	ds_read_b128 v[28:31], v19 offset:96
	;; [unrolled: 1-line block ×5, first 2 shown]
	s_waitcnt lgkmcnt(3)
	;;#ASMSTART
	v_dot2_f32_f16 v10, v24, v28, v10
	;;#ASMEND
	s_nop 0
	;;#ASMSTART
	v_dot2_f32_f16 v10, v25, v29, v10
	;;#ASMEND
	s_nop 0
	;;#ASMSTART
	v_dot2_f32_f16 v10, v26, v30, v10
	;;#ASMEND
	s_nop 0
	;;#ASMSTART
	v_dot2_f32_f16 v10, v27, v31, v10
	;;#ASMEND
	s_waitcnt lgkmcnt(2)
	;;#ASMSTART
	v_dot2_f32_f16 v11, v24, v32, v11
	;;#ASMEND
	s_nop 0
	;;#ASMSTART
	v_dot2_f32_f16 v11, v25, v33, v11
	;;#ASMEND
	s_nop 0
	;;#ASMSTART
	v_dot2_f32_f16 v11, v26, v34, v11
	;;#ASMEND
	s_nop 0
	;;#ASMSTART
	v_dot2_f32_f16 v11, v27, v35, v11
	;;#ASMEND
	;; [unrolled: 16-line block ×4, first 2 shown]
	s_barrier
	s_and_saveexec_b64 s[18:19], s[8:9]
	s_cbranch_execnz .LBB56_67
; %bb.61:
	s_or_b64 exec, exec, s[18:19]
	s_and_saveexec_b64 s[8:9], s[10:11]
	s_cbranch_execnz .LBB56_68
.LBB56_62:
	s_or_b64 exec, exec, s[8:9]
	s_and_saveexec_b64 s[8:9], s[12:13]
	s_cbranch_execz .LBB56_64
.LBB56_63:
	v_mov_b32_e32 v12, 0
	v_mov_b32_e32 v13, v12
	;; [unrolled: 1-line block ×4, first 2 shown]
	scratch_store_dword off, v12, off
	scratch_store_dwordx3 off, v[12:14], off offset:4
	s_mov_b64 s[10:11], 0x70
	s_nop 0
	v_lshl_add_u64 v[12:13], v[16:17], 0, v[80:81]
	v_lshl_add_u64 v[12:13], v[12:13], 0, s[10:11]
	v_mov_b32_e32 v14, s17
	v_cndmask_b32_e64 v13, v14, v13, s[6:7]
	v_mov_b32_e32 v14, 0
	v_cndmask_b32_e64 v12, v14, v12, s[6:7]
	flat_load_dwordx4 v[12:15], v[12:13]
	s_waitcnt vmcnt(0) lgkmcnt(0)
	ds_write_b128 v22, v[12:15]
.LBB56_64:
	s_or_b64 exec, exec, s[8:9]
	s_waitcnt lgkmcnt(0)
	s_barrier
	ds_read_b128 v[12:15], v18
	ds_read_b128 v[20:23], v19 offset:112
	ds_read_b128 v[24:27], v19 offset:336
	;; [unrolled: 1-line block ×4, first 2 shown]
	s_waitcnt lgkmcnt(3)
	;;#ASMSTART
	v_dot2_f32_f16 v10, v12, v20, v10
	;;#ASMEND
	s_nop 0
	;;#ASMSTART
	v_dot2_f32_f16 v10, v13, v21, v10
	;;#ASMEND
	s_cmp_lg_u64 s[56:57], 0
	;;#ASMSTART
	v_dot2_f32_f16 v10, v14, v22, v10
	;;#ASMEND
	s_cselect_b64 s[10:11], -1, 0
	;;#ASMSTART
	v_dot2_f32_f16 v10, v15, v23, v10
	;;#ASMEND
	s_waitcnt lgkmcnt(2)
	;;#ASMSTART
	v_dot2_f32_f16 v11, v12, v24, v11
	;;#ASMEND
	v_cmp_gt_i32_e64 s[8:9], s28, v114
	;;#ASMSTART
	v_dot2_f32_f16 v11, v13, v25, v11
	;;#ASMEND
	s_nop 0
	;;#ASMSTART
	v_dot2_f32_f16 v11, v14, v26, v11
	;;#ASMEND
	s_nop 0
	;;#ASMSTART
	v_dot2_f32_f16 v11, v15, v27, v11
	;;#ASMEND
	s_waitcnt lgkmcnt(1)
	;;#ASMSTART
	v_dot2_f32_f16 v8, v12, v28, v8
	;;#ASMEND
	s_nop 0
	;;#ASMSTART
	v_dot2_f32_f16 v8, v13, v29, v8
	;;#ASMEND
	s_nop 0
	;; [unrolled: 4-line block ×3, first 2 shown]
	;;#ASMSTART
	v_dot2_f32_f16 v8, v15, v31, v8
	;;#ASMEND
	s_waitcnt lgkmcnt(0)
	;;#ASMSTART
	v_dot2_f32_f16 v9, v12, v32, v9
	;;#ASMEND
	s_nop 0
	;;#ASMSTART
	v_dot2_f32_f16 v9, v13, v33, v9
	;;#ASMEND
	s_nop 0
	;;#ASMSTART
	v_dot2_f32_f16 v9, v14, v34, v9
	;;#ASMEND
	s_nop 0
	;;#ASMSTART
	v_dot2_f32_f16 v9, v15, v35, v9
	;;#ASMEND
	ds_read_b128 v[12:15], v18 offset:16
	ds_read_b128 v[20:23], v19 offset:128
	;; [unrolled: 1-line block ×5, first 2 shown]
	s_waitcnt lgkmcnt(3)
	;;#ASMSTART
	v_dot2_f32_f16 v10, v12, v20, v10
	;;#ASMEND
	s_nop 0
	;;#ASMSTART
	v_dot2_f32_f16 v10, v13, v21, v10
	;;#ASMEND
	s_nop 0
	;;#ASMSTART
	v_dot2_f32_f16 v10, v14, v22, v10
	;;#ASMEND
	s_nop 0
	;;#ASMSTART
	v_dot2_f32_f16 v10, v15, v23, v10
	;;#ASMEND
	s_waitcnt lgkmcnt(2)
	;;#ASMSTART
	v_dot2_f32_f16 v11, v12, v24, v11
	;;#ASMEND
	s_nop 0
	;;#ASMSTART
	v_dot2_f32_f16 v11, v13, v25, v11
	;;#ASMEND
	s_nop 0
	;;#ASMSTART
	v_dot2_f32_f16 v11, v14, v26, v11
	;;#ASMEND
	s_nop 0
	;;#ASMSTART
	v_dot2_f32_f16 v11, v15, v27, v11
	;;#ASMEND
	;; [unrolled: 16-line block ×4, first 2 shown]
	ds_read_b128 v[12:15], v18 offset:32
	ds_read_b128 v[20:23], v19 offset:144
	;; [unrolled: 1-line block ×5, first 2 shown]
	s_waitcnt lgkmcnt(3)
	;;#ASMSTART
	v_dot2_f32_f16 v10, v12, v20, v10
	;;#ASMEND
	s_nop 0
	;;#ASMSTART
	v_dot2_f32_f16 v10, v13, v21, v10
	;;#ASMEND
	s_nop 0
	;;#ASMSTART
	v_dot2_f32_f16 v10, v14, v22, v10
	;;#ASMEND
	s_nop 0
	;;#ASMSTART
	v_dot2_f32_f16 v10, v15, v23, v10
	;;#ASMEND
	s_waitcnt lgkmcnt(2)
	;;#ASMSTART
	v_dot2_f32_f16 v11, v12, v24, v11
	;;#ASMEND
	s_nop 0
	;;#ASMSTART
	v_dot2_f32_f16 v11, v13, v25, v11
	;;#ASMEND
	s_nop 0
	;;#ASMSTART
	v_dot2_f32_f16 v11, v14, v26, v11
	;;#ASMEND
	s_nop 0
	;;#ASMSTART
	v_dot2_f32_f16 v11, v15, v27, v11
	;;#ASMEND
	;; [unrolled: 16-line block ×4, first 2 shown]
	ds_read_b128 v[12:15], v18 offset:48
	ds_read_b128 v[20:23], v19 offset:160
	;; [unrolled: 1-line block ×5, first 2 shown]
	s_waitcnt lgkmcnt(3)
	;;#ASMSTART
	v_dot2_f32_f16 v10, v12, v20, v10
	;;#ASMEND
	s_nop 0
	;;#ASMSTART
	v_dot2_f32_f16 v10, v13, v21, v10
	;;#ASMEND
	s_nop 0
	;;#ASMSTART
	v_dot2_f32_f16 v10, v14, v22, v10
	;;#ASMEND
	s_nop 0
	;;#ASMSTART
	v_dot2_f32_f16 v10, v15, v23, v10
	;;#ASMEND
	s_waitcnt lgkmcnt(2)
	;;#ASMSTART
	v_dot2_f32_f16 v11, v12, v24, v11
	;;#ASMEND
	s_nop 0
	;;#ASMSTART
	v_dot2_f32_f16 v11, v13, v25, v11
	;;#ASMEND
	s_nop 0
	;;#ASMSTART
	v_dot2_f32_f16 v11, v14, v26, v11
	;;#ASMEND
	s_nop 0
	;;#ASMSTART
	v_dot2_f32_f16 v11, v15, v27, v11
	;;#ASMEND
	;; [unrolled: 16-line block ×4, first 2 shown]
	ds_read_b128 v[12:15], v18 offset:64
	ds_read_b128 v[20:23], v19 offset:176
	ds_read_b128 v[24:27], v19 offset:400
	ds_read_b128 v[28:31], v19 offset:624
	ds_read_b128 v[32:35], v19 offset:848
	s_waitcnt lgkmcnt(3)
	;;#ASMSTART
	v_dot2_f32_f16 v10, v12, v20, v10
	;;#ASMEND
	s_nop 0
	;;#ASMSTART
	v_dot2_f32_f16 v10, v13, v21, v10
	;;#ASMEND
	s_nop 0
	;;#ASMSTART
	v_dot2_f32_f16 v10, v14, v22, v10
	;;#ASMEND
	s_nop 0
	;;#ASMSTART
	v_dot2_f32_f16 v10, v15, v23, v10
	;;#ASMEND
	s_waitcnt lgkmcnt(2)
	;;#ASMSTART
	v_dot2_f32_f16 v11, v12, v24, v11
	;;#ASMEND
	s_nop 0
	;;#ASMSTART
	v_dot2_f32_f16 v11, v13, v25, v11
	;;#ASMEND
	s_nop 0
	;;#ASMSTART
	v_dot2_f32_f16 v11, v14, v26, v11
	;;#ASMEND
	s_nop 0
	;;#ASMSTART
	v_dot2_f32_f16 v11, v15, v27, v11
	;;#ASMEND
	;; [unrolled: 16-line block ×4, first 2 shown]
	ds_read_b128 v[12:15], v18 offset:80
	ds_read_b128 v[20:23], v19 offset:192
	;; [unrolled: 1-line block ×5, first 2 shown]
	s_waitcnt lgkmcnt(3)
	;;#ASMSTART
	v_dot2_f32_f16 v10, v12, v20, v10
	;;#ASMEND
	s_nop 0
	;;#ASMSTART
	v_dot2_f32_f16 v10, v13, v21, v10
	;;#ASMEND
	s_nop 0
	;;#ASMSTART
	v_dot2_f32_f16 v10, v14, v22, v10
	;;#ASMEND
	s_nop 0
	;;#ASMSTART
	v_dot2_f32_f16 v10, v15, v23, v10
	;;#ASMEND
	s_waitcnt lgkmcnt(2)
	;;#ASMSTART
	v_dot2_f32_f16 v11, v12, v24, v11
	;;#ASMEND
	s_nop 0
	;;#ASMSTART
	v_dot2_f32_f16 v11, v13, v25, v11
	;;#ASMEND
	s_nop 0
	;;#ASMSTART
	v_dot2_f32_f16 v11, v14, v26, v11
	;;#ASMEND
	s_nop 0
	;;#ASMSTART
	v_dot2_f32_f16 v11, v15, v27, v11
	;;#ASMEND
	;; [unrolled: 16-line block ×4, first 2 shown]
	ds_read_b128 v[12:15], v18 offset:96
	ds_read_b128 v[20:23], v19 offset:208
	;; [unrolled: 1-line block ×5, first 2 shown]
	s_waitcnt lgkmcnt(3)
	;;#ASMSTART
	v_dot2_f32_f16 v10, v12, v20, v10
	;;#ASMEND
	s_nop 0
	;;#ASMSTART
	v_dot2_f32_f16 v10, v13, v21, v10
	;;#ASMEND
	s_nop 0
	;;#ASMSTART
	v_dot2_f32_f16 v10, v14, v22, v10
	;;#ASMEND
	s_nop 0
	;;#ASMSTART
	v_dot2_f32_f16 v10, v15, v23, v10
	;;#ASMEND
	s_waitcnt lgkmcnt(2)
	;;#ASMSTART
	v_dot2_f32_f16 v11, v12, v24, v11
	;;#ASMEND
	s_nop 0
	;;#ASMSTART
	v_dot2_f32_f16 v11, v13, v25, v11
	;;#ASMEND
	s_nop 0
	;;#ASMSTART
	v_dot2_f32_f16 v11, v14, v26, v11
	;;#ASMEND
	s_nop 0
	;;#ASMSTART
	v_dot2_f32_f16 v11, v15, v27, v11
	;;#ASMEND
	;; [unrolled: 16-line block ×3, first 2 shown]
	s_waitcnt lgkmcnt(0)
	;;#ASMSTART
	v_dot2_f32_f16 v9, v12, v16, v9
	;;#ASMEND
	v_cndmask_b32_e64 v12, 0, 1, s[10:11]
	;;#ASMSTART
	v_dot2_f32_f16 v9, v13, v17, v9
	;;#ASMEND
	v_cmp_ne_u32_e64 s[10:11], 1, v12
	;;#ASMSTART
	v_dot2_f32_f16 v9, v14, v18, v9
	;;#ASMEND
	v_add_u32_e32 v16, s43, v114
	;;#ASMSTART
	v_dot2_f32_f16 v9, v15, v19, v9
	;;#ASMEND
	v_mov_b64_e32 v[14:15], v[6:7]
	v_mov_b64_e32 v[12:13], v[4:5]
	v_mov_b32_e32 v17, v4
	s_and_saveexec_b64 s[12:13], s[8:9]
	s_cbranch_execz .LBB56_71
; %bb.65:
	s_and_b64 vcc, exec, s[10:11]
	s_cbranch_vccnz .LBB56_69
; %bb.66:
	v_mul_hi_u32 v12, s52, v117
	v_add_u32_e32 v12, v117, v12
	v_lshrrev_b32_e32 v12, s53, v12
	v_mul_lo_u32 v12, v12, s54
	v_sub_u32_e32 v12, v117, v12
	v_mad_u64_u32 v[12:13], s[14:15], v12, s46, v[16:17]
	v_ashrrev_i32_e32 v13, 31, v12
	v_lshl_add_u64 v[12:13], v[12:13], 1, s[56:57]
	flat_load_ushort v12, v[12:13]
	s_waitcnt vmcnt(0) lgkmcnt(0)
	v_cvt_f32_f16_e32 v12, v12
	v_mul_f32_e32 v12, v75, v12
	s_branch .LBB56_70
.LBB56_67:
	s_mov_b64 s[8:9], 0xd0
	v_mov_b32_e32 v24, 0
	v_lshl_add_u64 v[12:13], v[12:13], 0, s[8:9]
	v_mov_b32_e32 v23, s15
	v_mov_b32_e32 v25, v24
	;; [unrolled: 1-line block ×3, first 2 shown]
	v_cndmask_b32_e32 v13, v23, v13, vcc
	v_mov_b32_e32 v23, 0
	scratch_store_dword off, v24, off
	scratch_store_dwordx3 off, v[24:26], off offset:4
	v_cndmask_b32_e32 v12, v23, v12, vcc
	flat_load_dwordx4 v[24:27], v[12:13]
	s_waitcnt vmcnt(0) lgkmcnt(0)
	ds_write_b128 v20, v[24:27]
	s_or_b64 exec, exec, s[18:19]
	s_and_saveexec_b64 s[8:9], s[10:11]
	s_cbranch_execz .LBB56_62
.LBB56_68:
	v_mov_b32_e32 v24, 0
	v_mov_b32_e32 v83, v24
	v_lshl_add_u64 v[12:13], v[14:15], 0, v[82:83]
	s_mov_b64 s[10:11], 0xb0
	v_lshl_add_u64 v[12:13], v[12:13], 0, s[10:11]
	v_mov_b32_e32 v14, s15
	v_mov_b32_e32 v25, v24
	;; [unrolled: 1-line block ×3, first 2 shown]
	v_cndmask_b32_e64 v13, v14, v13, s[4:5]
	v_mov_b32_e32 v14, 0
	scratch_store_dword off, v24, off
	scratch_store_dwordx3 off, v[24:26], off offset:4
	v_cndmask_b32_e64 v12, v14, v12, s[4:5]
	flat_load_dwordx4 v[12:15], v[12:13]
	s_waitcnt vmcnt(0) lgkmcnt(0)
	ds_write_b128 v21, v[12:15]
	s_or_b64 exec, exec, s[8:9]
	s_and_saveexec_b64 s[8:9], s[12:13]
	s_cbranch_execnz .LBB56_63
	s_branch .LBB56_64
.LBB56_69:
	v_mov_b32_e32 v12, 0
.LBB56_70:
	v_add_f32_e32 v10, v10, v12
	v_add_f32_e32 v12, 0x40051340, v10
	v_max_f32_e32 v13, v4, v4
	v_max_f32_e32 v17, v13, v12
	v_mov_b64_e32 v[14:15], v[6:7]
	v_mov_b64_e32 v[12:13], v[4:5]
                                        ; kill: def $vgpr12 killed $vgpr17 killed $exec
.LBB56_71:
	s_or_b64 exec, exec, s[12:13]
	v_mbcnt_hi_u32_b32 v94, -1, v128
	v_and_b32_e32 v12, 0x60, v94
	v_add_u32_e32 v95, 32, v12
	v_xor_b32_e32 v98, 16, v94
	v_cmp_lt_i32_e32 vcc, v98, v95
	v_xor_b32_e32 v99, 8, v94
	v_xor_b32_e32 v100, 4, v94
	v_cndmask_b32_e32 v12, v94, v98, vcc
	v_lshlrev_b32_e32 v20, 2, v12
	ds_bpermute_b32 v12, v20, v17
	v_cmp_lt_i32_e32 vcc, v99, v95
	v_max_f32_e32 v17, v17, v17
	v_xor_b32_e32 v97, 2, v94
	v_cndmask_b32_e32 v18, v94, v99, vcc
	s_waitcnt lgkmcnt(0)
	v_max_f32_e32 v12, v12, v12
	v_lshlrev_b32_e32 v21, 2, v18
	v_max_f32_e32 v12, v17, v12
	ds_bpermute_b32 v18, v21, v12
	v_cmp_lt_i32_e32 vcc, v100, v95
	v_xor_b32_e32 v96, 1, v94
	s_waitcnt lgkmcnt(0)
	v_max_f32_e32 v18, v18, v18
	v_cndmask_b32_e32 v17, v94, v100, vcc
	v_lshlrev_b32_e32 v17, 2, v17
	v_max_f32_e32 v12, v12, v18
	ds_bpermute_b32 v19, v17, v12
	v_cmp_lt_i32_e32 vcc, v97, v95
	s_waitcnt lgkmcnt(0)
	v_max_f32_e32 v19, v19, v19
	v_cndmask_b32_e32 v18, v94, v97, vcc
	v_lshlrev_b32_e32 v18, 2, v18
	v_max_f32_e32 v12, v12, v19
	ds_bpermute_b32 v22, v18, v12
	v_cmp_lt_i32_e32 vcc, v96, v95
	s_waitcnt lgkmcnt(0)
	v_max_f32_e32 v22, v22, v22
	v_cndmask_b32_e32 v19, v94, v96, vcc
	v_lshlrev_b32_e32 v19, 2, v19
	v_max_f32_e32 v12, v12, v22
	ds_bpermute_b32 v22, v19, v12
	s_waitcnt lgkmcnt(0)
	v_max_f32_e32 v22, v22, v22
	v_max_f32_e32 v12, v12, v22
	s_and_saveexec_b64 s[12:13], s[8:9]
	s_cbranch_execz .LBB56_76
; %bb.72:
	s_and_b64 vcc, exec, s[10:11]
	s_cbranch_vccnz .LBB56_74
; %bb.73:
	v_or_b32_e32 v22, 1, v117
	v_mul_hi_u32 v23, s52, v22
	v_add_u32_e32 v23, v22, v23
	v_lshrrev_b32_e32 v23, s53, v23
	v_mul_lo_u32 v23, v23, s54
	v_sub_u32_e32 v22, v22, v23
	v_mad_u64_u32 v[22:23], s[14:15], v22, s46, v[16:17]
	v_ashrrev_i32_e32 v23, 31, v22
	v_lshl_add_u64 v[22:23], v[22:23], 1, s[56:57]
	flat_load_ushort v22, v[22:23]
	s_waitcnt vmcnt(0) lgkmcnt(0)
	v_cvt_f32_f16_e32 v22, v22
	v_mul_f32_e32 v22, v75, v22
	s_branch .LBB56_75
.LBB56_74:
	v_mov_b32_e32 v22, 0
.LBB56_75:
	v_add_f32_e32 v11, v11, v22
	v_add_f32_e32 v22, 0x40051340, v11
	v_max_f32_e32 v13, v13, v13
	v_max_f32_e32 v13, v13, v22
.LBB56_76:
	s_or_b64 exec, exec, s[12:13]
	ds_bpermute_b32 v22, v20, v13
	v_max_f32_e32 v13, v13, v13
	s_waitcnt lgkmcnt(0)
	v_max_f32_e32 v22, v22, v22
	v_max_f32_e32 v13, v13, v22
	ds_bpermute_b32 v22, v21, v13
	s_waitcnt lgkmcnt(0)
	v_max_f32_e32 v22, v22, v22
	v_max_f32_e32 v13, v13, v22
	ds_bpermute_b32 v22, v17, v13
	s_waitcnt lgkmcnt(0)
	v_max_f32_e32 v22, v22, v22
	v_max_f32_e32 v13, v13, v22
	ds_bpermute_b32 v22, v18, v13
	s_waitcnt lgkmcnt(0)
	v_max_f32_e32 v22, v22, v22
	v_max_f32_e32 v13, v13, v22
	ds_bpermute_b32 v22, v19, v13
	s_waitcnt lgkmcnt(0)
	v_max_f32_e32 v22, v22, v22
	v_max_f32_e32 v13, v13, v22
	s_and_saveexec_b64 s[12:13], s[8:9]
	s_cbranch_execz .LBB56_81
; %bb.77:
	s_and_b64 vcc, exec, s[10:11]
	s_cbranch_vccnz .LBB56_79
; %bb.78:
	v_or_b32_e32 v22, 2, v117
	v_mul_hi_u32 v23, s52, v22
	v_add_u32_e32 v23, v22, v23
	v_lshrrev_b32_e32 v23, s53, v23
	v_mul_lo_u32 v23, v23, s54
	v_sub_u32_e32 v22, v22, v23
	v_mad_u64_u32 v[22:23], s[14:15], v22, s46, v[16:17]
	v_ashrrev_i32_e32 v23, 31, v22
	v_lshl_add_u64 v[22:23], v[22:23], 1, s[56:57]
	flat_load_ushort v22, v[22:23]
	s_waitcnt vmcnt(0) lgkmcnt(0)
	v_cvt_f32_f16_e32 v22, v22
	v_mul_f32_e32 v22, v75, v22
	s_branch .LBB56_80
.LBB56_79:
	v_mov_b32_e32 v22, 0
.LBB56_80:
	v_add_f32_e32 v8, v8, v22
	v_add_f32_e32 v22, 0x40051340, v8
	v_max_f32_e32 v14, v14, v14
	v_max_f32_e32 v14, v14, v22
.LBB56_81:
	s_or_b64 exec, exec, s[12:13]
	ds_bpermute_b32 v22, v20, v14
	v_max_f32_e32 v14, v14, v14
	s_waitcnt lgkmcnt(0)
	v_max_f32_e32 v22, v22, v22
	v_max_f32_e32 v14, v14, v22
	ds_bpermute_b32 v22, v21, v14
	s_waitcnt lgkmcnt(0)
	v_max_f32_e32 v22, v22, v22
	v_max_f32_e32 v14, v14, v22
	ds_bpermute_b32 v22, v17, v14
	;; [unrolled: 4-line block ×4, first 2 shown]
	s_waitcnt lgkmcnt(0)
	v_max_f32_e32 v22, v22, v22
	v_max_f32_e32 v14, v14, v22
	s_and_saveexec_b64 s[12:13], s[8:9]
	s_cbranch_execz .LBB56_86
; %bb.82:
	s_and_b64 vcc, exec, s[10:11]
	s_cbranch_vccnz .LBB56_84
; %bb.83:
	v_or_b32_e32 v22, 3, v117
	v_mul_hi_u32 v23, s52, v22
	v_add_u32_e32 v23, v22, v23
	v_lshrrev_b32_e32 v23, s53, v23
	v_mul_lo_u32 v23, v23, s54
	v_sub_u32_e32 v22, v22, v23
	v_mad_u64_u32 v[22:23], s[8:9], v22, s46, v[16:17]
	v_ashrrev_i32_e32 v23, 31, v22
	v_lshl_add_u64 v[22:23], v[22:23], 1, s[56:57]
	flat_load_ushort v16, v[22:23]
	s_waitcnt vmcnt(0) lgkmcnt(0)
	v_cvt_f32_f16_e32 v16, v16
	v_mul_f32_e32 v16, v75, v16
	s_branch .LBB56_85
.LBB56_84:
	v_mov_b32_e32 v16, 0
.LBB56_85:
	v_add_f32_e32 v9, v9, v16
	v_add_f32_e32 v16, 0x40051340, v9
	v_max_f32_e32 v15, v15, v15
	v_max_f32_e32 v15, v15, v16
.LBB56_86:
	s_or_b64 exec, exec, s[12:13]
	ds_bpermute_b32 v16, v20, v15
	v_max_f32_e32 v15, v15, v15
	v_sub_f32_e32 v10, v10, v12
	s_mov_b32 s10, 0x3fb8aa3b
	s_mov_b32 s11, 0xc2ce8ed0
	s_waitcnt lgkmcnt(0)
	v_max_f32_e32 v16, v16, v16
	v_max_f32_e32 v15, v15, v16
	ds_bpermute_b32 v16, v21, v15
	s_mov_b32 s12, 0x42b17218
	v_cmp_ngt_f32_e32 vcc, s11, v10
	v_sub_f32_e32 v11, v11, v13
	v_sub_f32_e32 v8, v8, v14
	s_waitcnt lgkmcnt(0)
	v_max_f32_e32 v16, v16, v16
	v_max_f32_e32 v15, v15, v16
	ds_bpermute_b32 v16, v17, v15
	v_mul_f32_e32 v17, 0x3fb8aa3b, v10
	v_fma_f32 v20, v10, s10, -v17
	v_rndne_f32_e32 v21, v17
	v_fmac_f32_e32 v20, 0x32a5705f, v10
	s_waitcnt lgkmcnt(0)
	v_max_f32_e32 v16, v16, v16
	v_max_f32_e32 v15, v15, v16
	ds_bpermute_b32 v16, v18, v15
	v_sub_f32_e32 v17, v17, v21
	v_add_f32_e32 v17, v17, v20
	v_cvt_i32_f32_e32 v18, v21
	v_exp_f32_e32 v17, v17
	s_waitcnt lgkmcnt(0)
	v_max_f32_e32 v16, v16, v16
	v_max_f32_e32 v15, v15, v16
	ds_bpermute_b32 v16, v19, v15
	v_ldexp_f32 v17, v17, v18
	v_mov_b32_e32 v19, 0x7f800000
	v_cndmask_b32_e32 v17, 0, v17, vcc
	v_cmp_nlt_f32_e32 vcc, s12, v10
	s_waitcnt lgkmcnt(0)
	v_max_f32_e32 v16, v16, v16
	v_max_f32_e32 v15, v15, v16
	v_mul_f32_e32 v16, 0x3fb8aa3b, v11
	v_cndmask_b32_e32 v10, v19, v17, vcc
	v_fma_f32 v17, v11, s10, -v16
	v_rndne_f32_e32 v18, v16
	v_fmac_f32_e32 v17, 0x32a5705f, v11
	v_sub_f32_e32 v16, v16, v18
	v_add_f32_e32 v16, v16, v17
	v_exp_f32_e32 v17, v16
	v_cvt_i32_f32_e32 v18, v18
	v_sub_f32_e32 v9, v9, v15
	v_cmp_ngt_f32_e64 s[8:9], s11, v11
	v_cmp_gt_u32_e32 vcc, s28, v114
	v_ldexp_f32 v17, v17, v18
	v_mul_f32_e32 v18, 0x3fb8aa3b, v8
	v_fma_f32 v20, v8, s10, -v18
	v_rndne_f32_e32 v21, v18
	v_fmac_f32_e32 v20, 0x32a5705f, v8
	v_sub_f32_e32 v18, v18, v21
	v_add_f32_e32 v18, v18, v20
	v_exp_f32_e32 v18, v18
	v_cvt_i32_f32_e32 v20, v21
	v_cndmask_b32_e64 v17, 0, v17, s[8:9]
	v_cmp_nlt_f32_e64 s[8:9], s12, v11
	v_cndmask_b32_e32 v16, 0, v10, vcc
	v_ldexp_f32 v18, v18, v20
	v_mul_f32_e32 v20, 0x3fb8aa3b, v9
	v_fma_f32 v21, v9, s10, -v20
	v_rndne_f32_e32 v22, v20
	v_fmac_f32_e32 v21, 0x32a5705f, v9
	v_sub_f32_e32 v20, v20, v22
	v_add_f32_e32 v20, v20, v21
	v_exp_f32_e32 v20, v20
	v_cvt_i32_f32_e32 v21, v22
	v_cndmask_b32_e64 v11, v19, v17, s[8:9]
	v_cmp_ngt_f32_e64 s[8:9], s11, v8
	v_cndmask_b32_e32 v17, 0, v11, vcc
	v_ldexp_f32 v20, v20, v21
	v_cndmask_b32_e64 v18, 0, v18, s[8:9]
	v_cmp_nlt_f32_e64 s[8:9], s12, v8
	v_cvt_f16_f32_e32 v10, v16
	v_cvt_f16_f32_e32 v11, v17
	v_cndmask_b32_e64 v8, v19, v18, s[8:9]
	v_cmp_ngt_f32_e64 s[8:9], s11, v9
	v_cndmask_b32_e32 v18, 0, v8, vcc
	v_cvt_f16_f32_e32 v8, v18
	v_cndmask_b32_e64 v20, 0, v20, s[8:9]
	v_cmp_nlt_f32_e64 s[8:9], s12, v9
	s_barrier
	s_nop 0
	v_cndmask_b32_e64 v9, v19, v20, s[8:9]
	v_cndmask_b32_e32 v19, 0, v9, vcc
	v_cvt_f16_f32_e32 v9, v19
	v_mov_b32_e32 v20, 0x2c40
	v_lshl_add_u32 v101, v73, 8, v20
	v_add_u32_e32 v20, v101, v118
	v_pack_b32_f16 v9, v8, v9
	v_pack_b32_f16 v8, v10, v11
	ds_write_b64 v20, v[8:9]
	v_mul_u32_u24_e32 v8, 0xe0, v92
	s_mul_hi_i32 s9, s43, s2
	s_mul_i32 s8, s43, s2
	v_lshl_or_b32 v8, v74, 2, v8
	v_mul_lo_u32 v84, s2, v92
	s_lshl_b64 s[8:9], s[8:9], 2
	v_cmp_gt_u32_e32 vcc, 16, v92
	s_mov_b64 s[24:25], src_private_base
	v_add_u32_e32 v102, 0x1cc0, v8
	v_ashrrev_i32_e32 v85, 31, v84
	v_lshl_add_u64 v[20:21], v[78:79], 0, s[8:9]
	s_and_saveexec_b64 s[8:9], vcc
	s_cbranch_execz .LBB56_88
; %bb.87:
	v_mov_b32_e32 v8, 0
	v_mov_b32_e32 v9, v8
	;; [unrolled: 1-line block ×3, first 2 shown]
	scratch_store_dwordx3 off, v[8:10], off offset:4
	v_mov_b32_e32 v83, v8
	scratch_store_dword off, v8, off
	v_lshl_add_u64 v[10:11], v[84:85], 2, v[20:21]
	v_lshl_add_u64 v[8:9], v[10:11], 0, v[82:83]
	s_mov_b64 s[10:11], 0xc0
	v_lshl_add_u64 v[8:9], v[8:9], 0, s[10:11]
	v_mov_b32_e32 v10, s25
	v_cndmask_b32_e64 v9, v10, v9, s[4:5]
	v_mov_b32_e32 v10, 0
	v_cndmask_b32_e64 v8, v10, v8, s[4:5]
	flat_load_dwordx4 v[8:11], v[8:9]
	s_waitcnt vmcnt(0) lgkmcnt(0)
	ds_write_b128 v102, v[8:11]
.LBB56_88:
	s_or_b64 exec, exec, s[8:9]
	v_mul_u32_u24_e32 v8, 0xe0, v93
	s_movk_i32 s8, 0x1c80
	v_mul_lo_u32 v86, s2, v93
	v_cmp_gt_u32_e64 s[4:5], 16, v93
	v_add3_u32 v103, v8, v80, s8
	v_ashrrev_i32_e32 v87, 31, v86
	s_and_saveexec_b64 s[8:9], s[4:5]
	s_cbranch_execz .LBB56_90
; %bb.89:
	v_mov_b32_e32 v8, 0
	v_mov_b32_e32 v9, v8
	;; [unrolled: 1-line block ×3, first 2 shown]
	scratch_store_dwordx3 off, v[8:10], off offset:4
	v_mov_b32_e32 v81, v8
	scratch_store_dword off, v8, off
	v_lshl_add_u64 v[10:11], v[86:87], 2, v[20:21]
	v_lshl_add_u64 v[8:9], v[10:11], 0, v[80:81]
	s_mov_b64 s[10:11], 0x80
	v_lshl_add_u64 v[8:9], v[8:9], 0, s[10:11]
	v_mov_b32_e32 v10, s25
	v_cndmask_b32_e64 v9, v10, v9, s[6:7]
	v_mov_b32_e32 v10, 0
	v_cndmask_b32_e64 v8, v10, v8, s[6:7]
	flat_load_dwordx4 v[8:11], v[8:9]
	s_waitcnt vmcnt(0) lgkmcnt(0)
	ds_write_b128 v103, v[8:11]
.LBB56_90:
	s_or_b64 exec, exec, s[8:9]
	v_add_u32_e32 v104, v116, v127
	v_mul_u32_u24_e32 v9, 0xe0, v104
	v_lshlrev_b32_e32 v88, 2, v72
	s_movk_i32 s8, 0x1c00
	v_mul_lo_u32 v90, s2, v104
	v_cmp_gt_u32_e64 s[6:7], 16, v104
	s_mov_b64 s[26:27], src_private_base
	v_mov_b32_e32 v8, 0
	v_add3_u32 v105, v9, v88, s8
	v_ashrrev_i32_e32 v91, 31, v90
	s_and_saveexec_b64 s[10:11], s[6:7]
	s_cbranch_execz .LBB56_92
; %bb.91:
	v_mov_b32_e32 v9, v8
	v_mov_b32_e32 v10, v8
	scratch_store_dwordx3 off, v[8:10], off offset:4
	v_mov_b32_e32 v89, v8
	scratch_store_dword off, v8, off
	v_lshl_add_u64 v[10:11], v[90:91], 2, v[20:21]
	v_lshl_add_u64 v[8:9], v[10:11], 0, v[88:89]
	v_mov_b32_e32 v10, s27
	v_cmp_gt_i32_e64 s[8:9], s28, v104
	s_nop 1
	v_cndmask_b32_e64 v9, v10, v9, s[8:9]
	v_mov_b32_e32 v10, 0
	v_cndmask_b32_e64 v8, v10, v8, s[8:9]
	flat_load_dwordx4 v[8:11], v[8:9]
	s_waitcnt vmcnt(0) lgkmcnt(0)
	ds_write_b128 v105, v[8:11]
.LBB56_92:
	s_or_b64 exec, exec, s[10:11]
	v_sub_f32_e32 v4, v4, v12
	s_mov_b32 s12, 0x3fb8aa3b
	v_mul_f32_e32 v8, 0x3fb8aa3b, v4
	v_fma_f32 v9, v4, s12, -v8
	v_rndne_f32_e32 v10, v8
	v_fmac_f32_e32 v9, 0x32a5705f, v4
	v_sub_f32_e32 v8, v8, v10
	v_add_f32_e32 v8, v8, v9
	v_exp_f32_e32 v8, v8
	v_cvt_i32_f32_e32 v9, v10
	v_sub_f32_e32 v5, v5, v13
	s_mov_b32 s14, 0xc2ce8ed0
	s_mov_b32 s15, 0x42b17218
	v_ldexp_f32 v81, v8, v9
	v_mul_f32_e32 v8, 0x3fb8aa3b, v5
	v_fma_f32 v9, v5, s12, -v8
	v_rndne_f32_e32 v10, v8
	v_fmac_f32_e32 v9, 0x32a5705f, v5
	v_sub_f32_e32 v8, v8, v10
	v_add_f32_e32 v8, v8, v9
	v_exp_f32_e32 v8, v8
	v_cvt_i32_f32_e32 v9, v10
	v_cmp_ngt_f32_e64 s[16:17], s14, v4
	v_cmp_nlt_f32_e64 s[8:9], s15, v4
	v_sub_f32_e32 v4, v6, v14
	v_cmp_ngt_f32_e64 s[18:19], s14, v5
	v_cmp_nlt_f32_e64 s[10:11], s15, v5
	v_mul_f32_e32 v5, 0x3fb8aa3b, v4
	v_ldexp_f32 v89, v8, v9
	v_fma_f32 v6, v4, s12, -v5
	v_rndne_f32_e32 v8, v5
	v_fmac_f32_e32 v6, 0x32a5705f, v4
	v_sub_f32_e32 v5, v5, v8
	v_sub_f32_e32 v7, v7, v15
	v_add_f32_e32 v5, v5, v6
	v_cvt_i32_f32_e32 v6, v8
	v_mul_f32_e32 v8, 0x3fb8aa3b, v7
	v_fma_f32 v9, v7, s12, -v8
	v_rndne_f32_e32 v10, v8
	v_fmac_f32_e32 v9, 0x32a5705f, v7
	v_sub_f32_e32 v8, v8, v10
	v_cmp_ngt_f32_e64 s[20:21], s14, v4
	v_cmp_nlt_f32_e64 s[12:13], s15, v4
	v_add_u32_e32 v4, 0x1800, v118
	v_add_f32_e32 v8, v8, v9
	s_waitcnt lgkmcnt(0)
	s_barrier
	ds_read2_b64 v[68:71], v4 offset0:128 offset1:156
	ds_read_b128 v[72:75], v101
	ds_read_b128 v[60:63], v101 offset:16
	ds_read_b128 v[52:55], v101 offset:32
	;; [unrolled: 1-line block ×3, first 2 shown]
	ds_read2_b64 v[64:67], v4 offset0:184 offset1:212
	v_add_u32_e32 v4, 0x1c00, v118
	v_exp_f32_e32 v5, v5
	v_exp_f32_e32 v8, v8
	v_cvt_i32_f32_e32 v9, v10
	ds_read2_b64 v[56:59], v4 offset0:112 offset1:140
	v_add_u32_e32 v4, 0x2000, v118
	ds_read2_b64 v[48:51], v4 offset0:40 offset1:68
	ds_read2_b64 v[36:39], v4 offset0:96 offset1:124
	;; [unrolled: 1-line block ×3, first 2 shown]
	ds_read_b128 v[44:47], v101 offset:64
	ds_read_b128 v[32:35], v101 offset:80
	ds_read2_b64 v[20:23], v4 offset0:208 offset1:236
	v_add_u32_e32 v4, 0x2800, v118
	v_ldexp_f32 v106, v5, v6
	v_ldexp_f32 v107, v8, v9
	v_cmp_ngt_f32_e64 s[22:23], s14, v7
	v_cmp_nlt_f32_e64 s[14:15], s15, v7
	ds_read2_b64 v[4:7], v4 offset0:8 offset1:36
	ds_read_b128 v[24:27], v101 offset:96
	ds_read_b128 v[8:11], v101 offset:112
	s_or_b32 s24, s43, 16
	s_mul_hi_i32 s37, s24, s2
	s_mul_i32 s36, s24, s2
	s_lshl_b64 s[36:37], s[36:37], 2
	v_lshl_add_u64 v[78:79], v[78:79], 0, s[36:37]
	s_add_i32 s2, s28, -16
	s_waitcnt lgkmcnt(0)
	s_barrier
	s_and_saveexec_b64 s[28:29], vcc
	s_cbranch_execz .LBB56_94
; %bb.93:
	v_mov_b32_e32 v108, 0
	v_lshl_add_u64 v[84:85], v[84:85], 2, v[78:79]
	v_mov_b32_e32 v83, v108
	v_lshl_add_u64 v[82:83], v[84:85], 0, v[82:83]
	s_mov_b64 s[36:37], 0xc0
	v_lshl_add_u64 v[82:83], v[82:83], 0, s[36:37]
	v_mov_b32_e32 v84, s25
	v_cmp_gt_i32_e32 vcc, s2, v92
	v_mov_b32_e32 v109, v108
	v_mov_b32_e32 v110, v108
	v_cndmask_b32_e32 v83, v84, v83, vcc
	v_mov_b32_e32 v84, 0
	scratch_store_dword off, v108, off
	scratch_store_dwordx3 off, v[108:110], off offset:4
	v_cndmask_b32_e32 v82, v84, v82, vcc
	flat_load_dwordx4 v[82:85], v[82:83]
	s_waitcnt vmcnt(0) lgkmcnt(0)
	ds_write_b128 v102, v[82:85]
.LBB56_94:
	s_or_b64 exec, exec, s[28:29]
	v_cndmask_b32_e64 v82, 0, v81, s[16:17]
	v_mov_b32_e32 v84, 0x7f800000
	v_cndmask_b32_e64 v85, 0, v89, s[18:19]
	v_cndmask_b32_e64 v89, 0, v106, s[20:21]
	;; [unrolled: 1-line block ×3, first 2 shown]
	s_and_saveexec_b64 s[16:17], s[4:5]
	s_cbranch_execz .LBB56_96
; %bb.95:
	v_mov_b32_e32 v106, 0
	v_lshl_add_u64 v[86:87], v[86:87], 2, v[78:79]
	v_mov_b32_e32 v81, v106
	v_lshl_add_u64 v[80:81], v[86:87], 0, v[80:81]
	s_mov_b64 s[4:5], 0x80
	v_lshl_add_u64 v[80:81], v[80:81], 0, s[4:5]
	v_mov_b32_e32 v83, s25
	v_cmp_gt_i32_e32 vcc, s2, v93
	v_mov_b32_e32 v107, v106
	v_mov_b32_e32 v108, v106
	v_cndmask_b32_e32 v81, v83, v81, vcc
	v_mov_b32_e32 v83, 0
	scratch_store_dword off, v106, off
	scratch_store_dwordx3 off, v[106:108], off offset:4
	v_cndmask_b32_e32 v80, v83, v80, vcc
	flat_load_dwordx4 v[106:109], v[80:81]
	s_waitcnt vmcnt(0) lgkmcnt(0)
	ds_write_b128 v103, v[106:109]
.LBB56_96:
	s_or_b64 exec, exec, s[16:17]
	v_cndmask_b32_e64 v83, v84, v82, s[8:9]
	v_cndmask_b32_e64 v82, v84, v85, s[10:11]
	;; [unrolled: 1-line block ×4, first 2 shown]
	s_and_saveexec_b64 s[4:5], s[6:7]
	s_cbranch_execz .LBB56_98
; %bb.97:
	v_mov_b32_e32 v84, 0
	v_mov_b32_e32 v85, v84
	;; [unrolled: 1-line block ×3, first 2 shown]
	v_lshl_add_u64 v[78:79], v[90:91], 2, v[78:79]
	v_mov_b32_e32 v89, v84
	scratch_store_dword off, v84, off
	scratch_store_dwordx3 off, v[84:86], off offset:4
	v_lshl_add_u64 v[78:79], v[78:79], 0, v[88:89]
	v_cmp_gt_i32_e32 vcc, s2, v104
	v_mov_b32_e32 v84, s27
	s_nop 0
	v_cndmask_b32_e32 v79, v84, v79, vcc
	v_mov_b32_e32 v84, 0
	v_cndmask_b32_e32 v78, v84, v78, vcc
	flat_load_dwordx4 v[84:87], v[78:79]
	s_waitcnt vmcnt(0) lgkmcnt(0)
	ds_write_b128 v105, v[84:87]
.LBB56_98:
	s_or_b64 exec, exec, s[4:5]
	v_cvt_f16_f32_e32 v78, v83
	v_cvt_f16_f32_e32 v79, v82
	;; [unrolled: 1-line block ×4, first 2 shown]
	v_pk_mul_f16 v90, v68, v72 op_sel_hi:[1,0]
	v_pk_mul_f16 v86, v78, v126 op_sel_hi:[0,1]
	v_pk_fma_f16 v78, v78, v125, v90 op_sel_hi:[0,1,1]
	v_pk_mul_f16 v90, v68, v72 op_sel:[0,1]
	v_pk_mul_f16 v87, v79, v124 op_sel_hi:[0,1]
	v_pk_mul_f16 v88, v84, v122 op_sel_hi:[0,1]
	;; [unrolled: 1-line block ×4, first 2 shown]
	v_pk_fma_f16 v79, v79, v123, v90 op_sel_hi:[0,1,1]
	v_pk_mul_f16 v90, v68, v73 op_sel_hi:[1,0]
	v_pk_fma_f16 v68, v68, v73, v89 op_sel:[0,1,0]
	v_pk_fma_f16 v84, v84, v121, v90 op_sel_hi:[0,1,1]
	v_pk_fma_f16 v86, v69, v72, v86 op_sel_hi:[1,0,1]
	v_pk_fma_f16 v72, v69, v72, v87 op_sel:[0,1,0]
	v_pk_fma_f16 v87, v69, v73, v88 op_sel_hi:[1,0,1]
	v_pk_fma_f16 v69, v69, v73, v85 op_sel:[0,1,0]
	;; [unrolled: 2-line block ×58, first 2 shown]
	v_add_u32_e32 v36, 0x1800, v118
	v_pk_fma_f16 v28, v6, v10, v23 op_sel_hi:[1,0,1]
	v_pk_fma_f16 v29, v6, v10, v25 op_sel:[0,1,0]
	v_pk_fma_f16 v30, v6, v11, v27 op_sel_hi:[1,0,1]
	v_pk_fma_f16 v31, v6, v11, v4 op_sel:[0,1,0]
	;; [unrolled: 2-line block ×4, first 2 shown]
	s_waitcnt lgkmcnt(0)
	s_barrier
	ds_read2_b64 v[4:7], v36 offset0:128 offset1:156
	ds_read_b128 v[8:11], v101 offset:128
	v_fmac_f32_e32 v16, v0, v83
	v_fmac_f32_e32 v17, v1, v82
	;; [unrolled: 1-line block ×4, first 2 shown]
	s_waitcnt lgkmcnt(0)
	v_pk_fma_f16 v28, v4, v8, v28 op_sel_hi:[1,0,1]
	v_pk_fma_f16 v29, v4, v8, v29 op_sel:[0,1,0]
	v_pk_fma_f16 v30, v4, v9, v30 op_sel_hi:[1,0,1]
	ds_read_b128 v[0:3], v101 offset:144
	ds_read_b128 v[20:23], v101 offset:160
	;; [unrolled: 1-line block ×3, first 2 shown]
	v_pk_fma_f16 v4, v4, v9, v31 op_sel:[0,1,0]
	v_pk_fma_f16 v32, v5, v8, v32 op_sel_hi:[1,0,1]
	v_pk_fma_f16 v8, v5, v8, v33 op_sel:[0,1,0]
	v_pk_fma_f16 v33, v5, v9, v34 op_sel_hi:[1,0,1]
	;; [unrolled: 2-line block ×4, first 2 shown]
	ds_read2_b64 v[28:31], v36 offset0:184 offset1:212
	v_pk_fma_f16 v4, v6, v11, v4 op_sel:[0,1,0]
	v_pk_fma_f16 v6, v7, v10, v32 op_sel_hi:[1,0,1]
	v_pk_fma_f16 v8, v7, v10, v8 op_sel:[0,1,0]
	v_pk_fma_f16 v10, v7, v11, v33 op_sel_hi:[1,0,1]
	v_pk_fma_f16 v5, v7, v11, v5 op_sel:[0,1,0]
	s_waitcnt lgkmcnt(0)
	v_pk_fma_f16 v4, v28, v1, v4 op_sel:[0,1,0]
	v_pk_fma_f16 v7, v28, v0, v9 op_sel_hi:[1,0,1]
	v_pk_fma_f16 v9, v28, v0, v34 op_sel:[0,1,0]
	v_pk_fma_f16 v11, v28, v1, v35 op_sel_hi:[1,0,1]
	v_pk_fma_f16 v28, v29, v0, v6 op_sel_hi:[1,0,1]
	v_pk_fma_f16 v0, v29, v0, v8 op_sel:[0,1,0]
	v_pk_fma_f16 v8, v29, v1, v10 op_sel_hi:[1,0,1]
	v_pk_fma_f16 v1, v29, v1, v5 op_sel:[0,1,0]
	v_pk_fma_f16 v29, v30, v3, v4 op_sel:[0,1,0]
	v_add_u32_e32 v4, 0x1c00, v118
	v_pk_fma_f16 v10, v30, v2, v7 op_sel_hi:[1,0,1]
	ds_read2_b64 v[4:7], v4 offset0:112 offset1:140
	v_pk_fma_f16 v28, v31, v2, v28 op_sel_hi:[1,0,1]
	v_pk_fma_f16 v9, v30, v2, v9 op_sel:[0,1,0]
	v_pk_fma_f16 v11, v30, v3, v11 op_sel_hi:[1,0,1]
	v_pk_fma_f16 v0, v31, v2, v0 op_sel:[0,1,0]
	;; [unrolled: 2-line block ×3, first 2 shown]
	s_waitcnt lgkmcnt(0)
	v_pk_fma_f16 v3, v4, v20, v10 op_sel_hi:[1,0,1]
	v_pk_fma_f16 v10, v5, v20, v28 op_sel_hi:[1,0,1]
	v_add_u32_e32 v28, 0x2000, v118
	v_pk_fma_f16 v8, v4, v20, v9 op_sel:[0,1,0]
	v_pk_fma_f16 v9, v4, v21, v11 op_sel_hi:[1,0,1]
	v_pk_fma_f16 v4, v4, v21, v29 op_sel:[0,1,0]
	v_pk_fma_f16 v11, v5, v20, v0 op_sel:[0,1,0]
	v_pk_fma_f16 v20, v5, v21, v2 op_sel_hi:[1,0,1]
	v_pk_fma_f16 v5, v5, v21, v1 op_sel:[0,1,0]
	v_pk_fma_f16 v21, v6, v22, v3 op_sel_hi:[1,0,1]
	ds_read2_b64 v[0:3], v28 offset0:40 offset1:68
	v_pk_fma_f16 v8, v6, v22, v8 op_sel:[0,1,0]
	v_pk_fma_f16 v9, v6, v23, v9 op_sel_hi:[1,0,1]
	v_pk_fma_f16 v4, v6, v23, v4 op_sel:[0,1,0]
	v_pk_fma_f16 v6, v7, v22, v10 op_sel_hi:[1,0,1]
	;; [unrolled: 2-line block ×3, first 2 shown]
	v_pk_fma_f16 v5, v7, v23, v5 op_sel:[0,1,0]
	s_waitcnt lgkmcnt(0)
	v_pk_fma_f16 v7, v0, v24, v21 op_sel_hi:[1,0,1]
	v_pk_fma_f16 v8, v0, v24, v8 op_sel:[0,1,0]
	v_pk_fma_f16 v9, v0, v25, v9 op_sel_hi:[1,0,1]
	v_pk_fma_f16 v0, v0, v25, v4 op_sel:[0,1,0]
	;; [unrolled: 2-line block ×5, first 2 shown]
	v_pk_fma_f16 v24, v2, v27, v9 op_sel_hi:[1,0,1]
	v_pk_fma_f16 v29, v3, v26, v4 op_sel_hi:[1,0,1]
	ds_read2_b64 v[4:7], v28 offset0:96 offset1:124
	ds_read_b128 v[8:11], v101 offset:192
	v_pk_fma_f16 v25, v2, v27, v0 op_sel:[0,1,0]
	v_pk_fma_f16 v20, v3, v26, v20 op_sel:[0,1,0]
	v_pk_fma_f16 v21, v3, v27, v21 op_sel_hi:[1,0,1]
	v_pk_fma_f16 v26, v3, v27, v1 op_sel:[0,1,0]
	s_waitcnt lgkmcnt(0)
	v_pk_fma_f16 v22, v4, v8, v22 op_sel_hi:[1,0,1]
	v_pk_fma_f16 v23, v4, v8, v23 op_sel:[0,1,0]
	ds_read_b128 v[0:3], v101 offset:208
	v_pk_fma_f16 v24, v4, v9, v24 op_sel_hi:[1,0,1]
	v_pk_fma_f16 v4, v4, v9, v25 op_sel:[0,1,0]
	v_pk_fma_f16 v25, v5, v8, v29 op_sel_hi:[1,0,1]
	v_pk_fma_f16 v8, v5, v8, v20 op_sel:[0,1,0]
	;; [unrolled: 2-line block ×4, first 2 shown]
	ds_read2_b64 v[20:23], v28 offset0:152 offset1:180
	v_pk_fma_f16 v24, v6, v11, v24 op_sel_hi:[1,0,1]
	v_pk_fma_f16 v4, v6, v11, v4 op_sel:[0,1,0]
	v_pk_fma_f16 v6, v7, v10, v25 op_sel_hi:[1,0,1]
	v_pk_fma_f16 v8, v7, v10, v8 op_sel:[0,1,0]
	;; [unrolled: 2-line block ×3, first 2 shown]
	s_waitcnt lgkmcnt(0)
	v_pk_fma_f16 v7, v20, v0, v9 op_sel_hi:[1,0,1]
	v_pk_fma_f16 v9, v20, v0, v26 op_sel:[0,1,0]
	v_pk_fma_f16 v11, v20, v1, v24 op_sel_hi:[1,0,1]
	v_pk_fma_f16 v4, v20, v1, v4 op_sel:[0,1,0]
	;; [unrolled: 2-line block ×6, first 2 shown]
	v_pk_fma_f16 v26, v23, v2, v6 op_sel_hi:[1,0,1]
	ds_read2_b64 v[4:7], v28 offset0:208 offset1:236
	ds_read_b128 v[8:11], v101 offset:224
	v_pk_fma_f16 v27, v23, v2, v0 op_sel:[0,1,0]
	v_pk_fma_f16 v20, v23, v3, v20 op_sel_hi:[1,0,1]
	v_pk_fma_f16 v23, v23, v3, v1 op_sel:[0,1,0]
	ds_read_b128 v[0:3], v101 offset:240
	s_waitcnt lgkmcnt(1)
	v_pk_fma_f16 v21, v4, v8, v21 op_sel_hi:[1,0,1]
	v_pk_fma_f16 v24, v4, v8, v24 op_sel:[0,1,0]
	v_pk_fma_f16 v25, v4, v9, v25 op_sel_hi:[1,0,1]
	v_pk_fma_f16 v4, v4, v9, v22 op_sel:[0,1,0]
	;; [unrolled: 2-line block ×6, first 2 shown]
	v_add_u32_e32 v6, 0x2800, v118
	ds_read2_b64 v[20:23], v6 offset0:8 offset1:36
	v_pk_fma_f16 v6, v7, v10, v26 op_sel_hi:[1,0,1]
	v_pk_fma_f16 v8, v7, v10, v8 op_sel:[0,1,0]
	v_pk_fma_f16 v10, v7, v11, v27 op_sel_hi:[1,0,1]
	v_pk_fma_f16 v5, v7, v11, v5 op_sel:[0,1,0]
	s_waitcnt lgkmcnt(0)
	v_pk_fma_f16 v7, v20, v0, v9 op_sel_hi:[1,0,1]
	v_pk_fma_f16 v4, v20, v1, v4 op_sel:[0,1,0]
	v_pk_fma_f16 v6, v21, v0, v6 op_sel_hi:[1,0,1]
	v_pk_fma_f16 v9, v20, v0, v24 op_sel:[0,1,0]
	;; [unrolled: 2-line block ×5, first 2 shown]
	v_pk_fma_f16 v126, v23, v2, v6 op_sel_hi:[1,0,1]
	v_mov_b64_e32 v[4:5], v[12:13]
	v_pk_fma_f16 v123, v22, v2, v9 op_sel:[0,1,0]
	v_pk_fma_f16 v121, v22, v3, v11 op_sel_hi:[1,0,1]
	v_pk_fma_f16 v124, v23, v2, v0 op_sel:[0,1,0]
	v_pk_fma_f16 v122, v23, v3, v8 op_sel_hi:[1,0,1]
	v_pk_fma_f16 v120, v23, v3, v1 op_sel:[0,1,0]
	v_mov_b64_e32 v[6:7], v[14:15]
	s_barrier
.LBB56_99:
	v_cmp_lt_i32_e32 vcc, v98, v95
	s_cmp_eq_u64 s[44:45], 0
	s_cselect_b64 s[4:5], -1, 0
	v_cndmask_b32_e32 v0, v94, v98, vcc
	v_cmp_lt_i32_e32 vcc, v99, v95
	v_lshlrev_b32_e32 v3, 2, v0
	ds_bpermute_b32 v1, v3, v17
	v_cndmask_b32_e32 v0, v94, v99, vcc
	v_cmp_lt_i32_e32 vcc, v100, v95
	v_lshlrev_b32_e32 v11, 2, v0
	ds_bpermute_b32 v2, v3, v18
	v_cndmask_b32_e32 v0, v94, v100, vcc
	v_lshlrev_b32_e32 v12, 2, v0
	ds_bpermute_b32 v0, v3, v16
	ds_bpermute_b32 v3, v3, v19
	v_cmp_lt_i32_e32 vcc, v97, v95
	s_cmp_lg_u32 s3, 0
	s_cselect_b64 s[6:7], -1, 0
	s_waitcnt lgkmcnt(1)
	v_pk_add_f32 v[0:1], v[16:17], v[0:1]
	s_waitcnt lgkmcnt(0)
	v_pk_add_f32 v[2:3], v[18:19], v[2:3]
	ds_bpermute_b32 v8, v11, v0
	ds_bpermute_b32 v9, v11, v1
	;; [unrolled: 1-line block ×4, first 2 shown]
	v_cndmask_b32_e32 v13, v94, v97, vcc
	v_lshlrev_b32_e32 v13, 2, v13
	s_waitcnt lgkmcnt(2)
	v_pk_add_f32 v[0:1], v[0:1], v[8:9]
	ds_bpermute_b32 v8, v12, v0
	s_waitcnt lgkmcnt(1)
	v_pk_add_f32 v[2:3], v[2:3], v[10:11]
	ds_bpermute_b32 v9, v12, v1
	ds_bpermute_b32 v10, v12, v2
	;; [unrolled: 1-line block ×3, first 2 shown]
	v_cmp_lt_i32_e32 vcc, v96, v95
	s_or_b64 s[4:5], s[6:7], s[4:5]
	s_waitcnt lgkmcnt(2)
	v_pk_add_f32 v[0:1], v[0:1], v[8:9]
	ds_bpermute_b32 v8, v13, v0
	s_waitcnt lgkmcnt(1)
	v_pk_add_f32 v[2:3], v[2:3], v[10:11]
	ds_bpermute_b32 v9, v13, v1
	ds_bpermute_b32 v10, v13, v2
	;; [unrolled: 1-line block ×3, first 2 shown]
	v_cndmask_b32_e32 v12, v94, v96, vcc
	v_lshlrev_b32_e32 v13, 2, v12
	s_waitcnt lgkmcnt(2)
	v_pk_add_f32 v[0:1], v[0:1], v[8:9]
	ds_bpermute_b32 v8, v13, v0
	s_waitcnt lgkmcnt(1)
	v_pk_add_f32 v[10:11], v[2:3], v[10:11]
	ds_bpermute_b32 v9, v13, v1
	ds_bpermute_b32 v12, v13, v10
	;; [unrolled: 1-line block ×3, first 2 shown]
	s_and_b64 vcc, exec, s[4:5]
	s_waitcnt lgkmcnt(2)
	v_pk_add_f32 v[2:3], v[0:1], v[8:9]
	s_waitcnt lgkmcnt(0)
	v_pk_add_f32 v[0:1], v[10:11], v[12:13]
	s_cbranch_vccnz .LBB56_101
; %bb.100:
	s_lshl_b64 s[4:5], s[34:35], 2
	s_add_u32 s4, s44, s4
	s_addc_u32 s5, s45, s5
	v_mov_b32_e32 v8, 0
	global_load_dword v12, v8, s[4:5]
	v_max_f32_e32 v8, v5, v5
	v_max_f32_e32 v10, v4, v4
	;; [unrolled: 1-line block ×4, first 2 shown]
	s_mov_b32 s5, 0x3fb8aa3b
	s_mov_b32 s2, 0xc2ce8ed0
	;; [unrolled: 1-line block ×3, first 2 shown]
	v_mov_b32_e32 v14, 0x7f800000
	s_waitcnt vmcnt(0)
	v_max_f32_e32 v15, v12, v12
	v_max_f32_e32 v9, v8, v15
	;; [unrolled: 1-line block ×3, first 2 shown]
	v_pk_add_f32 v[4:5], v[4:5], v[8:9] neg_lo:[0,1] neg_hi:[0,1]
	v_max_f32_e32 v11, v11, v15
	v_max_f32_e32 v10, v13, v15
	v_mul_f32_e32 v13, 0x3fb8aa3b, v5
	v_pk_add_f32 v[6:7], v[6:7], v[10:11] neg_lo:[0,1] neg_hi:[0,1]
	v_mul_f32_e32 v18, 0x3fb8aa3b, v4
	v_fma_f32 v23, v5, s5, -v13
	v_rndne_f32_e32 v24, v13
	v_mul_f32_e32 v19, 0x3fb8aa3b, v7
	v_fma_f32 v25, v4, s5, -v18
	v_rndne_f32_e32 v26, v18
	v_fmac_f32_e32 v23, 0x32a5705f, v5
	v_sub_f32_e32 v13, v13, v24
	v_mul_f32_e32 v20, 0x3fb8aa3b, v6
	v_fma_f32 v27, v7, s5, -v19
	v_rndne_f32_e32 v28, v19
	v_fmac_f32_e32 v25, 0x32a5705f, v4
	v_sub_f32_e32 v18, v18, v26
	v_add_f32_e32 v13, v13, v23
	v_fma_f32 v29, v6, s5, -v20
	v_rndne_f32_e32 v30, v20
	v_cvt_i32_f32_e32 v24, v24
	v_fmac_f32_e32 v27, 0x32a5705f, v7
	v_sub_f32_e32 v19, v19, v28
	v_add_f32_e32 v18, v18, v25
	v_exp_f32_e32 v13, v13
	v_cvt_i32_f32_e32 v26, v26
	v_fmac_f32_e32 v29, 0x32a5705f, v6
	v_sub_f32_e32 v20, v20, v30
	v_add_f32_e32 v19, v19, v27
	v_exp_f32_e32 v18, v18
	v_cvt_i32_f32_e32 v28, v28
	v_add_f32_e32 v20, v20, v29
	v_exp_f32_e32 v19, v19
	v_cvt_i32_f32_e32 v30, v30
	v_exp_f32_e32 v20, v20
	v_ldexp_f32 v13, v13, v24
	v_cmp_ngt_f32_e32 vcc, s2, v5
	v_ldexp_f32 v18, v18, v26
	v_ldexp_f32 v19, v19, v28
	v_cndmask_b32_e32 v13, 0, v13, vcc
	v_cmp_ngt_f32_e32 vcc, s2, v4
	v_ldexp_f32 v20, v20, v30
	v_sub_f32_e32 v16, v12, v10
	v_cndmask_b32_e32 v18, 0, v18, vcc
	v_cmp_ngt_f32_e32 vcc, s2, v7
	v_sub_f32_e32 v15, v12, v11
	v_sub_f32_e32 v17, v12, v8
	v_cndmask_b32_e32 v19, 0, v19, vcc
	v_cmp_ngt_f32_e32 vcc, s2, v6
	v_sub_f32_e32 v12, v12, v9
	v_mul_f32_e32 v21, 0x3fb8aa3b, v12
	v_cndmask_b32_e32 v20, 0, v20, vcc
	v_cmp_nlt_f32_e32 vcc, s4, v5
	v_mul_f32_e32 v22, 0x3fb8aa3b, v17
	v_fma_f32 v31, v12, s5, -v21
	v_cndmask_b32_e32 v5, v14, v13, vcc
	v_cmp_nlt_f32_e32 vcc, s4, v4
	v_rndne_f32_e32 v32, v21
	v_fma_f32 v33, v17, s5, -v22
	v_cndmask_b32_e32 v4, v14, v18, vcc
	v_cmp_nlt_f32_e32 vcc, s4, v7
	v_cvt_f16_f32_e32 v13, v4
	v_cvt_f16_f32_e32 v18, v5
	v_cndmask_b32_e32 v7, v14, v19, vcc
	v_cmp_nlt_f32_e32 vcc, s4, v6
	v_rndne_f32_e32 v34, v22
	v_fmac_f32_e32 v31, 0x32a5705f, v12
	v_cndmask_b32_e32 v6, v14, v20, vcc
	v_cvt_f16_f32_e32 v19, v6
	v_sub_f32_e32 v21, v21, v32
	v_fmac_f32_e32 v33, 0x32a5705f, v17
	v_sub_f32_e32 v22, v22, v34
	v_add_f32_e32 v21, v21, v31
	v_cvt_i32_f32_e32 v32, v32
	v_exp_f32_e32 v21, v21
	v_pk_mul_f16 v125, v13, v125 op_sel_hi:[0,1]
	v_pk_mul_f16 v126, v13, v126 op_sel_hi:[0,1]
	v_add_f32_e32 v13, v22, v33
	v_pk_mul_f16 v123, v18, v123 op_sel_hi:[0,1]
	v_pk_mul_f16 v124, v18, v124 op_sel_hi:[0,1]
	;; [unrolled: 1-line block ×4, first 2 shown]
	v_exp_f32_e32 v18, v13
	v_cvt_i32_f32_e32 v19, v34
	v_cvt_f16_f32_e32 v20, v7
	v_ldexp_f32 v21, v21, v32
	v_cmp_ngt_f32_e32 vcc, s2, v12
	v_pk_mul_f16 v119, v20, v119 op_sel_hi:[0,1]
	s_nop 0
	v_cndmask_b32_e32 v13, 0, v21, vcc
	v_cmp_nlt_f32_e32 vcc, s4, v12
	v_ldexp_f32 v12, v18, v19
	v_mul_f32_e32 v18, 0x3fb8aa3b, v15
	v_pk_mul_f16 v120, v20, v120 op_sel_hi:[0,1]
	v_fma_f32 v19, v15, s5, -v18
	v_rndne_f32_e32 v20, v18
	v_fmac_f32_e32 v19, 0x32a5705f, v15
	v_sub_f32_e32 v18, v18, v20
	v_add_f32_e32 v18, v18, v19
	v_exp_f32_e32 v18, v18
	v_cvt_i32_f32_e32 v19, v20
	v_cndmask_b32_e32 v13, v14, v13, vcc
	v_cmp_ngt_f32_e32 vcc, s2, v17
	s_nop 1
	v_cndmask_b32_e32 v12, 0, v12, vcc
	v_cmp_nlt_f32_e32 vcc, s4, v17
	v_ldexp_f32 v17, v18, v19
	v_mul_f32_e32 v18, 0x3fb8aa3b, v16
	v_fma_f32 v19, v16, s5, -v18
	v_rndne_f32_e32 v20, v18
	v_fmac_f32_e32 v19, 0x32a5705f, v16
	v_sub_f32_e32 v18, v18, v20
	v_add_f32_e32 v18, v18, v19
	v_exp_f32_e32 v18, v18
	v_cvt_i32_f32_e32 v19, v20
	v_cndmask_b32_e32 v12, v14, v12, vcc
	v_cmp_ngt_f32_e32 vcc, s2, v15
	v_pk_fma_f32 v[2:3], v[2:3], v[4:5], v[12:13]
	s_nop 0
	v_cndmask_b32_e32 v17, 0, v17, vcc
	v_cmp_nlt_f32_e32 vcc, s4, v15
	s_nop 1
	v_cndmask_b32_e32 v15, v14, v17, vcc
	v_ldexp_f32 v17, v18, v19
	v_cmp_ngt_f32_e32 vcc, s2, v16
	s_nop 1
	v_cndmask_b32_e32 v17, 0, v17, vcc
	v_cmp_nlt_f32_e32 vcc, s4, v16
	s_nop 1
	v_cndmask_b32_e32 v14, v14, v17, vcc
	v_pk_fma_f32 v[0:1], v[0:1], v[6:7], v[14:15]
	v_mov_b64_e32 v[4:5], v[8:9]
	v_mov_b64_e32 v[6:7], v[10:11]
.LBB56_101:
	v_cmp_gt_i32_e32 vcc, s54, v117
	s_and_saveexec_b64 s[4:5], vcc
	s_cbranch_execz .LBB56_129
; %bb.102:
	s_load_dword s2, s[0:1], 0xd4
	v_mov_b32_e32 v10, 1.0
	s_waitcnt lgkmcnt(0)
	s_cmp_lg_u32 s2, 1
	s_cselect_b64 s[0:1], -1, 0
	s_cmp_eq_u32 s2, 1
	s_cselect_b64 s[6:7], -1, 0
	s_and_b64 vcc, exec, s[0:1]
	s_cbranch_vccnz .LBB56_104
; %bb.103:
	v_div_scale_f32 v8, s[4:5], v2, v2, 1.0
	v_rcp_f32_e32 v9, v8
	v_div_scale_f32 v10, vcc, 1.0, v2, 1.0
	v_fma_f32 v11, -v8, v9, 1.0
	v_fmac_f32_e32 v9, v11, v9
	v_mul_f32_e32 v11, v10, v9
	v_fma_f32 v12, -v8, v11, v10
	v_fmac_f32_e32 v11, v12, v9
	v_fma_f32 v8, -v8, v11, v10
	v_div_fmas_f32 v8, v8, v9, v11
	v_div_fixup_f32 v10, v8, v2, 1.0
.LBB56_104:
	s_mul_i32 s8, s33, s54
	s_add_i32 s8, s8, s42
	v_add_u32_e32 v8, s8, v116
	v_mul_lo_u32 v8, v8, s55
	v_add_u32_e32 v8, s34, v8
	v_mul_lo_u32 v8, s2, v8
	v_add_u32_e32 v8, s3, v8
	s_and_saveexec_b64 s[4:5], s[30:31]
	s_cbranch_execz .LBB56_106
; %bb.105:
	v_cvt_f32_f16_sdwa v15, v125 dst_sel:DWORD dst_unused:UNUSED_PAD src0_sel:WORD_1
	v_cvt_f32_f16_e32 v14, v125
	v_cvt_f32_f16_sdwa v17, v126 dst_sel:DWORD dst_unused:UNUSED_PAD src0_sel:WORD_1
	v_cvt_f32_f16_e32 v16, v126
	s_movk_i32 s9, 0x70
	v_mad_u64_u32 v[12:13], s[10:11], v8, s9, v[76:77]
	v_mov_b32_e32 v13, 0
	v_lshl_add_u64 v[18:19], v[12:13], 2, s[48:49]
	v_pk_mul_f32 v[12:13], v[10:11], v[14:15] op_sel_hi:[0,1]
	v_pk_mul_f32 v[14:15], v[10:11], v[16:17] op_sel_hi:[0,1]
	global_store_dwordx4 v[18:19], v[12:15], off
.LBB56_106:
	s_or_b64 exec, exec, s[4:5]
	v_cmp_eq_u32_e32 vcc, 0, v114
	s_and_b64 s[4:5], vcc, s[0:1]
	s_and_saveexec_b64 s[0:1], s[4:5]
	s_cbranch_execz .LBB56_108
; %bb.107:
	v_ashrrev_i32_e32 v9, 31, v8
	v_lshl_add_u64 v[8:9], v[8:9], 3, s[50:51]
	v_mov_b32_e32 v10, v4
	v_mov_b32_e32 v11, v2
	global_store_dwordx2 v[8:9], v[10:11], off
.LBB56_108:
	s_or_b64 exec, exec, s[0:1]
	v_cmp_gt_i32_e32 vcc, s54, v115
	s_and_b64 exec, exec, vcc
	s_cbranch_execz .LBB56_129
; %bb.109:
	v_cndmask_b32_e64 v2, 0, 1, s[6:7]
	v_cmp_ne_u32_e64 s[0:1], 1, v2
	s_andn2_b64 vcc, exec, s[6:7]
	v_mov_b32_e32 v2, 1.0
	s_cbranch_vccnz .LBB56_111
; %bb.110:
	v_div_scale_f32 v2, s[6:7], v3, v3, 1.0
	v_rcp_f32_e32 v4, v2
	v_div_scale_f32 v8, vcc, 1.0, v3, 1.0
	v_fma_f32 v9, -v2, v4, 1.0
	v_fmac_f32_e32 v4, v9, v4
	v_mul_f32_e32 v9, v8, v4
	v_fma_f32 v10, -v2, v9, v8
	v_fmac_f32_e32 v9, v10, v4
	v_fma_f32 v2, -v2, v9, v8
	v_div_fmas_f32 v2, v2, v4, v9
	v_div_fixup_f32 v2, v2, v3, 1.0
.LBB56_111:
	v_add_u32_e32 v4, s8, v113
	v_mul_lo_u32 v4, v4, s55
	v_add_u32_e32 v4, s34, v4
	v_mul_lo_u32 v4, s2, v4
	v_add_u32_e32 v8, s3, v4
	s_and_saveexec_b64 s[6:7], s[30:31]
	s_cbranch_execz .LBB56_113
; %bb.112:
	v_cvt_f32_f16_sdwa v13, v123 dst_sel:DWORD dst_unused:UNUSED_PAD src0_sel:WORD_1
	v_cvt_f32_f16_e32 v12, v123
	v_cvt_f32_f16_sdwa v15, v124 dst_sel:DWORD dst_unused:UNUSED_PAD src0_sel:WORD_1
	v_cvt_f32_f16_e32 v14, v124
	s_movk_i32 s9, 0x70
	v_mad_u64_u32 v[10:11], s[10:11], v8, s9, v[76:77]
	v_mov_b32_e32 v11, 0
	v_lshl_add_u64 v[16:17], v[10:11], 2, s[48:49]
	v_pk_mul_f32 v[10:11], v[2:3], v[12:13] op_sel_hi:[0,1]
	v_pk_mul_f32 v[12:13], v[2:3], v[14:15] op_sel_hi:[0,1]
	global_store_dwordx4 v[16:17], v[10:13], off
.LBB56_113:
	s_or_b64 exec, exec, s[6:7]
	s_and_saveexec_b64 s[6:7], s[4:5]
	s_cbranch_execz .LBB56_115
; %bb.114:
	v_ashrrev_i32_e32 v9, 31, v8
	v_lshl_add_u64 v[8:9], v[8:9], 3, s[50:51]
	v_mov_b32_e32 v2, v5
	global_store_dwordx2 v[8:9], v[2:3], off
.LBB56_115:
	s_or_b64 exec, exec, s[6:7]
	v_add_u32_e32 v2, s42, v112
	v_cmp_gt_i32_e32 vcc, s54, v2
	s_and_b64 exec, exec, vcc
	s_cbranch_execz .LBB56_129
; %bb.116:
	s_and_b64 vcc, exec, s[0:1]
	v_mov_b32_e32 v4, 1.0
	s_cbranch_vccnz .LBB56_118
; %bb.117:
	v_div_scale_f32 v2, s[6:7], v0, v0, 1.0
	v_rcp_f32_e32 v3, v2
	v_div_scale_f32 v4, vcc, 1.0, v0, 1.0
	v_fma_f32 v5, -v2, v3, 1.0
	v_fmac_f32_e32 v3, v5, v3
	v_mul_f32_e32 v5, v4, v3
	v_fma_f32 v8, -v2, v5, v4
	v_fmac_f32_e32 v5, v8, v3
	v_fma_f32 v2, -v2, v5, v4
	v_div_fmas_f32 v2, v2, v3, v5
	v_div_fixup_f32 v4, v2, v0, 1.0
.LBB56_118:
	v_add_u32_e32 v2, s8, v112
	v_mul_lo_u32 v2, v2, s55
	v_add_u32_e32 v2, s34, v2
	v_mul_lo_u32 v2, s2, v2
	v_add_u32_e32 v2, s3, v2
	s_and_saveexec_b64 s[6:7], s[30:31]
	s_cbranch_execz .LBB56_120
; %bb.119:
	v_cvt_f32_f16_sdwa v11, v121 dst_sel:DWORD dst_unused:UNUSED_PAD src0_sel:WORD_1
	v_cvt_f32_f16_e32 v10, v121
	v_cvt_f32_f16_sdwa v13, v122 dst_sel:DWORD dst_unused:UNUSED_PAD src0_sel:WORD_1
	v_cvt_f32_f16_e32 v12, v122
	s_movk_i32 s9, 0x70
	v_mad_u64_u32 v[8:9], s[10:11], v2, s9, v[76:77]
	v_mov_b32_e32 v9, 0
	v_lshl_add_u64 v[14:15], v[8:9], 2, s[48:49]
	v_pk_mul_f32 v[8:9], v[4:5], v[10:11] op_sel_hi:[0,1]
	v_pk_mul_f32 v[10:11], v[4:5], v[12:13] op_sel_hi:[0,1]
	global_store_dwordx4 v[14:15], v[8:11], off
.LBB56_120:
	s_or_b64 exec, exec, s[6:7]
	s_and_saveexec_b64 s[6:7], s[4:5]
	s_cbranch_execz .LBB56_122
; %bb.121:
	v_ashrrev_i32_e32 v3, 31, v2
	v_lshl_add_u64 v[2:3], v[2:3], 3, s[50:51]
	v_mov_b32_e32 v4, v6
	v_mov_b32_e32 v5, v0
	global_store_dwordx2 v[2:3], v[4:5], off
.LBB56_122:
	s_or_b64 exec, exec, s[6:7]
	v_add_u32_e32 v0, s42, v77
	v_cmp_gt_i32_e32 vcc, s54, v0
	s_and_b64 exec, exec, vcc
	s_cbranch_execz .LBB56_129
; %bb.123:
	s_and_b64 vcc, exec, s[0:1]
	v_mov_b32_e32 v0, 1.0
	s_cbranch_vccnz .LBB56_125
; %bb.124:
	v_div_scale_f32 v0, s[0:1], v1, v1, 1.0
	v_rcp_f32_e32 v2, v0
	v_div_scale_f32 v3, vcc, 1.0, v1, 1.0
	v_fma_f32 v4, -v0, v2, 1.0
	v_fmac_f32_e32 v2, v4, v2
	v_mul_f32_e32 v4, v3, v2
	v_fma_f32 v5, -v0, v4, v3
	v_fmac_f32_e32 v4, v5, v2
	v_fma_f32 v0, -v0, v4, v3
	v_div_fmas_f32 v0, v0, v2, v4
	v_div_fixup_f32 v0, v0, v1, 1.0
.LBB56_125:
	v_add_u32_e32 v2, s8, v77
	v_mul_lo_u32 v2, v2, s55
	v_add_u32_e32 v2, s34, v2
	v_mul_lo_u32 v2, s2, v2
	v_add_u32_e32 v2, s3, v2
	s_and_saveexec_b64 s[0:1], s[30:31]
	s_cbranch_execz .LBB56_127
; %bb.126:
	v_cvt_f32_f16_sdwa v9, v119 dst_sel:DWORD dst_unused:UNUSED_PAD src0_sel:WORD_1
	v_cvt_f32_f16_e32 v8, v119
	v_cvt_f32_f16_sdwa v11, v120 dst_sel:DWORD dst_unused:UNUSED_PAD src0_sel:WORD_1
	v_cvt_f32_f16_e32 v10, v120
	s_movk_i32 s2, 0x70
	v_mad_u64_u32 v[4:5], s[2:3], v2, s2, v[76:77]
	v_mov_b32_e32 v5, 0
	v_lshl_add_u64 v[4:5], v[4:5], 2, s[48:49]
	v_pk_mul_f32 v[8:9], v[0:1], v[8:9] op_sel_hi:[0,1]
	v_pk_mul_f32 v[10:11], v[0:1], v[10:11] op_sel_hi:[0,1]
	global_store_dwordx4 v[4:5], v[8:11], off
.LBB56_127:
	s_or_b64 exec, exec, s[0:1]
	s_and_b64 exec, exec, s[4:5]
	s_cbranch_execz .LBB56_129
; %bb.128:
	v_ashrrev_i32_e32 v3, 31, v2
	v_lshl_add_u64 v[2:3], v[2:3], 3, s[50:51]
	v_mov_b32_e32 v0, v7
	global_store_dwordx2 v[2:3], v[0:1], off
.LBB56_129:
	s_endpgm
	.section	.rodata,"a",@progbits
	.p2align	6, 0x0
	.amdhsa_kernel _ZL15flash_attn_tileILi112ELi112ELi32ELi1ELb0EEvPKcS1_S1_S1_S1_PKiPfP15HIP_vector_typeIfLj2EEffffjfiS5_IjLj3EEiiiiiiiiiiiliiliiiiil
		.amdhsa_group_segment_fixed_size 13376
		.amdhsa_private_segment_fixed_size 32
		.amdhsa_kernarg_size 464
		.amdhsa_user_sgpr_count 2
		.amdhsa_user_sgpr_dispatch_ptr 0
		.amdhsa_user_sgpr_queue_ptr 0
		.amdhsa_user_sgpr_kernarg_segment_ptr 1
		.amdhsa_user_sgpr_dispatch_id 0
		.amdhsa_user_sgpr_kernarg_preload_length 0
		.amdhsa_user_sgpr_kernarg_preload_offset 0
		.amdhsa_user_sgpr_private_segment_size 0
		.amdhsa_uses_dynamic_stack 0
		.amdhsa_enable_private_segment 1
		.amdhsa_system_sgpr_workgroup_id_x 1
		.amdhsa_system_sgpr_workgroup_id_y 1
		.amdhsa_system_sgpr_workgroup_id_z 1
		.amdhsa_system_sgpr_workgroup_info 0
		.amdhsa_system_vgpr_workitem_id 1
		.amdhsa_next_free_vgpr 156
		.amdhsa_next_free_sgpr 63
		.amdhsa_accum_offset 156
		.amdhsa_reserve_vcc 1
		.amdhsa_float_round_mode_32 0
		.amdhsa_float_round_mode_16_64 0
		.amdhsa_float_denorm_mode_32 3
		.amdhsa_float_denorm_mode_16_64 3
		.amdhsa_dx10_clamp 1
		.amdhsa_ieee_mode 1
		.amdhsa_fp16_overflow 0
		.amdhsa_tg_split 0
		.amdhsa_exception_fp_ieee_invalid_op 0
		.amdhsa_exception_fp_denorm_src 0
		.amdhsa_exception_fp_ieee_div_zero 0
		.amdhsa_exception_fp_ieee_overflow 0
		.amdhsa_exception_fp_ieee_underflow 0
		.amdhsa_exception_fp_ieee_inexact 0
		.amdhsa_exception_int_div_zero 0
	.end_amdhsa_kernel
	.section	.text._ZL15flash_attn_tileILi112ELi112ELi32ELi1ELb0EEvPKcS1_S1_S1_S1_PKiPfP15HIP_vector_typeIfLj2EEffffjfiS5_IjLj3EEiiiiiiiiiiiliiliiiiil,"axG",@progbits,_ZL15flash_attn_tileILi112ELi112ELi32ELi1ELb0EEvPKcS1_S1_S1_S1_PKiPfP15HIP_vector_typeIfLj2EEffffjfiS5_IjLj3EEiiiiiiiiiiiliiliiiiil,comdat
.Lfunc_end56:
	.size	_ZL15flash_attn_tileILi112ELi112ELi32ELi1ELb0EEvPKcS1_S1_S1_S1_PKiPfP15HIP_vector_typeIfLj2EEffffjfiS5_IjLj3EEiiiiiiiiiiiliiliiiiil, .Lfunc_end56-_ZL15flash_attn_tileILi112ELi112ELi32ELi1ELb0EEvPKcS1_S1_S1_S1_PKiPfP15HIP_vector_typeIfLj2EEffffjfiS5_IjLj3EEiiiiiiiiiiiliiliiiiil
                                        ; -- End function
	.section	.AMDGPU.csdata,"",@progbits
; Kernel info:
; codeLenInByte = 23132
; NumSgprs: 69
; NumVgprs: 156
; NumAgprs: 0
; TotalNumVgprs: 156
; ScratchSize: 32
; MemoryBound: 0
; FloatMode: 240
; IeeeMode: 1
; LDSByteSize: 13376 bytes/workgroup (compile time only)
; SGPRBlocks: 8
; VGPRBlocks: 19
; NumSGPRsForWavesPerEU: 69
; NumVGPRsForWavesPerEU: 156
; AccumOffset: 156
; Occupancy: 3
; WaveLimiterHint : 1
; COMPUTE_PGM_RSRC2:SCRATCH_EN: 1
; COMPUTE_PGM_RSRC2:USER_SGPR: 2
; COMPUTE_PGM_RSRC2:TRAP_HANDLER: 0
; COMPUTE_PGM_RSRC2:TGID_X_EN: 1
; COMPUTE_PGM_RSRC2:TGID_Y_EN: 1
; COMPUTE_PGM_RSRC2:TGID_Z_EN: 1
; COMPUTE_PGM_RSRC2:TIDIG_COMP_CNT: 1
; COMPUTE_PGM_RSRC3_GFX90A:ACCUM_OFFSET: 38
; COMPUTE_PGM_RSRC3_GFX90A:TG_SPLIT: 0
	.section	.text._ZL33flash_attn_stream_k_fixup_uniformILi112ELi32ELi1EEvPfPK15HIP_vector_typeIfLj2EEiiiiiiS1_IjLj3EES5_S5_,"axG",@progbits,_ZL33flash_attn_stream_k_fixup_uniformILi112ELi32ELi1EEvPfPK15HIP_vector_typeIfLj2EEiiiiiiS1_IjLj3EES5_S5_,comdat
	.globl	_ZL33flash_attn_stream_k_fixup_uniformILi112ELi32ELi1EEvPfPK15HIP_vector_typeIfLj2EEiiiiiiS1_IjLj3EES5_S5_ ; -- Begin function _ZL33flash_attn_stream_k_fixup_uniformILi112ELi32ELi1EEvPfPK15HIP_vector_typeIfLj2EEiiiiiiS1_IjLj3EES5_S5_
	.p2align	8
	.type	_ZL33flash_attn_stream_k_fixup_uniformILi112ELi32ELi1EEvPfPK15HIP_vector_typeIfLj2EEiiiiiiS1_IjLj3EES5_S5_,@function
_ZL33flash_attn_stream_k_fixup_uniformILi112ELi32ELi1EEvPfPK15HIP_vector_typeIfLj2EEiiiiiiS1_IjLj3EES5_S5_: ; @_ZL33flash_attn_stream_k_fixup_uniformILi112ELi32ELi1EEvPfPK15HIP_vector_typeIfLj2EEiiiiiiS1_IjLj3EES5_S5_
; %bb.0:
	s_load_dwordx8 s[8:15], s[0:1], 0x1c
	s_load_dwordx2 s[6:7], s[0:1], 0x10
	s_load_dwordx4 s[16:19], s[0:1], 0x3c
	s_waitcnt lgkmcnt(0)
	s_mul_hi_u32 s5, s11, s2
	s_add_i32 s5, s2, s5
	s_lshr_b32 s5, s5, s12
	s_mul_i32 s11, s5, s13
	s_sub_i32 s12, s2, s11
	s_mul_hi_u32 s11, s12, s14
	s_add_i32 s11, s12, s11
	s_lshr_b32 s11, s11, s15
	s_mul_i32 s13, s11, s16
	s_sub_i32 s12, s12, s13
	;; [unrolled: 5-line block ×3, first 2 shown]
	s_lshl_b32 s12, s17, 5
	s_add_i32 s12, s12, s3
	s_cmp_lt_i32 s12, s6
	s_cselect_b64 s[12:13], -1, 0
	s_add_i32 s16, s16, s4
	s_cmp_lt_i32 s16, s9
	s_cselect_b64 s[14:15], -1, 0
	s_and_b64 s[12:13], s[12:13], s[14:15]
	s_andn2_b64 vcc, exec, s[12:13]
	s_cbranch_vccnz .LBB57_6
; %bb.1:
	s_load_dwordx4 s[12:15], s[0:1], 0x0
	s_mul_i32 s0, s5, s6
	s_mul_i32 s11, s11, s9
	s_add_i32 s0, s0, s3
	s_mul_i32 s0, s0, s7
	s_add_i32 s5, s16, s11
	;; [unrolled: 2-line block ×3, first 2 shown]
	s_mulk_i32 s1, 0xe00
	s_mulk_i32 s0, 0x70
	s_add_i32 s0, s0, s1
	v_add_u32_e32 v4, s0, v0
	s_waitcnt lgkmcnt(0)
	v_mov_b32_e32 v2, s12
	v_mov_b32_e32 v3, s13
	v_ashrrev_i32_e32 v5, 31, v4
	v_lshl_add_u64 v[2:3], v[4:5], 2, v[2:3]
	global_load_dword v7, v[2:3], off
	s_mul_i32 s6, s2, s10
	s_add_i32 s7, s6, s10
	s_add_i32 s3, s3, s4
	s_lshl_b32 s0, s7, 5
	s_add_i32 s0, s3, s0
	s_sub_i32 s0, s0, 32
	s_ashr_i32 s1, s0, 31
	s_lshl_b64 s[0:1], s[0:1], 3
	s_add_u32 s0, s14, s0
	s_addc_u32 s1, s15, s1
	s_load_dword s9, s[0:1], 0x4
	s_add_i32 s4, s7, -2
	s_cmp_lt_i32 s4, s6
	s_cbranch_scc1 .LBB57_4
; %bb.2:
	s_lshl_b32 s4, s8, 7
	s_ashr_i32 s5, s4, 31
	s_lshl_b64 s[4:5], s[4:5], 2
	s_add_u32 s4, s14, s4
	s_addc_u32 s5, s15, s5
	s_load_dword s0, s[0:1], 0x0
	s_add_i32 s2, s2, 1
	s_mul_i32 s10, s10, s2
	s_mul_i32 s1, s3, 0x70
	s_lshl_b32 s2, s10, 5
	s_mulk_i32 s10, 0xe00
	s_add_i32 s2, s3, s2
	s_lshl_b32 s3, s8, 5
	s_add_i32 s1, s1, s10
	s_add_i32 s2, s2, s3
	v_add_u32_e32 v0, s1, v0
	s_add_i32 s7, s7, -1
	s_sub_i32 s2, s2, 64
	v_add_u32_e32 v0, 0xffffe400, v0
	s_waitcnt lgkmcnt(0)
	v_mov_b32_e32 v6, s9
	v_mov_b32_e32 v5, s0
	s_mov_b32 s8, 0x3fb8aa3b
	s_mov_b32 s9, 0xc2ce8ed0
	;; [unrolled: 1-line block ×3, first 2 shown]
	v_mov_b32_e32 v4, 0x7f800000
	s_mov_b32 s11, 0xc1a00000
.LBB57_3:                               ; =>This Inner Loop Header: Depth=1
	v_ashrrev_i32_e32 v1, 31, v0
	v_lshl_add_u64 v[8:9], v[0:1], 2, s[4:5]
	global_load_dword v1, v[8:9], off
	s_ashr_i32 s3, s2, 31
	s_lshl_b64 s[0:1], s[2:3], 3
	s_add_u32 s0, s14, s0
	s_addc_u32 s1, s15, s1
	s_load_dwordx2 s[12:13], s[0:1], 0x0
	s_waitcnt vmcnt(1)
	v_mov_b32_e32 v8, v7
	v_max_f32_e32 v7, v5, v5
	v_mov_b32_e32 v9, v6
	s_add_i32 s7, s7, -1
	s_waitcnt lgkmcnt(0)
	v_max_f32_e64 v6, s12, s12
	v_max_f32_e32 v6, v7, v6
	v_sub_f32_e32 v10, s12, v6
	v_sub_f32_e32 v7, v5, v6
	v_mul_f32_e32 v11, 0x3fb8aa3b, v10
	v_mov_b32_e32 v5, v6
	v_mul_f32_e32 v6, 0x3fb8aa3b, v7
	v_fma_f32 v14, v10, s8, -v11
	v_rndne_f32_e32 v15, v11
	v_fma_f32 v12, v7, s8, -v6
	v_rndne_f32_e32 v13, v6
	v_fmac_f32_e32 v14, 0x32a5705f, v10
	v_sub_f32_e32 v11, v11, v15
	v_fmac_f32_e32 v12, 0x32a5705f, v7
	v_sub_f32_e32 v6, v6, v13
	v_add_f32_e32 v11, v11, v14
	v_cvt_i32_f32_e32 v15, v15
	v_add_f32_e32 v6, v6, v12
	v_exp_f32_e32 v11, v11
	v_cvt_i32_f32_e32 v13, v13
	v_exp_f32_e32 v6, v6
	v_cmp_ngt_f32_e32 vcc, s9, v10
	v_ldexp_f32 v11, v11, v15
	v_cmp_ngt_f32_e64 s[0:1], s9, v7
	v_ldexp_f32 v6, v6, v13
	v_cndmask_b32_e32 v11, 0, v11, vcc
	v_cmp_nlt_f32_e32 vcc, s10, v10
	v_cndmask_b32_e64 v6, 0, v6, s[0:1]
	v_cmp_nlt_f32_e64 s[0:1], s10, v7
	v_cndmask_b32_e32 v11, v4, v11, vcc
	v_cmp_le_f32_e32 vcc, s11, v10
	v_cndmask_b32_e64 v6, v4, v6, s[0:1]
	v_cmp_le_f32_e64 s[0:1], s11, v7
	v_cndmask_b32_e32 v7, 0, v11, vcc
	s_sub_i32 s2, s2, 32
	v_cndmask_b32_e64 v10, 0, v6, s[0:1]
	v_mul_f32_e32 v6, s13, v7
	v_add_u32_e32 v0, 0xfffff200, v0
	s_cmp_le_i32 s7, s6
	v_fmac_f32_e32 v6, v9, v10
	s_waitcnt vmcnt(0)
	v_mul_f32_e32 v7, v1, v7
	v_fmac_f32_e32 v7, v8, v10
	s_cbranch_scc0 .LBB57_3
	s_branch .LBB57_5
.LBB57_4:
	s_waitcnt lgkmcnt(0)
	v_mov_b32_e32 v6, s9
.LBB57_5:
	s_waitcnt vmcnt(0)
	v_div_scale_f32 v0, s[0:1], v6, v6, v7
	v_rcp_f32_e32 v1, v0
	v_div_scale_f32 v4, vcc, v7, v6, v7
	v_fma_f32 v5, -v0, v1, 1.0
	v_fmac_f32_e32 v1, v5, v1
	v_mul_f32_e32 v5, v4, v1
	v_fma_f32 v8, -v0, v5, v4
	v_fmac_f32_e32 v5, v8, v1
	v_fma_f32 v0, -v0, v5, v4
	v_div_fmas_f32 v0, v0, v1, v5
	v_div_fixup_f32 v0, v0, v6, v7
	global_store_dword v[2:3], v0, off
.LBB57_6:
	s_endpgm
	.section	.rodata,"a",@progbits
	.p2align	6, 0x0
	.amdhsa_kernel _ZL33flash_attn_stream_k_fixup_uniformILi112ELi32ELi1EEvPfPK15HIP_vector_typeIfLj2EEiiiiiiS1_IjLj3EES5_S5_
		.amdhsa_group_segment_fixed_size 0
		.amdhsa_private_segment_fixed_size 0
		.amdhsa_kernarg_size 76
		.amdhsa_user_sgpr_count 2
		.amdhsa_user_sgpr_dispatch_ptr 0
		.amdhsa_user_sgpr_queue_ptr 0
		.amdhsa_user_sgpr_kernarg_segment_ptr 1
		.amdhsa_user_sgpr_dispatch_id 0
		.amdhsa_user_sgpr_kernarg_preload_length 0
		.amdhsa_user_sgpr_kernarg_preload_offset 0
		.amdhsa_user_sgpr_private_segment_size 0
		.amdhsa_uses_dynamic_stack 0
		.amdhsa_enable_private_segment 0
		.amdhsa_system_sgpr_workgroup_id_x 1
		.amdhsa_system_sgpr_workgroup_id_y 1
		.amdhsa_system_sgpr_workgroup_id_z 1
		.amdhsa_system_sgpr_workgroup_info 0
		.amdhsa_system_vgpr_workitem_id 0
		.amdhsa_next_free_vgpr 16
		.amdhsa_next_free_sgpr 20
		.amdhsa_accum_offset 16
		.amdhsa_reserve_vcc 1
		.amdhsa_float_round_mode_32 0
		.amdhsa_float_round_mode_16_64 0
		.amdhsa_float_denorm_mode_32 3
		.amdhsa_float_denorm_mode_16_64 3
		.amdhsa_dx10_clamp 1
		.amdhsa_ieee_mode 1
		.amdhsa_fp16_overflow 0
		.amdhsa_tg_split 0
		.amdhsa_exception_fp_ieee_invalid_op 0
		.amdhsa_exception_fp_denorm_src 0
		.amdhsa_exception_fp_ieee_div_zero 0
		.amdhsa_exception_fp_ieee_overflow 0
		.amdhsa_exception_fp_ieee_underflow 0
		.amdhsa_exception_fp_ieee_inexact 0
		.amdhsa_exception_int_div_zero 0
	.end_amdhsa_kernel
	.section	.text._ZL33flash_attn_stream_k_fixup_uniformILi112ELi32ELi1EEvPfPK15HIP_vector_typeIfLj2EEiiiiiiS1_IjLj3EES5_S5_,"axG",@progbits,_ZL33flash_attn_stream_k_fixup_uniformILi112ELi32ELi1EEvPfPK15HIP_vector_typeIfLj2EEiiiiiiS1_IjLj3EES5_S5_,comdat
.Lfunc_end57:
	.size	_ZL33flash_attn_stream_k_fixup_uniformILi112ELi32ELi1EEvPfPK15HIP_vector_typeIfLj2EEiiiiiiS1_IjLj3EES5_S5_, .Lfunc_end57-_ZL33flash_attn_stream_k_fixup_uniformILi112ELi32ELi1EEvPfPK15HIP_vector_typeIfLj2EEiiiiiiS1_IjLj3EES5_S5_
                                        ; -- End function
	.section	.AMDGPU.csdata,"",@progbits
; Kernel info:
; codeLenInByte = 820
; NumSgprs: 26
; NumVgprs: 16
; NumAgprs: 0
; TotalNumVgprs: 16
; ScratchSize: 0
; MemoryBound: 0
; FloatMode: 240
; IeeeMode: 1
; LDSByteSize: 0 bytes/workgroup (compile time only)
; SGPRBlocks: 3
; VGPRBlocks: 1
; NumSGPRsForWavesPerEU: 26
; NumVGPRsForWavesPerEU: 16
; AccumOffset: 16
; Occupancy: 8
; WaveLimiterHint : 0
; COMPUTE_PGM_RSRC2:SCRATCH_EN: 0
; COMPUTE_PGM_RSRC2:USER_SGPR: 2
; COMPUTE_PGM_RSRC2:TRAP_HANDLER: 0
; COMPUTE_PGM_RSRC2:TGID_X_EN: 1
; COMPUTE_PGM_RSRC2:TGID_Y_EN: 1
; COMPUTE_PGM_RSRC2:TGID_Z_EN: 1
; COMPUTE_PGM_RSRC2:TIDIG_COMP_CNT: 0
; COMPUTE_PGM_RSRC3_GFX90A:ACCUM_OFFSET: 3
; COMPUTE_PGM_RSRC3_GFX90A:TG_SPLIT: 0
	.section	.text._ZL33flash_attn_stream_k_fixup_generalILi112ELi32ELi1EEvPfPK15HIP_vector_typeIfLj2EEiiiiS1_IjLj3EES5_S5_S5_,"axG",@progbits,_ZL33flash_attn_stream_k_fixup_generalILi112ELi32ELi1EEvPfPK15HIP_vector_typeIfLj2EEiiiiS1_IjLj3EES5_S5_S5_,comdat
	.globl	_ZL33flash_attn_stream_k_fixup_generalILi112ELi32ELi1EEvPfPK15HIP_vector_typeIfLj2EEiiiiS1_IjLj3EES5_S5_S5_ ; -- Begin function _ZL33flash_attn_stream_k_fixup_generalILi112ELi32ELi1EEvPfPK15HIP_vector_typeIfLj2EEiiiiS1_IjLj3EES5_S5_S5_
	.p2align	8
	.type	_ZL33flash_attn_stream_k_fixup_generalILi112ELi32ELi1EEvPfPK15HIP_vector_typeIfLj2EEiiiiS1_IjLj3EES5_S5_S5_,@function
_ZL33flash_attn_stream_k_fixup_generalILi112ELi32ELi1EEvPfPK15HIP_vector_typeIfLj2EEiiiiS1_IjLj3EES5_S5_S5_: ; @_ZL33flash_attn_stream_k_fixup_generalILi112ELi32ELi1EEvPfPK15HIP_vector_typeIfLj2EEiiiiS1_IjLj3EES5_S5_S5_
; %bb.0:
	s_load_dwordx4 s[12:15], s[0:1], 0x10
	s_load_dword s22, s[0:1], 0x50
	s_mov_b32 s8, 0
	s_waitcnt lgkmcnt(0)
	s_mul_hi_i32 s9, s15, s2
	s_cmp_lg_u64 s[8:9], 0
	s_mul_i32 s5, s15, s2
	s_cbranch_scc0 .LBB58_21
; %bb.1:
	v_cvt_f32_u32_e32 v1, s22
	v_cvt_f32_ubyte0_e32 v2, 0
	s_sub_u32 s8, 0, s22
	s_subb_u32 s10, 0, 0
	v_fmamk_f32 v1, v2, 0x4f800000, v1
	v_rcp_f32_e32 v1, v1
	s_nop 0
	v_mul_f32_e32 v1, 0x5f7ffffc, v1
	v_mul_f32_e32 v2, 0x2f800000, v1
	v_trunc_f32_e32 v2, v2
	v_fmamk_f32 v1, v2, 0xcf800000, v1
	v_cvt_u32_f32_e32 v2, v2
	v_cvt_u32_f32_e32 v1, v1
	v_readfirstlane_b32 s11, v2
	v_readfirstlane_b32 s16, v1
	s_mul_i32 s17, s8, s11
	s_mul_hi_u32 s19, s8, s16
	s_mul_i32 s18, s10, s16
	s_add_i32 s17, s19, s17
	s_add_i32 s17, s17, s18
	s_mul_i32 s20, s8, s16
	s_mul_hi_u32 s18, s16, s17
	s_mul_i32 s19, s16, s17
	s_mul_hi_u32 s16, s16, s20
	s_add_u32 s16, s16, s19
	s_addc_u32 s18, 0, s18
	s_mul_hi_u32 s21, s11, s20
	s_mul_i32 s20, s11, s20
	s_add_u32 s16, s16, s20
	s_mul_hi_u32 s19, s11, s17
	s_addc_u32 s16, s18, s21
	s_addc_u32 s18, s19, 0
	s_mul_i32 s17, s11, s17
	s_add_u32 s16, s16, s17
	s_addc_u32 s17, 0, s18
	v_add_co_u32_e32 v1, vcc, s16, v1
	s_cmp_lg_u64 vcc, 0
	s_addc_u32 s11, s11, s17
	v_readfirstlane_b32 s17, v1
	s_mul_i32 s16, s8, s11
	s_mul_hi_u32 s18, s8, s17
	s_add_i32 s16, s18, s16
	s_mul_i32 s10, s10, s17
	s_add_i32 s16, s16, s10
	s_mul_i32 s8, s8, s17
	s_mul_hi_u32 s18, s11, s8
	s_mul_i32 s19, s11, s8
	s_mul_i32 s21, s17, s16
	s_mul_hi_u32 s8, s17, s8
	s_mul_hi_u32 s20, s17, s16
	s_add_u32 s8, s8, s21
	s_addc_u32 s17, 0, s20
	s_add_u32 s8, s8, s19
	s_mul_hi_u32 s10, s11, s16
	s_addc_u32 s8, s17, s18
	s_addc_u32 s10, s10, 0
	s_mul_i32 s16, s11, s16
	s_add_u32 s8, s8, s16
	s_addc_u32 s10, 0, s10
	v_add_co_u32_e32 v1, vcc, s8, v1
	s_cmp_lg_u64 vcc, 0
	s_addc_u32 s16, s11, s10
	s_ashr_i32 s10, s9, 31
	s_add_u32 s8, s5, s10
	s_mov_b32 s11, s10
	s_addc_u32 s9, s9, s10
	s_xor_b64 s[8:9], s[8:9], s[10:11]
	v_readfirstlane_b32 s19, v1
	s_mul_i32 s18, s8, s16
	s_mul_hi_u32 s20, s8, s19
	s_mul_hi_u32 s17, s8, s16
	s_add_u32 s18, s20, s18
	s_addc_u32 s17, 0, s17
	s_mul_hi_u32 s21, s9, s19
	s_mul_i32 s19, s9, s19
	s_add_u32 s18, s18, s19
	s_mul_hi_u32 s20, s9, s16
	s_addc_u32 s17, s17, s21
	s_addc_u32 s18, s20, 0
	s_mul_i32 s16, s9, s16
	s_add_u32 s16, s17, s16
	s_addc_u32 s17, 0, s18
	s_add_u32 s18, s16, 1
	s_addc_u32 s19, s17, 0
	s_add_u32 s20, s16, 2
	s_mul_i32 s23, s22, s17
	s_mul_hi_u32 s24, s22, s16
	s_addc_u32 s21, s17, 0
	s_add_i32 s24, s24, s23
	s_mul_i32 s23, s22, s16
	v_mov_b32_e32 v1, s23
	v_sub_co_u32_e32 v1, vcc, s8, v1
	s_cmp_lg_u64 vcc, 0
	s_subb_u32 s8, s9, s24
	v_subrev_co_u32_e32 v2, vcc, s22, v1
	s_cmp_lg_u64 vcc, 0
	s_subb_u32 s9, s8, 0
	v_readfirstlane_b32 s23, v2
	s_cmp_ge_u32 s23, s22
	s_cselect_b32 s23, -1, 0
	s_cmp_eq_u32 s9, 0
	s_cselect_b32 s9, s23, -1
	s_cmp_lg_u32 s9, 0
	s_cselect_b32 s9, s21, s19
	v_readfirstlane_b32 s19, v1
	s_cselect_b32 s18, s20, s18
	s_cmp_ge_u32 s19, s22
	s_cselect_b32 s19, -1, 0
	s_cmp_eq_u32 s8, 0
	s_cselect_b32 s8, s19, -1
	s_cmp_lg_u32 s8, 0
	s_cselect_b32 s9, s9, s17
	s_cselect_b32 s8, s18, s16
	s_xor_b64 s[8:9], s[8:9], s[10:11]
	s_sub_u32 s20, s8, s10
	s_load_dwordx4 s[16:19], s[0:1], 0x44
	s_cbranch_execnz .LBB58_3
.LBB58_2:
	v_cvt_f32_u32_e32 v1, s22
	s_sub_i32 s6, 0, s22
	v_rcp_iflag_f32_e32 v1, v1
	s_nop 0
	v_mul_f32_e32 v1, 0x4f7ffffe, v1
	v_cvt_u32_f32_e32 v1, v1
	s_nop 0
	v_readfirstlane_b32 s7, v1
	s_mul_i32 s6, s6, s7
	s_mul_hi_u32 s6, s7, s6
	s_add_i32 s7, s7, s6
	s_mul_hi_u32 s6, s5, s7
	s_mul_i32 s8, s6, s22
	s_sub_i32 s5, s5, s8
	s_add_i32 s7, s6, 1
	s_sub_i32 s8, s5, s22
	s_cmp_ge_u32 s5, s22
	s_cselect_b32 s6, s7, s6
	s_cselect_b32 s5, s8, s5
	s_add_i32 s7, s6, 1
	s_cmp_ge_u32 s5, s22
	s_cselect_b32 s20, s7, s6
.LBB58_3:
	s_add_i32 s5, s2, 1
	s_mul_hi_i32 s9, s15, s5
	s_mov_b32 s8, 0
	s_cmp_lg_u64 s[8:9], 0
	s_mul_i32 s5, s15, s5
	s_cbranch_scc0 .LBB58_22
; %bb.4:
	v_cvt_f32_u32_e32 v1, s22
	v_cvt_f32_ubyte0_e32 v2, 0
	s_sub_u32 s8, 0, s22
	s_subb_u32 s10, 0, 0
	v_fmamk_f32 v1, v2, 0x4f800000, v1
	v_rcp_f32_e32 v1, v1
	s_nop 0
	v_mul_f32_e32 v1, 0x5f7ffffc, v1
	v_mul_f32_e32 v2, 0x2f800000, v1
	v_trunc_f32_e32 v2, v2
	v_fmamk_f32 v1, v2, 0xcf800000, v1
	v_cvt_u32_f32_e32 v2, v2
	v_cvt_u32_f32_e32 v1, v1
	v_readfirstlane_b32 s11, v2
	s_waitcnt lgkmcnt(0)
	v_readfirstlane_b32 s19, v1
	s_mul_i32 s21, s8, s11
	s_mul_hi_u32 s24, s8, s19
	s_mul_i32 s23, s10, s19
	s_add_i32 s21, s24, s21
	s_add_i32 s21, s21, s23
	s_mul_i32 s25, s8, s19
	s_mul_hi_u32 s23, s19, s21
	s_mul_i32 s24, s19, s21
	s_mul_hi_u32 s19, s19, s25
	s_add_u32 s19, s19, s24
	s_addc_u32 s23, 0, s23
	s_mul_hi_u32 s26, s11, s25
	s_mul_i32 s25, s11, s25
	s_add_u32 s19, s19, s25
	s_mul_hi_u32 s24, s11, s21
	s_addc_u32 s19, s23, s26
	s_addc_u32 s23, s24, 0
	s_mul_i32 s21, s11, s21
	s_add_u32 s19, s19, s21
	s_addc_u32 s21, 0, s23
	v_add_co_u32_e32 v1, vcc, s19, v1
	s_cmp_lg_u64 vcc, 0
	s_addc_u32 s11, s11, s21
	v_readfirstlane_b32 s21, v1
	s_mul_i32 s19, s8, s11
	s_mul_hi_u32 s23, s8, s21
	s_add_i32 s19, s23, s19
	s_mul_i32 s10, s10, s21
	s_add_i32 s19, s19, s10
	s_mul_i32 s8, s8, s21
	s_mul_hi_u32 s23, s11, s8
	s_mul_i32 s24, s11, s8
	s_mul_i32 s26, s21, s19
	s_mul_hi_u32 s8, s21, s8
	s_mul_hi_u32 s25, s21, s19
	s_add_u32 s8, s8, s26
	s_addc_u32 s21, 0, s25
	s_add_u32 s8, s8, s24
	s_mul_hi_u32 s10, s11, s19
	s_addc_u32 s8, s21, s23
	s_addc_u32 s10, s10, 0
	s_mul_i32 s19, s11, s19
	s_add_u32 s8, s8, s19
	s_addc_u32 s10, 0, s10
	v_add_co_u32_e32 v1, vcc, s8, v1
	s_cmp_lg_u64 vcc, 0
	s_addc_u32 s19, s11, s10
	s_ashr_i32 s10, s9, 31
	s_add_u32 s8, s5, s10
	s_mov_b32 s11, s10
	s_addc_u32 s9, s9, s10
	s_xor_b64 s[8:9], s[8:9], s[10:11]
	v_readfirstlane_b32 s23, v1
	s_mul_i32 s21, s8, s19
	s_mul_hi_u32 s24, s8, s23
	s_mul_hi_u32 s11, s8, s19
	s_add_u32 s21, s24, s21
	s_addc_u32 s11, 0, s11
	s_mul_hi_u32 s25, s9, s23
	s_mul_i32 s23, s9, s23
	s_add_u32 s21, s21, s23
	s_mul_hi_u32 s24, s9, s19
	s_addc_u32 s11, s11, s25
	s_addc_u32 s21, s24, 0
	s_mul_i32 s19, s9, s19
	s_add_u32 s11, s11, s19
	s_addc_u32 s19, 0, s21
	s_mul_i32 s19, s22, s19
	s_mul_hi_u32 s24, s22, s11
	s_add_i32 s24, s24, s19
	s_mul_i32 s19, s22, s11
	v_mov_b32_e32 v1, s19
	s_add_u32 s21, s11, 1
	s_add_u32 s23, s11, 2
	v_sub_co_u32_e32 v1, vcc, s8, v1
	s_cmp_lg_u64 vcc, 0
	s_subb_u32 s8, s9, s24
	v_subrev_co_u32_e32 v2, vcc, s22, v1
	s_cmp_lg_u64 vcc, 0
	s_subb_u32 s9, s8, 0
	v_cmp_le_u32_e32 vcc, s22, v2
	s_cmp_eq_u32 s9, 0
	v_mov_b32_e32 v3, s21
	v_cndmask_b32_e64 v2, 0, -1, vcc
	s_cselect_b64 vcc, -1, 0
	v_cndmask_b32_e32 v2, -1, v2, vcc
	v_mov_b32_e32 v4, s23
	v_cmp_ne_u32_e32 vcc, 0, v2
	s_cmp_eq_u32 s8, 0
	s_nop 0
	v_cndmask_b32_e32 v2, v3, v4, vcc
	v_cmp_le_u32_e32 vcc, s22, v1
	v_mov_b32_e32 v3, s11
	s_nop 0
	v_cndmask_b32_e64 v1, 0, -1, vcc
	s_cselect_b64 vcc, -1, 0
	v_cndmask_b32_e32 v1, -1, v1, vcc
	v_cmp_ne_u32_e32 vcc, 0, v1
	s_nop 1
	v_cndmask_b32_e32 v1, v3, v2, vcc
	v_xor_b32_e32 v1, s10, v1
	v_subrev_co_u32_e32 v2, vcc, s10, v1
	s_cbranch_execnz .LBB58_6
.LBB58_5:
	v_cvt_f32_u32_e32 v1, s22
	s_sub_i32 s6, 0, s22
	s_mov_b32 s7, 0
	v_rcp_iflag_f32_e32 v1, v1
	s_nop 0
	v_mul_f32_e32 v1, 0x4f7ffffe, v1
	v_cvt_u32_f32_e32 v1, v1
	s_nop 0
	v_readfirstlane_b32 s8, v1
	s_mul_i32 s6, s6, s8
	s_mul_hi_u32 s6, s8, s6
	s_add_i32 s8, s8, s6
	s_mul_hi_u32 s6, s5, s8
	s_mul_i32 s9, s6, s22
	s_sub_i32 s5, s5, s9
	s_add_i32 s8, s6, 1
	s_sub_i32 s9, s5, s22
	s_cmp_ge_u32 s5, s22
	s_cselect_b32 s6, s8, s6
	s_cselect_b32 s5, s9, s5
	s_add_i32 s8, s6, 1
	s_cmp_ge_u32 s5, s22
	s_cselect_b32 s6, s8, s6
	v_mov_b64_e32 v[2:3], s[6:7]
.LBB58_6:
	s_waitcnt lgkmcnt(0)
	s_mul_hi_u32 s5, s20, s16
	s_add_i32 s5, s5, s20
	v_mul_hi_u32 v1, v2, s16
	s_lshr_b32 s19, s5, s17
	v_add_u32_e32 v1, v1, v2
	s_mul_i32 s5, s19, s18
	v_lshrrev_b32_e32 v1, s17, v1
	s_cmp_eq_u32 s5, s20
	v_cmp_eq_u32_e64 s[6:7], s19, v1
	v_mul_lo_u32 v1, v1, s18
	v_cmp_eq_u32_e32 vcc, s20, v2
	s_cselect_b64 s[10:11], -1, 0
	v_cmp_ne_u32_e64 s[8:9], v1, v2
	s_and_b64 s[6:7], s[6:7], s[8:9]
	s_or_b64 s[8:9], vcc, s[10:11]
	s_or_b64 s[6:7], s[8:9], s[6:7]
	s_and_b64 vcc, exec, s[6:7]
	s_cbranch_vccnz .LBB58_24
; %bb.7:
	s_load_dwordx8 s[24:31], s[0:1], 0x20
	s_load_dword s5, s[0:1], 0x40
	s_waitcnt lgkmcnt(0)
	s_mul_hi_u32 s6, s20, s24
	s_add_i32 s6, s6, s20
	s_lshr_b32 s7, s6, s25
	s_mul_i32 s6, s7, s26
	s_sub_i32 s6, s20, s6
	s_mul_hi_u32 s8, s6, s27
	s_add_i32 s8, s6, s8
	s_lshr_b32 s23, s8, s28
	s_mul_i32 s8, s23, s29
	s_sub_i32 s6, s6, s8
	;; [unrolled: 5-line block ×3, first 2 shown]
	s_mul_hi_u32 s6, s5, s16
	s_add_i32 s5, s5, s6
	s_lshr_b32 s24, s5, s17
	s_lshl_b32 s5, s24, 5
	s_add_i32 s5, s5, s3
	s_cmp_lt_i32 s5, s12
	s_cselect_b64 s[8:9], -1, 0
	s_add_i32 s25, s25, s4
	s_cmp_lt_i32 s25, s14
	s_cselect_b64 s[10:11], -1, 0
	s_and_b64 s[8:9], s[8:9], s[10:11]
	s_andn2_b64 vcc, exec, s[8:9]
	s_mov_b32 s6, 0
	s_cbranch_vccnz .LBB58_24
; %bb.8:
	s_load_dwordx4 s[8:11], s[0:1], 0x0
	s_lshl_b32 s0, s22, 7
	s_mov_b32 s1, s6
	s_add_i32 s21, s3, s4
	s_lshl_b64 s[0:1], s[0:1], 2
	s_waitcnt lgkmcnt(0)
	s_add_u32 s4, s10, s0
	s_mul_i32 s0, s7, s12
	s_addc_u32 s5, s11, s1
	s_mul_i32 s23, s23, s14
	s_add_i32 s0, s0, s3
	s_mul_i32 s0, s0, s13
	s_add_i32 s3, s25, s23
	;; [unrolled: 2-line block ×3, first 2 shown]
	s_mulk_i32 s1, 0xe00
	s_mulk_i32 s0, 0x70
	s_add_i32 s1, s1, s0
	v_add_u32_e32 v4, s1, v0
	v_mov_b32_e32 v2, s8
	v_mov_b32_e32 v3, s9
	v_ashrrev_i32_e32 v5, 31, v4
	v_lshl_add_u64 v[2:3], v[4:5], 2, v[2:3]
	global_load_dword v5, v[2:3], off
	s_lshl_b32 s0, s2, 5
	s_add_i32 s0, s0, s21
	s_ashr_i32 s1, s0, 31
	s_lshl_b64 s[0:1], s[0:1], 3
	s_add_u32 s0, s10, s0
	s_addc_u32 s1, s11, s1
	s_add_i32 s12, s2, -1
	s_mul_i32 s2, s21, 0x70
	v_add_u32_e32 v4, s2, v0
	v_cvt_f32_u32_e32 v0, s22
	v_cvt_f32_ubyte0_e32 v1, 0
	s_load_dwordx2 s[0:1], s[0:1], 0x0
	v_mov_b32_e32 v8, s20
	v_fmac_f32_e32 v0, 0x4f800000, v1
	v_rcp_f32_e32 v0, v0
	v_cvt_f32_u32_e32 v1, s22
	s_waitcnt lgkmcnt(0)
	v_mov_b32_e32 v6, s1
	v_mov_b32_e32 v7, s0
	v_mul_f32_e32 v0, 0x5f7ffffc, v0
	v_rcp_iflag_f32_e32 v1, v1
	v_mul_f32_e32 v9, 0x2f800000, v0
	v_trunc_f32_e32 v10, v9
	v_fmac_f32_e32 v0, 0xcf800000, v10
	v_cvt_u32_f32_e32 v9, v0
	v_mul_f32_e32 v0, 0x4f7ffffe, v1
	v_cvt_u32_f32_e32 v10, v10
	v_cvt_u32_f32_e32 v11, v0
	s_mov_b32 s8, 0x3fb8aa3b
	s_mov_b32 s9, 0xc2ce8ed0
	;; [unrolled: 1-line block ×4, first 2 shown]
	v_mov_b32_e32 v12, 0x7f800000
	s_mul_hi_i32 s7, s12, s15
	s_cmp_lg_u64 s[6:7], 0
	s_mul_i32 s2, s12, s15
	s_cbranch_scc0 .LBB58_15
.LBB58_9:
	s_sub_u32 s0, 0, s22
	v_readfirstlane_b32 s3, v9
	v_readfirstlane_b32 s24, v10
	s_subb_u32 s1, 0, 0
	s_mul_hi_u32 s23, s0, s3
	s_mul_i32 s25, s0, s24
	s_mul_i32 s20, s1, s3
	s_add_i32 s23, s23, s25
	s_add_i32 s23, s23, s20
	s_mul_i32 s26, s0, s3
	s_mul_hi_u32 s20, s3, s23
	s_mul_i32 s25, s3, s23
	s_mul_hi_u32 s3, s3, s26
	s_add_u32 s3, s3, s25
	s_addc_u32 s20, 0, s20
	s_mul_hi_u32 s27, s24, s26
	s_mul_i32 s26, s24, s26
	s_add_u32 s3, s3, s26
	s_mul_hi_u32 s25, s24, s23
	s_addc_u32 s3, s20, s27
	s_addc_u32 s20, s25, 0
	s_mul_i32 s23, s24, s23
	s_add_u32 s3, s3, s23
	s_addc_u32 s20, 0, s20
	v_add_co_u32_e32 v0, vcc, s3, v9
	s_cmp_lg_u64 vcc, 0
	s_addc_u32 s3, s24, s20
	v_readfirstlane_b32 s23, v0
	s_mul_i32 s20, s0, s3
	s_mul_hi_u32 s24, s0, s23
	s_add_i32 s20, s24, s20
	s_mul_i32 s1, s1, s23
	s_add_i32 s20, s20, s1
	s_mul_i32 s0, s0, s23
	s_mul_hi_u32 s24, s3, s0
	s_mul_i32 s25, s3, s0
	s_mul_i32 s27, s23, s20
	s_mul_hi_u32 s0, s23, s0
	s_mul_hi_u32 s26, s23, s20
	s_add_u32 s0, s0, s27
	s_addc_u32 s23, 0, s26
	s_add_u32 s0, s0, s25
	s_mul_hi_u32 s1, s3, s20
	s_addc_u32 s0, s23, s24
	s_addc_u32 s1, s1, 0
	s_mul_i32 s20, s3, s20
	s_add_u32 s0, s0, s20
	s_addc_u32 s1, 0, s1
	v_add_co_u32_e32 v0, vcc, s0, v0
	s_cmp_lg_u64 vcc, 0
	s_addc_u32 s3, s3, s1
	s_ashr_i32 s0, s7, 31
	s_add_u32 s24, s2, s0
	s_mov_b32 s1, s0
	s_addc_u32 s25, s7, s0
	s_xor_b64 s[24:25], s[24:25], s[0:1]
	v_readfirstlane_b32 s20, v0
	s_mul_i32 s7, s24, s3
	s_mul_hi_u32 s23, s24, s20
	s_mul_hi_u32 s1, s24, s3
	s_add_u32 s7, s23, s7
	s_addc_u32 s1, 0, s1
	s_mul_hi_u32 s26, s25, s20
	s_mul_i32 s20, s25, s20
	s_add_u32 s7, s7, s20
	s_mul_hi_u32 s23, s25, s3
	s_addc_u32 s1, s1, s26
	s_addc_u32 s7, s23, 0
	s_mul_i32 s3, s25, s3
	s_add_u32 s1, s1, s3
	s_addc_u32 s3, 0, s7
	s_mul_i32 s3, s22, s3
	s_mul_hi_u32 s23, s22, s1
	s_add_i32 s23, s23, s3
	s_mul_i32 s3, s22, s1
	v_mov_b32_e32 v0, s3
	s_add_u32 s7, s1, 1
	s_add_u32 s20, s1, 2
	v_sub_co_u32_e32 v0, vcc, s24, v0
	s_cmp_lg_u64 vcc, 0
	s_subb_u32 s3, s25, s23
	v_subrev_co_u32_e32 v1, vcc, s22, v0
	s_cmp_lg_u64 vcc, 0
	s_subb_u32 s23, s3, 0
	v_cmp_le_u32_e32 vcc, s22, v1
	s_cmp_eq_u32 s23, 0
	v_mov_b32_e32 v13, s7
	v_cndmask_b32_e64 v1, 0, -1, vcc
	s_cselect_b64 vcc, -1, 0
	v_cndmask_b32_e32 v1, -1, v1, vcc
	v_mov_b32_e32 v14, s20
	v_cmp_ne_u32_e32 vcc, 0, v1
	s_cmp_eq_u32 s3, 0
	s_nop 0
	v_cndmask_b32_e32 v1, v13, v14, vcc
	v_cmp_le_u32_e32 vcc, s22, v0
	v_mov_b32_e32 v13, s1
	s_nop 0
	v_cndmask_b32_e64 v0, 0, -1, vcc
	s_cselect_b64 vcc, -1, 0
	v_cndmask_b32_e32 v0, -1, v0, vcc
	v_cmp_ne_u32_e32 vcc, 0, v0
	s_nop 1
	v_cndmask_b32_e32 v0, v13, v1, vcc
	v_xor_b32_e32 v0, s0, v0
	v_subrev_co_u32_e32 v0, vcc, s0, v0
	s_cbranch_execnz .LBB58_11
.LBB58_10:
	s_sub_i32 s0, 0, s22
	v_mul_lo_u32 v0, s0, v11
	v_mul_hi_u32 v0, v11, v0
	v_add_u32_e32 v0, v11, v0
	v_mul_hi_u32 v0, s2, v0
	v_mul_lo_u32 v13, v0, s22
	v_sub_u32_e32 v13, s2, v13
	v_add_u32_e32 v1, 1, v0
	v_subrev_u32_e32 v14, s22, v13
	v_cmp_le_u32_e32 vcc, s22, v13
	s_nop 1
	v_cndmask_b32_e32 v13, v13, v14, vcc
	v_cndmask_b32_e32 v0, v0, v1, vcc
	v_add_u32_e32 v1, 1, v0
	v_cmp_le_u32_e32 vcc, s22, v13
	s_nop 1
	v_cndmask_b32_e32 v0, v0, v1, vcc
.LBB58_11:
	v_cmp_ne_u32_e32 vcc, v8, v0
	s_cbranch_vccz .LBB58_14
; %bb.12:
	s_add_i32 s0, s12, s22
	s_lshl_b32 s0, s0, 5
	v_mul_hi_u32 v1, v0, s16
	s_add_i32 s0, s0, s21
	s_mov_b32 s1, s6
	v_add_u32_e32 v1, v1, v0
	s_lshl_b64 s[0:1], s[0:1], 3
	v_lshrrev_b32_e32 v1, s17, v1
	s_add_u32 s2, s10, s0
	v_mul_lo_u32 v13, v1, s18
	s_addc_u32 s3, s11, s1
	v_cmp_eq_u32_e32 vcc, v13, v0
	v_cmp_gt_u32_e64 s[0:1], s19, v1
	s_or_b64 s[0:1], s[0:1], vcc
	s_and_b64 vcc, exec, s[0:1]
	s_cbranch_vccnz .LBB58_16
; %bb.13:
	s_add_i32 s7, s12, -1
	s_mov_b64 s[0:1], 0
	s_branch .LBB58_17
.LBB58_14:
                                        ; implicit-def: $sgpr0_sgpr1
                                        ; implicit-def: $vgpr14
                                        ; implicit-def: $vgpr1
                                        ; implicit-def: $vgpr13
                                        ; implicit-def: $sgpr7
                                        ; implicit-def: $vgpr0
	s_branch .LBB58_18
.LBB58_15:
                                        ; implicit-def: $vgpr0_vgpr1
	s_branch .LBB58_10
.LBB58_16:
	s_mov_b64 s[0:1], -1
	s_mov_b32 s7, s12
	v_mov_b32_e32 v0, v8
.LBB58_17:
	s_mul_i32 s20, s12, 0xe00
	v_add_u32_e32 v14, s20, v4
	v_ashrrev_i32_e32 v15, 31, v14
	v_lshl_add_u64 v[14:15], v[14:15], 2, s[4:5]
	global_load_dword v14, v[14:15], off
	s_load_dwordx2 s[2:3], s[2:3], 0x0
	v_max_f32_e32 v1, v7, v7
	s_waitcnt lgkmcnt(0)
	v_max_f32_e64 v13, s2, s2
	v_max_f32_e32 v1, v1, v13
	v_sub_f32_e32 v13, v7, v1
	v_sub_f32_e32 v15, s2, v1
	v_mul_f32_e32 v16, 0x3fb8aa3b, v13
	v_mul_f32_e32 v17, 0x3fb8aa3b, v15
	v_fma_f32 v18, v13, s8, -v16
	v_rndne_f32_e32 v19, v16
	v_fma_f32 v20, v15, s8, -v17
	v_rndne_f32_e32 v21, v17
	v_fmac_f32_e32 v18, 0x32a5705f, v13
	v_sub_f32_e32 v16, v16, v19
	v_fmac_f32_e32 v20, 0x32a5705f, v15
	v_sub_f32_e32 v17, v17, v21
	v_add_f32_e32 v16, v16, v18
	v_cvt_i32_f32_e32 v19, v19
	v_add_f32_e32 v17, v17, v20
	v_exp_f32_e32 v16, v16
	v_cvt_i32_f32_e32 v21, v21
	v_exp_f32_e32 v17, v17
	v_cmp_ngt_f32_e32 vcc, s9, v13
	v_ldexp_f32 v16, v16, v19
	v_ldexp_f32 v17, v17, v21
	v_cndmask_b32_e32 v16, 0, v16, vcc
	v_cmp_ngt_f32_e32 vcc, s9, v15
	s_nop 1
	v_cndmask_b32_e32 v17, 0, v17, vcc
	v_cmp_nlt_f32_e32 vcc, s13, v13
	s_nop 1
	v_cndmask_b32_e32 v16, v12, v16, vcc
	v_cmp_nlt_f32_e32 vcc, s13, v15
	s_nop 1
	v_cndmask_b32_e32 v17, v12, v17, vcc
	v_cmp_le_f32_e32 vcc, s14, v13
	s_nop 1
	v_cndmask_b32_e32 v16, 0, v16, vcc
	v_cmp_le_f32_e32 vcc, s14, v15
	s_nop 1
	v_cndmask_b32_e32 v15, 0, v17, vcc
	v_mul_f32_e32 v13, s3, v15
	v_fmac_f32_e32 v13, v6, v16
	s_waitcnt vmcnt(0)
	v_mul_f32_e32 v14, v14, v15
	v_fmac_f32_e32 v14, v5, v16
	s_cbranch_execnz .LBB58_19
.LBB58_18:
	s_add_i32 s7, s12, -1
	s_mov_b64 s[0:1], 0
	v_mov_b32_e32 v0, v8
	v_mov_b32_e32 v13, v6
	;; [unrolled: 1-line block ×3, first 2 shown]
	s_waitcnt vmcnt(0)
	v_mov_b32_e32 v14, v5
.LBB58_19:
	s_andn2_b64 vcc, exec, s[0:1]
	s_cbranch_vccz .LBB58_23
; %bb.20:
	v_mov_b32_e32 v8, v0
	s_mov_b32 s12, s7
	v_mov_b32_e32 v6, v13
	v_mov_b32_e32 v7, v1
	s_waitcnt vmcnt(0)
	v_mov_b32_e32 v5, v14
	s_mul_hi_i32 s7, s12, s15
	s_cmp_lg_u64 s[6:7], 0
	s_mul_i32 s2, s12, s15
	s_cbranch_scc1 .LBB58_9
	s_branch .LBB58_15
.LBB58_21:
                                        ; implicit-def: $sgpr20_sgpr21
	s_load_dwordx4 s[16:19], s[0:1], 0x44
	s_branch .LBB58_2
.LBB58_22:
                                        ; implicit-def: $vgpr2_vgpr3
	s_branch .LBB58_5
.LBB58_23:
	v_div_scale_f32 v0, s[0:1], v13, v13, v14
	v_rcp_f32_e32 v1, v0
	v_div_scale_f32 v4, vcc, v14, v13, v14
	s_waitcnt vmcnt(0)
	v_fma_f32 v5, -v0, v1, 1.0
	v_fmac_f32_e32 v1, v5, v1
	v_mul_f32_e32 v5, v4, v1
	v_fma_f32 v6, -v0, v5, v4
	v_fmac_f32_e32 v5, v6, v1
	v_fma_f32 v0, -v0, v5, v4
	v_div_fmas_f32 v0, v0, v1, v5
	v_div_fixup_f32 v0, v0, v13, v14
	global_store_dword v[2:3], v0, off
.LBB58_24:
	s_endpgm
	.section	.rodata,"a",@progbits
	.p2align	6, 0x0
	.amdhsa_kernel _ZL33flash_attn_stream_k_fixup_generalILi112ELi32ELi1EEvPfPK15HIP_vector_typeIfLj2EEiiiiS1_IjLj3EES5_S5_S5_
		.amdhsa_group_segment_fixed_size 0
		.amdhsa_private_segment_fixed_size 0
		.amdhsa_kernarg_size 336
		.amdhsa_user_sgpr_count 2
		.amdhsa_user_sgpr_dispatch_ptr 0
		.amdhsa_user_sgpr_queue_ptr 0
		.amdhsa_user_sgpr_kernarg_segment_ptr 1
		.amdhsa_user_sgpr_dispatch_id 0
		.amdhsa_user_sgpr_kernarg_preload_length 0
		.amdhsa_user_sgpr_kernarg_preload_offset 0
		.amdhsa_user_sgpr_private_segment_size 0
		.amdhsa_uses_dynamic_stack 0
		.amdhsa_enable_private_segment 0
		.amdhsa_system_sgpr_workgroup_id_x 1
		.amdhsa_system_sgpr_workgroup_id_y 1
		.amdhsa_system_sgpr_workgroup_id_z 1
		.amdhsa_system_sgpr_workgroup_info 0
		.amdhsa_system_vgpr_workitem_id 0
		.amdhsa_next_free_vgpr 22
		.amdhsa_next_free_sgpr 32
		.amdhsa_accum_offset 24
		.amdhsa_reserve_vcc 1
		.amdhsa_float_round_mode_32 0
		.amdhsa_float_round_mode_16_64 0
		.amdhsa_float_denorm_mode_32 3
		.amdhsa_float_denorm_mode_16_64 3
		.amdhsa_dx10_clamp 1
		.amdhsa_ieee_mode 1
		.amdhsa_fp16_overflow 0
		.amdhsa_tg_split 0
		.amdhsa_exception_fp_ieee_invalid_op 0
		.amdhsa_exception_fp_denorm_src 0
		.amdhsa_exception_fp_ieee_div_zero 0
		.amdhsa_exception_fp_ieee_overflow 0
		.amdhsa_exception_fp_ieee_underflow 0
		.amdhsa_exception_fp_ieee_inexact 0
		.amdhsa_exception_int_div_zero 0
	.end_amdhsa_kernel
	.section	.text._ZL33flash_attn_stream_k_fixup_generalILi112ELi32ELi1EEvPfPK15HIP_vector_typeIfLj2EEiiiiS1_IjLj3EES5_S5_S5_,"axG",@progbits,_ZL33flash_attn_stream_k_fixup_generalILi112ELi32ELi1EEvPfPK15HIP_vector_typeIfLj2EEiiiiS1_IjLj3EES5_S5_S5_,comdat
.Lfunc_end58:
	.size	_ZL33flash_attn_stream_k_fixup_generalILi112ELi32ELi1EEvPfPK15HIP_vector_typeIfLj2EEiiiiS1_IjLj3EES5_S5_S5_, .Lfunc_end58-_ZL33flash_attn_stream_k_fixup_generalILi112ELi32ELi1EEvPfPK15HIP_vector_typeIfLj2EEiiiiS1_IjLj3EES5_S5_S5_
                                        ; -- End function
	.section	.AMDGPU.csdata,"",@progbits
; Kernel info:
; codeLenInByte = 2860
; NumSgprs: 38
; NumVgprs: 22
; NumAgprs: 0
; TotalNumVgprs: 22
; ScratchSize: 0
; MemoryBound: 0
; FloatMode: 240
; IeeeMode: 1
; LDSByteSize: 0 bytes/workgroup (compile time only)
; SGPRBlocks: 4
; VGPRBlocks: 2
; NumSGPRsForWavesPerEU: 38
; NumVGPRsForWavesPerEU: 22
; AccumOffset: 24
; Occupancy: 8
; WaveLimiterHint : 0
; COMPUTE_PGM_RSRC2:SCRATCH_EN: 0
; COMPUTE_PGM_RSRC2:USER_SGPR: 2
; COMPUTE_PGM_RSRC2:TRAP_HANDLER: 0
; COMPUTE_PGM_RSRC2:TGID_X_EN: 1
; COMPUTE_PGM_RSRC2:TGID_Y_EN: 1
; COMPUTE_PGM_RSRC2:TGID_Z_EN: 1
; COMPUTE_PGM_RSRC2:TIDIG_COMP_CNT: 0
; COMPUTE_PGM_RSRC3_GFX90A:ACCUM_OFFSET: 5
; COMPUTE_PGM_RSRC3_GFX90A:TG_SPLIT: 0
	.section	.text._ZL15flash_attn_tileILi112ELi112ELi16ELi1ELb0EEvPKcS1_S1_S1_S1_PKiPfP15HIP_vector_typeIfLj2EEffffjfiS5_IjLj3EEiiiiiiiiiiiliiliiiiil,"axG",@progbits,_ZL15flash_attn_tileILi112ELi112ELi16ELi1ELb0EEvPKcS1_S1_S1_S1_PKiPfP15HIP_vector_typeIfLj2EEffffjfiS5_IjLj3EEiiiiiiiiiiiliiliiiiil,comdat
	.globl	_ZL15flash_attn_tileILi112ELi112ELi16ELi1ELb0EEvPKcS1_S1_S1_S1_PKiPfP15HIP_vector_typeIfLj2EEffffjfiS5_IjLj3EEiiiiiiiiiiiliiliiiiil ; -- Begin function _ZL15flash_attn_tileILi112ELi112ELi16ELi1ELb0EEvPKcS1_S1_S1_S1_PKiPfP15HIP_vector_typeIfLj2EEffffjfiS5_IjLj3EEiiiiiiiiiiiliiliiiiil
	.p2align	8
	.type	_ZL15flash_attn_tileILi112ELi112ELi16ELi1ELb0EEvPKcS1_S1_S1_S1_PKiPfP15HIP_vector_typeIfLj2EEffffjfiS5_IjLj3EEiiiiiiiiiiiliiliiiiil,@function
_ZL15flash_attn_tileILi112ELi112ELi16ELi1ELb0EEvPKcS1_S1_S1_S1_PKiPfP15HIP_vector_typeIfLj2EEffffjfiS5_IjLj3EEiiiiiiiiiiiliiliiiiil: ; @_ZL15flash_attn_tileILi112ELi112ELi16ELi1ELb0EEvPKcS1_S1_S1_S1_PKiPfP15HIP_vector_typeIfLj2EEffffjfiS5_IjLj3EEiiiiiiiiiiiliiliiiiil
; %bb.0:
	s_load_dwordx4 s[36:39], s[0:1], 0x5c
	s_load_dwordx2 s[42:43], s[0:1], 0x80
	s_load_dwordx16 s[16:31], s[0:1], 0x0
	s_load_dwordx2 s[10:11], s[0:1], 0xb8
	s_mov_b64 s[40:41], 0
	s_waitcnt lgkmcnt(0)
	v_cvt_f32_u32_e32 v1, s39
	s_sub_i32 s5, 0, s39
	v_rcp_iflag_f32_e32 v1, v1
	s_nop 0
	v_mul_f32_e32 v1, 0x4f7ffffe, v1
	v_cvt_u32_f32_e32 v1, v1
	s_nop 0
	v_readfirstlane_b32 s6, v1
	s_mul_i32 s5, s5, s6
	s_mul_hi_u32 s5, s6, s5
	s_add_i32 s6, s6, s5
	s_mul_hi_u32 s5, s4, s6
	s_mul_i32 s6, s5, s39
	s_sub_i32 s6, s4, s6
	s_add_i32 s7, s5, 1
	s_sub_i32 s8, s6, s39
	s_cmp_ge_u32 s6, s39
	s_cselect_b32 s5, s7, s5
	s_cselect_b32 s6, s8, s6
	s_add_i32 s7, s5, 1
	s_cmp_ge_u32 s6, s39
	s_cselect_b32 s33, s7, s5
	s_abs_i32 s5, s43
	v_cvt_f32_u32_e32 v1, s5
	s_sub_i32 s8, 0, s5
	s_abs_i32 s7, s39
	s_xor_b32 s6, s39, s43
	v_rcp_iflag_f32_e32 v1, v1
	s_ashr_i32 s6, s6, 31
	s_cmp_eq_u64 s[22:23], 0
	v_mul_f32_e32 v1, 0x4f7ffffe, v1
	v_cvt_u32_f32_e32 v1, v1
	v_mul_lo_u32 v2, s8, v1
	v_mul_hi_u32 v2, v1, v2
	v_add_u32_e32 v1, v1, v2
	v_mul_hi_u32 v1, s7, v1
	v_mul_lo_u32 v2, v1, s5
	v_sub_u32_e32 v2, s7, v2
	v_add_u32_e32 v3, 1, v1
	v_subrev_u32_e32 v4, s5, v2
	v_cmp_le_u32_e32 vcc, s5, v2
	s_nop 1
	v_cndmask_b32_e32 v1, v1, v3, vcc
	v_cndmask_b32_e32 v2, v2, v4, vcc
	v_add_u32_e32 v3, 1, v1
	v_cmp_le_u32_e32 vcc, s5, v2
	s_mul_i32 s5, s33, s39
	s_nop 0
	v_cndmask_b32_e32 v1, v1, v3, vcc
	v_xor_b32_e32 v1, s6, v1
	v_subrev_u32_e32 v3, s6, v1
	v_sub_u32_e32 v1, 0, v3
	v_max_i32_e32 v2, v3, v1
	v_cvt_f32_u32_e32 v1, v2
	v_sub_u32_e32 v4, 0, v2
	v_rcp_iflag_f32_e32 v1, v1
	s_nop 0
	v_mul_f32_e32 v1, 0x4f7ffffe, v1
	v_cvt_u32_f32_e32 v1, v1
	v_mul_lo_u32 v4, v4, v1
	s_cbranch_scc1 .LBB59_2
; %bb.1:
	s_abs_i32 s8, s10
	v_cvt_f32_u32_e32 v5, s8
	s_sub_i32 s12, 0, s8
	s_abs_i32 s10, s33
	s_ashr_i32 s9, s33, 31
	v_rcp_iflag_f32_e32 v5, v5
	s_load_dwordx2 s[6:7], s[0:1], 0xc8
	v_mul_f32_e32 v5, 0x4f7ffffe, v5
	v_cvt_u32_f32_e32 v5, v5
	s_nop 0
	v_readfirstlane_b32 s13, v5
	s_mul_i32 s12, s12, s13
	s_mul_hi_u32 s12, s13, s12
	s_add_i32 s13, s13, s12
	s_mul_hi_u32 s12, s10, s13
	s_mul_i32 s12, s12, s8
	s_sub_i32 s10, s10, s12
	s_sub_i32 s12, s10, s8
	s_cmp_ge_u32 s10, s8
	s_cselect_b32 s10, s12, s10
	s_sub_i32 s12, s10, s8
	s_cmp_ge_u32 s10, s8
	s_cselect_b32 s8, s12, s10
	s_xor_b32 s8, s8, s9
	s_sub_i32 s8, s8, s9
	s_ashr_i32 s9, s8, 31
	s_waitcnt lgkmcnt(0)
	s_mul_i32 s7, s8, s7
	s_mul_hi_u32 s10, s8, s6
	s_add_i32 s7, s10, s7
	s_mul_i32 s9, s9, s6
	s_add_i32 s7, s7, s9
	s_mul_i32 s8, s8, s6
	s_add_u32 s40, s22, s8
	s_addc_u32 s41, s23, s7
.LBB59_2:
	s_load_dwordx4 s[12:15], s[0:1], 0x40
	s_sub_i32 s34, s4, s5
	s_load_dword s4, s[0:1], 0x50
	v_mul_hi_u32 v4, v1, v4
	v_mov_b32_e32 v97, 1.0
	s_waitcnt lgkmcnt(0)
	v_cmp_le_f32_e64 s[6:7], s13, 0
	s_and_b64 vcc, exec, s[6:7]
	s_cbranch_vccnz .LBB59_4
; %bb.3:
	s_sub_i32 s5, s34, s4
	s_lshl_b32 s5, s5, 1
	s_add_i32 s6, s34, 1
	s_or_b32 s7, s5, 1
	s_cmp_lt_u32 s34, s4
	s_cselect_b64 vcc, -1, 0
	s_and_b64 s[4:5], vcc, exec
	v_mov_b32_e32 v5, s15
	v_mov_b32_e32 v6, s14
	s_cselect_b32 s4, s6, s7
	v_cndmask_b32_e32 v22, v5, v6, vcc
	v_cvt_f32_i32_e32 v5, s4
	v_cmp_neq_f32_e32 vcc, 1.0, v22
	s_mov_b32 s4, 0x3f2aaaab
	s_movk_i32 s6, 0x204
	v_cndmask_b32_e32 v23, 1.0, v5, vcc
	v_cmp_eq_f32_e32 vcc, 0, v23
	s_mov_b32 s8, 0x42b17218
	s_mov_b32 s7, 0x7f800000
	v_cndmask_b32_e64 v24, |v22|, 1.0, vcc
	v_frexp_mant_f32_e32 v5, v24
	v_cmp_gt_f32_e64 s[4:5], s4, v5
	s_brev_b32 s10, -2
	s_nop 0
	v_cndmask_b32_e64 v6, 1.0, 2.0, s[4:5]
	v_mul_f32_e32 v5, v5, v6
	v_add_f32_e32 v6, 1.0, v5
	v_rcp_f32_e32 v14, v6
	v_add_f32_e32 v7, -1.0, v6
	v_sub_f32_e32 v9, v5, v7
	v_add_f32_e32 v7, -1.0, v5
	v_mul_f32_e32 v5, v7, v14
	v_mul_f32_e32 v8, v6, v5
	v_fma_f32 v10, v5, v6, -v8
	v_fmac_f32_e32 v10, v5, v9
	v_add_f32_e32 v6, v8, v10
	v_sub_f32_e32 v9, v7, v6
	v_pk_add_f32 v[12:13], v[6:7], v[8:9] neg_lo:[0,1] neg_hi:[0,1]
	v_mov_b32_e32 v11, v6
	v_pk_add_f32 v[6:7], v[12:13], v[10:11] neg_lo:[0,1] neg_hi:[0,1]
	v_mov_b32_e32 v10, 0x3e91f4c4
	v_add_f32_e32 v6, v6, v7
	v_add_f32_e32 v6, v9, v6
	v_mul_f32_e32 v7, v14, v6
	v_add_f32_e32 v6, v5, v7
	v_sub_f32_e32 v5, v6, v5
	v_sub_f32_e32 v5, v7, v5
	v_mul_f32_e32 v7, v6, v6
	v_fma_f32 v9, v6, v6, -v7
	v_add_f32_e32 v8, v5, v5
	v_fmac_f32_e32 v9, v6, v8
	v_add_f32_e32 v8, v7, v9
	v_fmac_f32_e32 v10, 0x3e76c4e1, v8
	v_fmaak_f32 v10, v8, v10, 0x3ecccdef
	v_sub_f32_e32 v7, v8, v7
	v_sub_f32_e32 v16, v9, v7
	v_mul_f32_e32 v7, v8, v10
	v_fma_f32 v9, v8, v10, -v7
	v_fmac_f32_e32 v9, v16, v10
	v_add_f32_e32 v10, v7, v9
	v_add_f32_e32 v11, 0x3f2aaaaa, v10
	v_sub_f32_e32 v7, v10, v7
	v_sub_f32_e32 v7, v9, v7
	v_add_f32_e32 v9, 0xbf2aaaaa, v11
	v_add_f32_e32 v7, 0x31739010, v7
	v_sub_f32_e32 v9, v10, v9
	v_pk_mul_f32 v[12:13], v[6:7], v[8:9]
	v_pk_add_f32 v[14:15], v[6:7], v[8:9]
	v_fma_f32 v10, v8, v6, -v12
	v_fmac_f32_e32 v10, v8, v5
	v_mov_b32_e32 v13, v15
	v_fmac_f32_e32 v10, v16, v6
	v_pk_add_f32 v[8:9], v[12:13], v[10:11]
	v_ldexp_f32 v5, v5, 1
	v_sub_f32_e32 v7, v8, v12
	v_sub_f32_e32 v7, v10, v7
	;; [unrolled: 1-line block ×3, first 2 shown]
	v_add_f32_e32 v13, v15, v10
	v_mov_b32_e32 v10, v9
	v_pk_mul_f32 v[10:11], v[8:9], v[10:11]
	v_cvt_f64_f32_e32 v[14:15], v24
	v_frexp_exp_i32_f64_e32 v11, v[14:15]
	v_subbrev_co_u32_e64 v11, s[4:5], 0, v11, s[4:5]
	v_cvt_f32_i32_e32 v11, v11
	v_fma_f32 v12, v8, v9, -v10
	v_fmac_f32_e32 v12, v8, v13
	s_mov_b32 s4, 0x3f317218
	v_mul_f32_e32 v8, 0x3f317218, v11
	v_fmac_f32_e32 v12, v7, v9
	v_fma_f32 v7, v11, s4, -v8
	v_fmamk_f32 v14, v11, 0xb102e308, v7
	v_ldexp_f32 v15, v6, 1
	v_add_f32_e32 v9, v10, v12
	v_pk_add_f32 v[6:7], v[8:9], v[14:15]
	v_mov_b32_e32 v16, v9
	v_mov_b32_e32 v17, v7
	;; [unrolled: 1-line block ×3, first 2 shown]
	v_pk_add_f32 v[10:11], v[16:17], v[10:11] neg_lo:[0,1] neg_hi:[0,1]
	v_mov_b32_e32 v13, v9
	v_pk_add_f32 v[10:11], v[12:13], v[10:11] neg_lo:[0,1] neg_hi:[0,1]
	v_mov_b32_e32 v15, v6
	v_add_f32_e32 v5, v5, v10
	v_add_f32_e32 v9, v5, v11
	v_pk_add_f32 v[10:11], v[6:7], v[8:9] neg_lo:[0,1] neg_hi:[0,1]
	v_pk_add_f32 v[12:13], v[6:7], v[8:9]
	v_mov_b32_e32 v16, v10
	v_mov_b32_e32 v17, v13
	v_pk_add_f32 v[16:17], v[14:15], v[16:17]
	v_pk_add_f32 v[10:11], v[14:15], v[10:11] neg_lo:[0,1] neg_hi:[0,1]
	v_mov_b32_e32 v8, v17
	v_pk_add_f32 v[18:19], v[8:9], v[6:7] neg_lo:[0,1] neg_hi:[0,1]
	v_mov_b32_e32 v16, v13
	v_mov_b32_e32 v5, v18
	;; [unrolled: 1-line block ×4, first 2 shown]
	v_pk_add_f32 v[20:21], v[12:13], v[4:5] neg_lo:[0,1] neg_hi:[0,1]
	v_pk_add_f32 v[6:7], v[16:17], v[6:7] neg_lo:[0,1] neg_hi:[0,1]
	v_mov_b32_e32 v14, v9
	v_pk_add_f32 v[6:7], v[14:15], v[6:7] neg_lo:[0,1] neg_hi:[0,1]
	v_mov_b32_e32 v20, v10
	v_pk_add_f32 v[12:13], v[20:21], v[6:7]
	v_mov_b32_e32 v11, v17
	v_mov_b32_e32 v14, v13
	v_pk_add_f32 v[14:15], v[12:13], v[14:15]
	s_nop 0
	v_pk_add_f32 v[8:9], v[8:9], v[14:15]
	v_mov_b32_e32 v7, v14
	v_mov_b32_e32 v13, v8
	v_pk_add_f32 v[16:17], v[12:13], v[10:11] neg_lo:[0,1] neg_hi:[0,1]
	s_nop 0
	v_sub_f32_e32 v5, v12, v16
	v_pk_add_f32 v[6:7], v[6:7], v[16:17] neg_lo:[0,1] neg_hi:[0,1]
	v_sub_f32_e32 v5, v10, v5
	v_add_f32_e32 v5, v6, v5
	v_add_f32_e32 v5, v5, v7
	;; [unrolled: 1-line block ×3, first 2 shown]
	v_sub_f32_e32 v7, v6, v8
	v_sub_f32_e32 v5, v5, v7
	v_mul_f32_e32 v7, v23, v6
	v_fma_f32 v6, v23, v6, -v7
	v_fmac_f32_e32 v6, v23, v5
	v_add_f32_e32 v5, v7, v6
	v_cmp_class_f32_e64 s[4:5], v7, s6
	v_sub_f32_e32 v8, v5, v7
	v_sub_f32_e32 v6, v6, v8
	v_cndmask_b32_e64 v5, v5, v7, s[4:5]
	v_mov_b32_e32 v7, 0x37000000
	v_cmp_eq_f32_e64 s[4:5], s8, v5
	s_nop 1
	v_cndmask_b32_e64 v7, 0, v7, s[4:5]
	v_sub_f32_e32 v8, v5, v7
	s_mov_b32 s4, 0x3fb8aa3b
	v_mul_f32_e32 v9, 0x3fb8aa3b, v8
	v_fma_f32 v10, v8, s4, -v9
	v_rndne_f32_e32 v11, v9
	v_fmamk_f32 v10, v8, 0x32a5705f, v10
	v_sub_f32_e32 v9, v9, v11
	v_add_f32_e32 v9, v9, v10
	v_exp_f32_e32 v9, v9
	v_cvt_i32_f32_e32 v10, v11
	v_cmp_neq_f32_e64 s[4:5], |v5|, s7
	s_nop 1
	v_cndmask_b32_e64 v5, 0, v6, s[4:5]
	s_mov_b32 s4, 0xc2ce8ed0
	v_ldexp_f32 v6, v9, v10
	v_cmp_ngt_f32_e64 s[4:5], s4, v8
	v_add_f32_e32 v5, v7, v5
	v_mov_b32_e32 v7, 0x7f800000
	v_cndmask_b32_e64 v6, 0, v6, s[4:5]
	v_cmp_nlt_f32_e64 s[4:5], s8, v8
	v_trunc_f32_e32 v8, v23
	v_mov_b32_e32 v9, 0x7fc00000
	v_cndmask_b32_e64 v6, v7, v6, s[4:5]
	v_fma_f32 v5, v6, v5, v6
	v_cmp_class_f32_e64 s[4:5], v6, s6
	v_cmp_gt_f32_e64 s[8:9], 0, v23
	s_nop 0
	v_cndmask_b32_e64 v5, v5, v6, s[4:5]
	v_cndmask_b32_e64 v6, v22, 1.0, vcc
	v_cmp_eq_f32_e32 vcc, v8, v23
	v_mul_f32_e32 v8, 0.5, v23
	v_trunc_f32_e32 v10, v8
	v_cmp_neq_f32_e64 s[4:5], v10, v8
	s_and_b64 s[4:5], vcc, s[4:5]
	s_nop 0
	v_cndmask_b32_e64 v8, 1.0, v6, s[4:5]
	v_bfi_b32 v5, s10, v5, v8
	v_cndmask_b32_e32 v8, v9, v5, vcc
	v_cmp_gt_f32_e32 vcc, 0, v6
	s_nop 1
	v_cndmask_b32_e32 v5, v5, v8, vcc
	v_cmp_eq_f32_e32 vcc, s7, v24
	v_cmp_eq_f32_e64 s[6:7], 0, v6
	s_xor_b64 s[8:9], s[8:9], s[6:7]
	v_cndmask_b32_e64 v7, v7, 0, s[8:9]
	v_cndmask_b32_e64 v8, 0, v6, s[4:5]
	v_bfi_b32 v7, s10, v7, v8
	s_or_b64 vcc, vcc, s[6:7]
	v_cndmask_b32_e32 v5, v5, v7, vcc
	v_cmp_o_f32_e32 vcc, v6, v6
	s_nop 1
	v_cndmask_b32_e32 v97, v9, v5, vcc
.LBB59_4:
	s_load_dwordx4 s[4:7], s[0:1], 0x70
	s_abs_i32 s8, s34
	s_lshl_b32 s43, s2, 4
	v_bfe_u32 v55, v0, 10, 10
	v_and_b32_e32 v88, 0x3ff, v0
	s_waitcnt lgkmcnt(0)
	s_mul_i32 s6, s33, s6
	s_ashr_i32 s7, s6, 31
	s_mul_i32 s5, s34, s5
	s_add_u32 s6, s16, s6
	s_addc_u32 s7, s17, s7
	s_ashr_i32 s9, s5, 31
	s_add_u32 s6, s6, s5
	v_add_u32_e32 v4, v1, v4
	s_addc_u32 s7, s7, s9
	v_lshlrev_b32_e32 v90, 1, v55
	s_ashr_i32 s5, s4, 31
	v_lshlrev_b32_e32 v0, 4, v88
	v_mov_b32_e32 v1, 0
	v_cmp_gt_u32_e64 s[22:23], 28, v88
	s_lshr_b64 s[4:5], s[4:5], 2
	v_lshl_add_u64 v[0:1], s[6:7], 0, v[0:1]
	v_lshlrev_b32_e32 v57, 1, v88
	v_add_u32_e32 v91, s43, v90
	s_and_saveexec_b64 s[6:7], s[22:23]
	s_cbranch_execz .LBB59_6
; %bb.5:
	v_mul_hi_u32 v5, v91, s36
	v_add_u32_e32 v5, v91, v5
	v_lshrrev_b32_e32 v5, s37, v5
	v_mul_lo_u32 v5, v5, s38
	v_sub_u32_e32 v5, v91, v5
	v_mad_u64_u32 v[6:7], s[14:15], s4, v5, 0
	v_mov_b32_e32 v8, v7
	v_mad_u64_u32 v[8:9], s[14:15], s5, v5, v[8:9]
	v_mov_b32_e32 v7, v8
	v_lshl_add_u64 v[6:7], v[6:7], 2, v[0:1]
	global_load_dwordx4 v[6:9], v[6:7], off
	s_waitcnt vmcnt(0)
	v_pk_mul_f32 v[6:7], v[6:7], s[12:13] op_sel_hi:[1,0]
	v_pk_mul_f32 v[8:9], v[8:9], s[12:13] op_sel_hi:[1,0]
	v_cvt_f16_f32_e32 v5, v7
	v_cvt_f16_f32_e32 v7, v9
	;; [unrolled: 1-line block ×4, first 2 shown]
	v_mul_u32_u24_e32 v9, 0x70, v55
	v_add_lshl_u32 v9, v9, v57, 2
	v_pack_b32_f16 v7, v8, v7
	v_pack_b32_f16 v6, v6, v5
	ds_write_b64 v9, v[6:7] offset:4160
.LBB59_6:
	s_or_b64 exec, exec, s[6:7]
	v_or_b32_e32 v49, 1, v90
	v_mul_hi_u32 v4, s8, v4
	v_add_u32_e32 v89, s43, v49
	s_and_saveexec_b64 s[6:7], s[22:23]
	s_cbranch_execz .LBB59_8
; %bb.7:
	v_mul_hi_u32 v5, v89, s36
	v_add_u32_e32 v5, v89, v5
	v_lshrrev_b32_e32 v5, s37, v5
	v_mul_lo_u32 v5, v5, s38
	v_sub_u32_e32 v5, v89, v5
	v_mad_u64_u32 v[6:7], s[14:15], s4, v5, 0
	v_mov_b32_e32 v8, v7
	v_mad_u64_u32 v[8:9], s[4:5], s5, v5, v[8:9]
	v_mov_b32_e32 v7, v8
	v_lshl_add_u64 v[0:1], v[6:7], 2, v[0:1]
	global_load_dwordx4 v[6:9], v[0:1], off
	s_waitcnt vmcnt(0)
	v_pk_mul_f32 v[0:1], v[6:7], s[12:13] op_sel_hi:[1,0]
	v_pk_mul_f32 v[6:7], v[8:9], s[12:13] op_sel_hi:[1,0]
	v_cvt_f16_f32_e32 v5, v1
	v_cvt_f16_f32_e32 v1, v7
	v_cvt_f16_f32_e32 v6, v6
	v_cvt_f16_f32_e32 v0, v0
	v_mul_u32_u24_e32 v7, 56, v49
	v_add_lshl_u32 v7, v7, v57, 2
	v_pack_b32_f16 v1, v6, v1
	v_pack_b32_f16 v0, v0, v5
	ds_write_b64 v7, v[0:1] offset:4160
.LBB59_8:
	s_or_b64 exec, exec, s[6:7]
	s_ashr_i32 s35, s34, 31
	v_ashrrev_i32_e32 v0, 31, v3
	s_cmp_eq_u64 s[26:27], 0
	s_waitcnt lgkmcnt(0)
	s_barrier
	s_cbranch_scc1 .LBB59_10
; %bb.9:
	s_load_dword s4, s[0:1], 0xd0
	s_mov_b32 s5, 0
	s_waitcnt lgkmcnt(0)
	s_mul_i32 s4, s4, s33
	s_add_i32 s4, s4, s2
	s_lshl_b64 s[4:5], s[4:5], 2
	s_add_u32 s4, s26, s4
	s_addc_u32 s5, s27, s5
	s_load_dword s42, s[4:5], 0x0
.LBB59_10:
	s_load_dwordx2 s[12:13], s[0:1], 0x8c
	s_nop 0
	s_load_dwordx4 s[4:7], s[0:1], 0x98
	v_mul_lo_u32 v1, v4, v2
	v_sub_u32_e32 v1, s8, v1
	v_add_u32_e32 v3, 1, v4
	v_sub_u32_e32 v5, v1, v2
	v_cmp_ge_u32_e32 vcc, v1, v2
	s_load_dwordx2 s[14:15], s[0:1], 0xa8
	s_waitcnt lgkmcnt(0)
	s_ashr_i32 s2, s6, 2
	v_cndmask_b32_e32 v3, v4, v3, vcc
	v_cndmask_b32_e32 v1, v1, v5, vcc
	v_add_u32_e32 v4, 1, v3
	v_cmp_ge_u32_e32 vcc, v1, v2
	s_ashr_i32 s6, s33, 31
	s_mul_i32 s5, s33, s5
	s_mul_hi_u32 s9, s33, s4
	v_xor_b32_e32 v0, s35, v0
	v_cndmask_b32_e32 v1, v3, v4, vcc
	s_add_i32 s5, s9, s5
	s_mul_i32 s9, s6, s4
	v_xor_b32_e32 v1, v1, v0
	s_ashr_i32 s50, s12, 2
	s_ashr_i32 s49, s11, 1
	s_add_i32 s5, s5, s9
	s_mul_i32 s4, s33, s4
	v_sub_u32_e32 v2, v1, v0
	s_add_u32 s4, s18, s4
	v_mul_lo_u32 v0, v2, s13
	s_addc_u32 s5, s19, s5
	v_ashrrev_i32_e32 v1, 31, v0
	v_lshl_add_u64 v[62:63], s[4:5], 0, v[0:1]
	s_mul_i32 s4, s33, s15
	s_mul_hi_u32 s5, s33, s14
	s_add_i32 s4, s5, s4
	s_mul_i32 s6, s6, s14
	s_add_i32 s5, s4, s6
	s_mul_i32 s4, s33, s14
	s_add_u32 s4, s20, s4
	v_mul_lo_u32 v0, v2, s7
	v_lshlrev_b32_e32 v48, 2, v88
	s_addc_u32 s5, s21, s5
	v_ashrrev_i32_e32 v1, 31, v0
	s_lshl_b32 s48, s3, 5
	s_sub_i32 s51, s42, 32
	v_lshl_add_u64 v[52:53], s[4:5], 0, v[0:1]
	s_mov_b32 s4, 0xfeffffff
	s_cmp_ge_i32 s48, s51
	v_mov_b32_e32 v51, 0
	v_mov_b32_e32 v95, 0
	v_lshl_add_u32 v102, v55, 5, v88
	v_lshrrev_b32_e32 v101, 1, v88
	v_lshrrev_b32_e32 v61, 2, v88
	v_lshlrev_b32_e32 v100, 7, v88
	v_and_b32_e32 v56, 4, v48
	v_and_b32_e32 v60, 12, v48
	v_lshrrev_b32_e32 v98, 3, v88
	v_lshlrev_b32_e32 v92, 2, v57
	v_and_b32_e32 v54, 28, v48
	v_mbcnt_lo_u32_b32 v99, -1, 0
	s_cbranch_scc1 .LBB59_42
; %bb.11:
	v_mul_hi_u32 v4, s36, v91
	v_add_u32_e32 v4, v91, v4
	v_lshrrev_b32_e32 v4, s37, v4
	v_mul_lo_u32 v4, v4, s38
	v_sub_u32_e32 v4, v91, v4
	v_mul_lo_u32 v107, v4, s49
	v_or_b32_e32 v4, 1, v91
	v_mul_hi_u32 v5, s36, v4
	v_add_u32_e32 v5, v4, v5
	v_lshrrev_b32_e32 v5, s37, v5
	v_lshl_add_u32 v0, v55, 4, v101
	v_mul_lo_u32 v5, v5, s38
	v_lshl_add_u32 v1, v55, 3, v61
	v_lshlrev_b32_e32 v2, 7, v0
	v_lshlrev_b32_e32 v3, 2, v56
	v_sub_u32_e32 v4, v4, v5
	v_cmp_gt_u32_e64 s[6:7], 32, v0
	v_or3_b32 v105, v2, v3, 64
	v_mul_lo_u32 v66, s50, v0
	v_lshlrev_b32_e32 v2, 2, v60
	v_mul_lo_u32 v108, v4, s49
	v_mov_b32_e32 v4, 0x1e40
	v_cmp_gt_u32_e64 s[10:11], 16, v0
	v_mul_u32_u24_e32 v5, 0xe0, v0
	v_mul_lo_u32 v72, s2, v0
	v_mul_u32_u24_e32 v0, 0xe0, v1
	s_movk_i32 s17, 0x80
	s_cmp_lg_u64 s[40:41], 0
	v_lshl_add_u32 v109, v55, 7, v4
	v_lshl_add_u32 v4, v55, 2, v98
	s_movk_i32 s16, 0xe0
	v_add3_u32 v112, v0, v2, s17
	v_lshlrev_b32_e32 v0, 2, v54
	v_mul_lo_u32 v64, s50, v102
	v_mov_b32_e32 v69, 0
	v_mul_lo_u32 v70, s50, v1
	s_cselect_b64 s[26:27], -1, 0
	v_or_b32_e32 v3, v5, v3
	v_mul_lo_u32 v74, s2, v1
	v_mad_u32_u24 v113, v4, s16, v0
	v_mul_lo_u32 v76, s2, v4
	s_add_u32 s44, s0, 0xd0
	v_mov_b32_e32 v0, 0xfeffffff
	v_cmp_gt_u32_e64 s[4:5], 32, v102
	v_cmp_gt_u32_e64 s[8:9], 32, v1
	v_mul_u32_u24_e32 v103, 0x1c0, v55
	v_or_b32_e32 v104, 0x60, v100
	v_ashrrev_i32_e32 v65, 31, v64
	v_ashrrev_i32_e32 v67, 31, v66
	v_lshl_or_b32 v106, v1, 7, v2
	v_ashrrev_i32_e32 v71, 31, v70
	v_lshl_add_u32 v110, v57, 1, v109
	v_cmp_gt_u32_e64 s[12:13], 16, v1
	v_cmp_gt_u32_e64 s[14:15], 16, v4
	v_add_u32_e32 v111, 0xc0, v3
	v_ashrrev_i32_e32 v73, 31, v72
	v_ashrrev_i32_e32 v75, 31, v74
	;; [unrolled: 1-line block ×3, first 2 shown]
	s_addc_u32 s45, s1, 0
	v_mbcnt_hi_u32_b32 v114, -1, v99
	s_mov_b32 s52, 0x3fb8aa3b
	s_mov_b32 s53, 0xc2ce8ed0
	;; [unrolled: 1-line block ×3, first 2 shown]
	v_mov_b32_e32 v115, 0x7f800000
	v_mov_b32_e32 v94, 0
	;; [unrolled: 1-line block ×8, first 2 shown]
.LBB59_12:                              ; =>This Inner Loop Header: Depth=1
	s_mul_hi_i32 s17, s48, s50
	s_mul_i32 s16, s48, s50
	s_lshl_b64 s[16:17], s[16:17], 2
	v_lshl_add_u64 v[6:7], v[62:63], 0, s[16:17]
	v_lshl_add_u64 v[4:5], v[64:65], 2, v[6:7]
	s_and_saveexec_b64 s[16:17], s[4:5]
	s_cbranch_execz .LBB59_14
; %bb.13:                               ;   in Loop: Header=BB59_12 Depth=1
	global_load_dwordx4 v[8:11], v[4:5], off offset:96
	s_waitcnt vmcnt(0)
	ds_write_b128 v104, v[8:11]
.LBB59_14:                              ;   in Loop: Header=BB59_12 Depth=1
	s_or_b64 exec, exec, s[16:17]
	v_lshl_add_u64 v[2:3], v[66:67], 2, v[6:7]
	v_lshlrev_b32_e32 v68, 2, v56
	s_and_saveexec_b64 s[16:17], s[6:7]
	s_cbranch_execz .LBB59_16
; %bb.15:                               ;   in Loop: Header=BB59_12 Depth=1
	v_lshl_add_u64 v[8:9], v[2:3], 0, v[68:69]
	global_load_dwordx4 v[8:11], v[8:9], off offset:64
	s_waitcnt vmcnt(0)
	ds_write_b128 v105, v[8:11]
.LBB59_16:                              ;   in Loop: Header=BB59_12 Depth=1
	s_or_b64 exec, exec, s[16:17]
	v_lshl_add_u64 v[6:7], v[70:71], 2, v[6:7]
	v_lshlrev_b32_e32 v78, 2, v60
	s_and_saveexec_b64 s[16:17], s[8:9]
	s_cbranch_execz .LBB59_18
; %bb.17:                               ;   in Loop: Header=BB59_12 Depth=1
	v_mov_b32_e32 v79, v69
	v_lshl_add_u64 v[8:9], v[6:7], 0, v[78:79]
	global_load_dwordx4 v[8:11], v[8:9], off
	s_waitcnt vmcnt(0)
	ds_write_b128 v106, v[8:11]
.LBB59_18:                              ;   in Loop: Header=BB59_12 Depth=1
	s_or_b64 exec, exec, s[16:17]
	s_waitcnt lgkmcnt(0)
	s_barrier
	ds_read_b128 v[10:13], v100
	ds_read_b128 v[14:17], v103 offset:4160
	ds_read_b128 v[18:21], v103 offset:4384
	v_mov_b32_e32 v9, 0
	s_waitcnt lgkmcnt(1)
	;;#ASMSTART
	v_dot2_f32_f16 v9, v10, v14, v9
	;;#ASMEND
	s_nop 0
	;;#ASMSTART
	v_dot2_f32_f16 v9, v11, v15, v9
	;;#ASMEND
	v_mov_b32_e32 v8, 0
	;;#ASMSTART
	v_dot2_f32_f16 v9, v12, v16, v9
	;;#ASMEND
	s_nop 0
	;;#ASMSTART
	v_dot2_f32_f16 v9, v13, v17, v9
	;;#ASMEND
	s_waitcnt lgkmcnt(0)
	;;#ASMSTART
	v_dot2_f32_f16 v8, v10, v18, v8
	;;#ASMEND
	s_nop 0
	;;#ASMSTART
	v_dot2_f32_f16 v8, v11, v19, v8
	;;#ASMEND
	s_nop 0
	;;#ASMSTART
	v_dot2_f32_f16 v8, v12, v20, v8
	;;#ASMEND
	s_nop 0
	;;#ASMSTART
	v_dot2_f32_f16 v8, v13, v21, v8
	;;#ASMEND
	ds_read_b128 v[10:13], v100 offset:16
	ds_read_b128 v[14:17], v103 offset:4176
	ds_read_b128 v[18:21], v103 offset:4400
	s_waitcnt lgkmcnt(1)
	;;#ASMSTART
	v_dot2_f32_f16 v9, v10, v14, v9
	;;#ASMEND
	s_nop 0
	;;#ASMSTART
	v_dot2_f32_f16 v9, v11, v15, v9
	;;#ASMEND
	s_nop 0
	;;#ASMSTART
	v_dot2_f32_f16 v9, v12, v16, v9
	;;#ASMEND
	s_nop 0
	;;#ASMSTART
	v_dot2_f32_f16 v9, v13, v17, v9
	;;#ASMEND
	s_waitcnt lgkmcnt(0)
	;;#ASMSTART
	v_dot2_f32_f16 v8, v10, v18, v8
	;;#ASMEND
	s_nop 0
	;;#ASMSTART
	v_dot2_f32_f16 v8, v11, v19, v8
	;;#ASMEND
	s_nop 0
	;;#ASMSTART
	v_dot2_f32_f16 v8, v12, v20, v8
	;;#ASMEND
	s_nop 0
	;;#ASMSTART
	v_dot2_f32_f16 v8, v13, v21, v8
	;;#ASMEND
	ds_read_b128 v[10:13], v100 offset:32
	ds_read_b128 v[14:17], v103 offset:4192
	ds_read_b128 v[18:21], v103 offset:4416
	s_waitcnt lgkmcnt(1)
	;;#ASMSTART
	v_dot2_f32_f16 v9, v10, v14, v9
	;;#ASMEND
	s_nop 0
	;;#ASMSTART
	v_dot2_f32_f16 v9, v11, v15, v9
	;;#ASMEND
	s_nop 0
	;; [unrolled: 35-line block ×6, first 2 shown]
	;;#ASMSTART
	v_dot2_f32_f16 v9, v12, v16, v9
	;;#ASMEND
	s_nop 0
	;;#ASMSTART
	v_dot2_f32_f16 v9, v13, v17, v9
	;;#ASMEND
	s_waitcnt lgkmcnt(0)
	;;#ASMSTART
	v_dot2_f32_f16 v8, v10, v18, v8
	;;#ASMEND
	s_nop 0
	;;#ASMSTART
	v_dot2_f32_f16 v8, v11, v19, v8
	;;#ASMEND
	s_nop 0
	;; [unrolled: 4-line block ×3, first 2 shown]
	;;#ASMSTART
	v_dot2_f32_f16 v8, v13, v21, v8
	;;#ASMEND
	s_barrier
	s_and_saveexec_b64 s[16:17], s[4:5]
	s_cbranch_execnz .LBB59_36
; %bb.19:                               ;   in Loop: Header=BB59_12 Depth=1
	s_or_b64 exec, exec, s[16:17]
	s_and_saveexec_b64 s[16:17], s[6:7]
	s_cbranch_execnz .LBB59_37
.LBB59_20:                              ;   in Loop: Header=BB59_12 Depth=1
	s_or_b64 exec, exec, s[16:17]
	s_and_saveexec_b64 s[16:17], s[8:9]
	s_cbranch_execz .LBB59_22
.LBB59_21:                              ;   in Loop: Header=BB59_12 Depth=1
	v_mov_b32_e32 v79, v69
	v_lshl_add_u64 v[2:3], v[6:7], 0, v[78:79]
	global_load_dwordx4 v[2:5], v[2:3], off offset:112
	s_waitcnt vmcnt(0)
	ds_write_b128 v106, v[2:5]
.LBB59_22:                              ;   in Loop: Header=BB59_12 Depth=1
	s_or_b64 exec, exec, s[16:17]
	s_waitcnt lgkmcnt(0)
	s_barrier
	ds_read_b128 v[2:5], v100
	ds_read_b128 v[10:13], v103 offset:4272
	ds_read_b128 v[14:17], v103 offset:4496
	s_waitcnt lgkmcnt(1)
	;;#ASMSTART
	v_dot2_f32_f16 v9, v2, v10, v9
	;;#ASMEND
	s_nop 0
	;;#ASMSTART
	v_dot2_f32_f16 v9, v3, v11, v9
	;;#ASMEND
	s_andn2_b64 vcc, exec, s[26:27]
	;;#ASMSTART
	v_dot2_f32_f16 v9, v4, v12, v9
	;;#ASMEND
	s_nop 0
	;;#ASMSTART
	v_dot2_f32_f16 v9, v5, v13, v9
	;;#ASMEND
	s_waitcnt lgkmcnt(0)
	;;#ASMSTART
	v_dot2_f32_f16 v8, v2, v14, v8
	;;#ASMEND
	s_nop 0
	;;#ASMSTART
	v_dot2_f32_f16 v8, v3, v15, v8
	;;#ASMEND
	s_nop 0
	;;#ASMSTART
	v_dot2_f32_f16 v8, v4, v16, v8
	;;#ASMEND
	s_nop 0
	;;#ASMSTART
	v_dot2_f32_f16 v8, v5, v17, v8
	;;#ASMEND
	ds_read_b128 v[2:5], v100 offset:16
	ds_read_b128 v[10:13], v103 offset:4288
	ds_read_b128 v[14:17], v103 offset:4512
	s_waitcnt lgkmcnt(1)
	;;#ASMSTART
	v_dot2_f32_f16 v9, v2, v10, v9
	;;#ASMEND
	s_nop 0
	;;#ASMSTART
	v_dot2_f32_f16 v9, v3, v11, v9
	;;#ASMEND
	s_nop 0
	;;#ASMSTART
	v_dot2_f32_f16 v9, v4, v12, v9
	;;#ASMEND
	s_nop 0
	;;#ASMSTART
	v_dot2_f32_f16 v9, v5, v13, v9
	;;#ASMEND
	s_waitcnt lgkmcnt(0)
	;;#ASMSTART
	v_dot2_f32_f16 v8, v2, v14, v8
	;;#ASMEND
	s_nop 0
	;;#ASMSTART
	v_dot2_f32_f16 v8, v3, v15, v8
	;;#ASMEND
	s_nop 0
	;;#ASMSTART
	v_dot2_f32_f16 v8, v4, v16, v8
	;;#ASMEND
	s_nop 0
	;;#ASMSTART
	v_dot2_f32_f16 v8, v5, v17, v8
	;;#ASMEND
	ds_read_b128 v[2:5], v100 offset:32
	ds_read_b128 v[10:13], v103 offset:4304
	ds_read_b128 v[14:17], v103 offset:4528
	s_waitcnt lgkmcnt(1)
	;;#ASMSTART
	v_dot2_f32_f16 v9, v2, v10, v9
	;;#ASMEND
	s_nop 0
	;;#ASMSTART
	v_dot2_f32_f16 v9, v3, v11, v9
	;;#ASMEND
	s_nop 0
	;; [unrolled: 35-line block ×6, first 2 shown]
	;;#ASMSTART
	v_dot2_f32_f16 v9, v4, v12, v9
	;;#ASMEND
	s_nop 0
	;;#ASMSTART
	v_dot2_f32_f16 v9, v5, v13, v9
	;;#ASMEND
	s_waitcnt lgkmcnt(0)
	;;#ASMSTART
	v_dot2_f32_f16 v8, v2, v14, v8
	;;#ASMEND
	v_cndmask_b32_e64 v2, 0, 1, s[26:27]
	;;#ASMSTART
	v_dot2_f32_f16 v8, v3, v15, v8
	;;#ASMEND
	v_cmp_ne_u32_e64 s[16:17], 1, v2
	;;#ASMSTART
	v_dot2_f32_f16 v8, v4, v16, v8
	;;#ASMEND
	v_add_u32_e32 v4, s48, v88
	v_mov_b32_e32 v3, 0
	v_mov_b32_e32 v2, 0
	;;#ASMSTART
	v_dot2_f32_f16 v8, v5, v17, v8
	;;#ASMEND
	s_cbranch_vccnz .LBB59_24
; %bb.23:                               ;   in Loop: Header=BB59_12 Depth=1
	v_add_u32_e32 v6, v4, v107
	v_ashrrev_i32_e32 v7, 31, v6
	v_lshl_add_u64 v[6:7], v[6:7], 1, s[40:41]
	flat_load_ushort v2, v[6:7]
	s_waitcnt vmcnt(0) lgkmcnt(0)
	v_cvt_f32_f16_e32 v2, v2
	v_mul_f32_e32 v2, v97, v2
.LBB59_24:                              ;   in Loop: Header=BB59_12 Depth=1
	v_and_b32_e32 v5, 0x60, v114
	v_add_u32_e32 v10, 32, v5
	v_xor_b32_e32 v5, 16, v114
	v_cmp_lt_i32_e32 vcc, v5, v10
	v_add_f32_e32 v2, v9, v2
	v_add_f32_e32 v6, 0x40051340, v2
	v_cndmask_b32_e32 v5, v114, v5, vcc
	v_max_f32_e32 v7, v0, v0
	v_lshlrev_b32_e32 v5, 2, v5
	v_max_f32_e32 v7, v7, v6
	ds_bpermute_b32 v9, v5, v7
	v_xor_b32_e32 v6, 8, v114
	v_cmp_lt_i32_e32 vcc, v6, v10
	v_xor_b32_e32 v13, 1, v114
	s_waitcnt lgkmcnt(0)
	v_max_f32_e32 v9, v9, v9
	v_cndmask_b32_e32 v6, v114, v6, vcc
	v_lshlrev_b32_e32 v6, 2, v6
	v_max_f32_e32 v9, v7, v9
	ds_bpermute_b32 v11, v6, v9
	v_xor_b32_e32 v7, 4, v114
	v_cmp_lt_i32_e32 vcc, v7, v10
	s_waitcnt lgkmcnt(0)
	v_max_f32_e32 v11, v11, v11
	v_cndmask_b32_e32 v7, v114, v7, vcc
	v_lshlrev_b32_e32 v7, 2, v7
	v_max_f32_e32 v11, v9, v11
	ds_bpermute_b32 v12, v7, v11
	v_xor_b32_e32 v9, 2, v114
	v_cmp_lt_i32_e32 vcc, v9, v10
	s_waitcnt lgkmcnt(0)
	v_max_f32_e32 v12, v12, v12
	v_cndmask_b32_e32 v9, v114, v9, vcc
	v_lshlrev_b32_e32 v9, 2, v9
	v_max_f32_e32 v11, v11, v12
	ds_bpermute_b32 v12, v9, v11
	v_cmp_lt_i32_e32 vcc, v13, v10
	s_waitcnt lgkmcnt(0)
	v_max_f32_e32 v12, v12, v12
	v_cndmask_b32_e32 v10, v114, v13, vcc
	v_lshlrev_b32_e32 v10, 2, v10
	v_max_f32_e32 v11, v11, v12
	ds_bpermute_b32 v12, v10, v11
	s_and_b64 vcc, exec, s[16:17]
	s_cbranch_vccnz .LBB59_26
; %bb.25:                               ;   in Loop: Header=BB59_12 Depth=1
	v_add_u32_e32 v14, v4, v108
	v_ashrrev_i32_e32 v15, 31, v14
	v_lshl_add_u64 v[14:15], v[14:15], 1, s[40:41]
	flat_load_ushort v3, v[14:15]
	s_waitcnt vmcnt(0) lgkmcnt(0)
	v_cvt_f32_f16_e32 v3, v3
	v_mul_f32_e32 v3, v97, v3
.LBB59_26:                              ;   in Loop: Header=BB59_12 Depth=1
	v_add_f32_e32 v3, v8, v3
	v_add_f32_e32 v4, 0x40051340, v3
	v_max_f32_e32 v8, v1, v1
	v_max_f32_e32 v4, v8, v4
	ds_bpermute_b32 v5, v5, v4
	s_mul_hi_i32 s17, s48, s2
	s_mul_i32 s16, s48, s2
	s_lshl_b64 s[16:17], s[16:17], 2
	s_waitcnt lgkmcnt(0)
	v_max_f32_e32 v5, v5, v5
	v_max_f32_e32 v4, v4, v5
	ds_bpermute_b32 v5, v6, v4
	v_max_f32_e32 v6, v12, v12
	s_barrier
	s_waitcnt lgkmcnt(0)
	v_max_f32_e32 v5, v5, v5
	v_max_f32_e32 v4, v4, v5
	ds_bpermute_b32 v5, v7, v4
	v_max_f32_e32 v7, v11, v11
	v_max_f32_e32 v58, v7, v6
	s_waitcnt lgkmcnt(0)
	v_max_f32_e32 v5, v5, v5
	v_max_f32_e32 v4, v4, v5
	ds_bpermute_b32 v5, v9, v4
	s_waitcnt lgkmcnt(0)
	v_max_f32_e32 v5, v5, v5
	v_max_f32_e32 v4, v4, v5
	ds_bpermute_b32 v5, v10, v4
	s_waitcnt lgkmcnt(0)
	v_max_f32_e32 v5, v5, v5
	v_max_f32_e32 v59, v4, v5
	v_pk_add_f32 v[2:3], v[2:3], v[58:59] neg_lo:[0,1] neg_hi:[0,1]
	s_nop 0
	v_mul_f32_e32 v4, 0x3fb8aa3b, v3
	v_mul_f32_e32 v5, 0x3fb8aa3b, v2
	v_fma_f32 v6, v3, s52, -v4
	v_rndne_f32_e32 v7, v4
	v_fma_f32 v8, v2, s52, -v5
	v_rndne_f32_e32 v9, v5
	v_fmac_f32_e32 v6, 0x32a5705f, v3
	v_sub_f32_e32 v4, v4, v7
	v_fmac_f32_e32 v8, 0x32a5705f, v2
	v_sub_f32_e32 v5, v5, v9
	v_add_f32_e32 v4, v4, v6
	v_cvt_i32_f32_e32 v7, v7
	v_add_f32_e32 v5, v5, v8
	v_exp_f32_e32 v4, v4
	v_cvt_i32_f32_e32 v9, v9
	v_exp_f32_e32 v5, v5
	v_cmp_ngt_f32_e32 vcc, s53, v3
	v_ldexp_f32 v4, v4, v7
	v_ldexp_f32 v5, v5, v9
	v_cndmask_b32_e32 v4, 0, v4, vcc
	v_cmp_ngt_f32_e32 vcc, s53, v2
	s_nop 1
	v_cndmask_b32_e32 v5, 0, v5, vcc
	v_cmp_nlt_f32_e32 vcc, s54, v3
	s_nop 1
	v_cndmask_b32_e32 v81, v115, v4, vcc
	v_cmp_nlt_f32_e32 vcc, s54, v2
	v_cvt_f16_f32_e32 v3, v81
	s_nop 0
	v_cndmask_b32_e32 v80, v115, v5, vcc
	v_cvt_f16_f32_e32 v2, v80
	v_pack_b32_f16 v2, v2, v3
	ds_write_b32 v110, v2
	v_lshl_add_u64 v[2:3], v[52:53], 0, s[16:17]
	s_and_saveexec_b64 s[16:17], s[10:11]
	s_cbranch_execnz .LBB59_38
; %bb.27:                               ;   in Loop: Header=BB59_12 Depth=1
	s_or_b64 exec, exec, s[16:17]
	s_and_saveexec_b64 s[16:17], s[12:13]
	s_cbranch_execnz .LBB59_39
.LBB59_28:                              ;   in Loop: Header=BB59_12 Depth=1
	s_or_b64 exec, exec, s[16:17]
	v_lshlrev_b32_e32 v84, 2, v54
	s_and_saveexec_b64 s[16:17], s[14:15]
	s_cbranch_execz .LBB59_30
.LBB59_29:                              ;   in Loop: Header=BB59_12 Depth=1
	v_lshl_add_u64 v[2:3], v[76:77], 2, v[2:3]
	v_mov_b32_e32 v85, v69
	v_lshl_add_u64 v[2:3], v[2:3], 0, v[84:85]
	global_load_dwordx4 v[2:5], v[2:3], off
	s_waitcnt vmcnt(0)
	ds_write_b128 v113, v[2:5]
.LBB59_30:                              ;   in Loop: Header=BB59_12 Depth=1
	s_or_b64 exec, exec, s[16:17]
	v_pk_add_f32 v[82:83], v[0:1], v[58:59] neg_lo:[0,1] neg_hi:[0,1]
	s_waitcnt lgkmcnt(0)
	s_barrier
	ds_read2_b64 v[44:47], v92 offset1:28
	ds_read_b128 v[36:39], v109
	ds_read_b128 v[16:19], v109 offset:16
	ds_read_b128 v[4:7], v109 offset:32
	ds_read_b128 v[0:3], v109 offset:48
	ds_read2_b64 v[40:43], v92 offset0:56 offset1:84
	ds_read2_b64 v[32:35], v92 offset0:112 offset1:140
	;; [unrolled: 1-line block ×4, first 2 shown]
	v_add_u32_e32 v116, 0x800, v92
	ds_read2_b64 v[20:23], v116 offset0:24 offset1:52
	ds_read2_b64 v[12:15], v116 offset0:80 offset1:108
	;; [unrolled: 1-line block ×3, first 2 shown]
	s_or_b32 s46, s48, 16
	s_mul_hi_i32 s47, s46, s2
	s_mul_i32 s46, s46, s2
	s_lshl_b64 s[46:47], s[46:47], 2
	v_cmp_ngt_f32_e64 s[18:19], s53, v83
	v_cmp_nlt_f32_e64 s[20:21], s54, v83
	v_cmp_ngt_f32_e64 s[16:17], s53, v82
	v_cmp_nlt_f32_e32 vcc, s54, v82
	v_lshl_add_u64 v[86:87], v[52:53], 0, s[46:47]
	s_waitcnt lgkmcnt(0)
	s_barrier
	s_and_saveexec_b64 s[46:47], s[10:11]
	s_cbranch_execnz .LBB59_40
; %bb.31:                               ;   in Loop: Header=BB59_12 Depth=1
	s_or_b64 exec, exec, s[46:47]
	s_and_saveexec_b64 s[46:47], s[12:13]
	s_cbranch_execnz .LBB59_41
.LBB59_32:                              ;   in Loop: Header=BB59_12 Depth=1
	s_or_b64 exec, exec, s[46:47]
	s_and_saveexec_b64 s[46:47], s[14:15]
	s_cbranch_execz .LBB59_34
.LBB59_33:                              ;   in Loop: Header=BB59_12 Depth=1
	v_lshl_add_u64 v[78:79], v[76:77], 2, v[86:87]
	v_mov_b32_e32 v85, v69
	v_lshl_add_u64 v[78:79], v[78:79], 0, v[84:85]
	global_load_dwordx4 v[84:87], v[78:79], off
	s_waitcnt vmcnt(0)
	ds_write_b128 v113, v[84:87]
.LBB59_34:                              ;   in Loop: Header=BB59_12 Depth=1
	s_or_b64 exec, exec, s[46:47]
	v_mul_f32_e32 v68, 0x3fb8aa3b, v83
	v_fma_f32 v78, v83, s52, -v68
	v_rndne_f32_e32 v79, v68
	v_fmac_f32_e32 v78, 0x32a5705f, v83
	v_sub_f32_e32 v68, v68, v79
	v_add_f32_e32 v68, v68, v78
	v_cvt_i32_f32_e32 v78, v79
	v_mul_f32_e32 v79, 0x3fb8aa3b, v82
	v_fma_f32 v83, v82, s52, -v79
	v_fmac_f32_e32 v83, 0x32a5705f, v82
	v_rndne_f32_e32 v82, v79
	v_exp_f32_e32 v68, v68
	v_sub_f32_e32 v79, v79, v82
	v_add_f32_e32 v79, v79, v83
	v_exp_f32_e32 v83, v79
	v_cvt_i32_f32_e32 v82, v82
	v_ldexp_f32 v68, v68, v78
	v_cndmask_b32_e64 v68, 0, v68, s[18:19]
	v_cndmask_b32_e64 v79, v115, v68, s[20:21]
	v_ldexp_f32 v68, v83, v82
	v_cndmask_b32_e64 v68, 0, v68, s[16:17]
	v_cvt_f16_f32_e32 v82, v79
	v_cndmask_b32_e32 v78, v115, v68, vcc
	v_cvt_f16_f32_e32 v68, v78
	v_pk_mul_f16 v84, v44, v36 op_sel_hi:[1,0]
	v_pk_mul_f16 v44, v44, v36 op_sel:[0,1]
	v_pk_mul_f16 v83, v82, v94 op_sel_hi:[0,1]
	v_pk_fma_f16 v44, v82, v93, v44 op_sel_hi:[0,1,1]
	v_pk_mul_f16 v82, v45, v36 op_sel_hi:[1,0]
	v_pk_fma_f16 v84, v68, v95, v84 op_sel_hi:[0,1,1]
	v_pk_fma_f16 v68, v68, v96, v82 op_sel_hi:[0,1,1]
	v_pk_fma_f16 v36, v45, v36, v83 op_sel:[0,1,0]
	v_pk_fma_f16 v45, v46, v37, v84 op_sel_hi:[1,0,1]
	v_pk_fma_f16 v44, v46, v37, v44 op_sel:[0,1,0]
	;; [unrolled: 2-line block ×31, first 2 shown]
	s_waitcnt lgkmcnt(0)
	s_barrier
	ds_read2_b64 v[0:3], v92 offset1:28
	ds_read_b128 v[4:7], v109 offset:64
	ds_read_b128 v[8:11], v109 offset:80
	;; [unrolled: 1-line block ×4, first 2 shown]
	v_pk_fma_f32 v[50:51], v[50:51], v[78:79], v[80:81]
	s_waitcnt lgkmcnt(3)
	v_pk_fma_f16 v24, v0, v4, v20 op_sel_hi:[1,0,1]
	v_pk_fma_f16 v0, v0, v4, v21 op_sel:[0,1,0]
	v_pk_fma_f16 v25, v1, v4, v22 op_sel_hi:[1,0,1]
	v_pk_fma_f16 v1, v1, v4, v23 op_sel:[0,1,0]
	ds_read2_b64 v[20:23], v92 offset0:56 offset1:84
	v_pk_fma_f16 v4, v2, v5, v24 op_sel_hi:[1,0,1]
	v_pk_fma_f16 v0, v2, v5, v0 op_sel:[0,1,0]
	v_pk_fma_f16 v2, v3, v5, v25 op_sel_hi:[1,0,1]
	v_pk_fma_f16 v1, v3, v5, v1 op_sel:[0,1,0]
	s_waitcnt lgkmcnt(0)
	v_pk_fma_f16 v4, v20, v6, v4 op_sel_hi:[1,0,1]
	v_pk_fma_f16 v5, v20, v6, v0 op_sel:[0,1,0]
	v_pk_fma_f16 v20, v21, v6, v2 op_sel_hi:[1,0,1]
	v_pk_fma_f16 v6, v21, v6, v1 op_sel:[0,1,0]
	ds_read2_b64 v[0:3], v92 offset0:112 offset1:140
	v_pk_fma_f16 v4, v22, v7, v4 op_sel_hi:[1,0,1]
	v_pk_fma_f16 v5, v22, v7, v5 op_sel:[0,1,0]
	v_pk_fma_f16 v20, v23, v7, v20 op_sel_hi:[1,0,1]
	v_pk_fma_f16 v6, v23, v7, v6 op_sel:[0,1,0]
	;; [unrolled: 10-line block ×6, first 2 shown]
	s_waitcnt lgkmcnt(0)
	v_pk_fma_f16 v8, v0, v16, v8 op_sel_hi:[1,0,1]
	v_pk_fma_f16 v0, v0, v16, v4 op_sel:[0,1,0]
	v_pk_fma_f16 v9, v1, v16, v6 op_sel_hi:[1,0,1]
	v_pk_fma_f16 v1, v1, v16, v5 op_sel:[0,1,0]
	ds_read2_b64 v[4:7], v116 offset0:136 offset1:164
	s_waitcnt lgkmcnt(0)
	s_barrier
	s_load_dword s16, s[44:45], 0x4
	v_pk_fma_f16 v8, v2, v17, v8 op_sel_hi:[1,0,1]
	v_pk_fma_f16 v0, v2, v17, v0 op_sel:[0,1,0]
	v_pk_fma_f16 v2, v3, v17, v9 op_sel_hi:[1,0,1]
	v_pk_fma_f16 v1, v3, v17, v1 op_sel:[0,1,0]
	s_waitcnt lgkmcnt(0)
	s_lshl_b32 s16, s16, 5
	v_pk_fma_f16 v3, v4, v18, v8 op_sel_hi:[1,0,1]
	v_pk_fma_f16 v0, v4, v18, v0 op_sel:[0,1,0]
	v_pk_fma_f16 v2, v5, v18, v2 op_sel_hi:[1,0,1]
	v_pk_fma_f16 v1, v5, v18, v1 op_sel:[0,1,0]
	s_add_i32 s48, s16, s48
	v_pk_fma_f16 v95, v6, v19, v3 op_sel_hi:[1,0,1]
	v_pk_fma_f16 v93, v6, v19, v0 op_sel:[0,1,0]
	v_pk_fma_f16 v96, v7, v19, v2 op_sel_hi:[1,0,1]
	s_cmp_lt_i32 s48, s51
	v_pk_fma_f16 v94, v7, v19, v1 op_sel:[0,1,0]
	s_cbranch_scc0 .LBB59_43
; %bb.35:                               ;   in Loop: Header=BB59_12 Depth=1
	v_mov_b32_e32 v0, v58
	v_mov_b32_e32 v1, v59
	s_branch .LBB59_12
.LBB59_36:                              ;   in Loop: Header=BB59_12 Depth=1
	global_load_dwordx4 v[10:13], v[4:5], off offset:208
	s_waitcnt vmcnt(0)
	ds_write_b128 v104, v[10:13]
	s_or_b64 exec, exec, s[16:17]
	s_and_saveexec_b64 s[16:17], s[6:7]
	s_cbranch_execz .LBB59_20
.LBB59_37:                              ;   in Loop: Header=BB59_12 Depth=1
	v_lshl_add_u64 v[2:3], v[2:3], 0, v[68:69]
	global_load_dwordx4 v[2:5], v[2:3], off offset:176
	s_waitcnt vmcnt(0)
	ds_write_b128 v105, v[2:5]
	s_or_b64 exec, exec, s[16:17]
	s_and_saveexec_b64 s[16:17], s[8:9]
	s_cbranch_execnz .LBB59_21
	s_branch .LBB59_22
.LBB59_38:                              ;   in Loop: Header=BB59_12 Depth=1
	v_lshl_add_u64 v[4:5], v[72:73], 2, v[2:3]
	v_lshl_add_u64 v[4:5], v[4:5], 0, v[68:69]
	global_load_dwordx4 v[4:7], v[4:5], off offset:192
	s_waitcnt vmcnt(0)
	ds_write_b128 v111, v[4:7]
	s_or_b64 exec, exec, s[16:17]
	s_and_saveexec_b64 s[16:17], s[12:13]
	s_cbranch_execz .LBB59_28
.LBB59_39:                              ;   in Loop: Header=BB59_12 Depth=1
	v_lshl_add_u64 v[4:5], v[74:75], 2, v[2:3]
	v_mov_b32_e32 v79, v69
	v_lshl_add_u64 v[4:5], v[4:5], 0, v[78:79]
	global_load_dwordx4 v[4:7], v[4:5], off offset:128
	s_waitcnt vmcnt(0)
	ds_write_b128 v112, v[4:7]
	s_or_b64 exec, exec, s[16:17]
	v_lshlrev_b32_e32 v84, 2, v54
	s_and_saveexec_b64 s[16:17], s[14:15]
	s_cbranch_execnz .LBB59_29
	s_branch .LBB59_30
.LBB59_40:                              ;   in Loop: Header=BB59_12 Depth=1
	v_lshl_add_u64 v[118:119], v[72:73], 2, v[86:87]
	v_lshl_add_u64 v[118:119], v[118:119], 0, v[68:69]
	global_load_dwordx4 v[118:121], v[118:119], off offset:192
	s_waitcnt vmcnt(0)
	ds_write_b128 v111, v[118:121]
	s_or_b64 exec, exec, s[46:47]
	s_and_saveexec_b64 s[46:47], s[12:13]
	s_cbranch_execz .LBB59_32
.LBB59_41:                              ;   in Loop: Header=BB59_12 Depth=1
	v_lshl_add_u64 v[118:119], v[74:75], 2, v[86:87]
	v_mov_b32_e32 v79, v69
	v_lshl_add_u64 v[78:79], v[118:119], 0, v[78:79]
	global_load_dwordx4 v[118:121], v[78:79], off offset:128
	s_waitcnt vmcnt(0)
	ds_write_b128 v112, v[118:121]
	s_or_b64 exec, exec, s[46:47]
	s_and_saveexec_b64 s[46:47], s[14:15]
	s_cbranch_execnz .LBB59_33
	s_branch .LBB59_34
.LBB59_42:
	s_mov_b32 s5, s4
	v_mov_b64_e32 v[58:59], s[4:5]
	v_mov_b32_e32 v50, v51
	v_mov_b32_e32 v96, 0
	;; [unrolled: 1-line block ×4, first 2 shown]
.LBB59_43:
	s_cmp_gt_i32 s42, s48
	s_cbranch_scc1 .LBB59_45
; %bb.44:
	v_mbcnt_hi_u32_b32 v74, -1, v99
	v_and_b32_e32 v0, 0x60, v74
	v_add_u32_e32 v75, 32, v0
	v_xor_b32_e32 v76, 16, v74
	v_xor_b32_e32 v77, 8, v74
	;; [unrolled: 1-line block ×5, first 2 shown]
	v_mov_b64_e32 v[66:67], v[50:51]
	s_cbranch_execz .LBB59_46
	s_branch .LBB59_81
.LBB59_45:
                                        ; implicit-def: $vgpr74
                                        ; implicit-def: $vgpr75
                                        ; implicit-def: $vgpr76
                                        ; implicit-def: $vgpr77
                                        ; implicit-def: $vgpr78
                                        ; implicit-def: $vgpr79
                                        ; implicit-def: $vgpr80
                                        ; implicit-def: $vgpr66_vgpr67
.LBB59_46:
	s_mul_hi_i32 s5, s48, s50
	s_mul_i32 s4, s48, s50
	s_lshl_b64 s[4:5], s[4:5], 2
	v_mul_lo_u32 v0, s50, v102
	s_sub_i32 s20, s42, s48
	v_lshl_add_u64 v[2:3], v[62:63], 0, s[4:5]
	v_ashrrev_i32_e32 v1, 31, v0
	v_cmp_gt_u32_e64 s[8:9], 32, v102
	s_mov_b64 s[14:15], src_private_base
	v_or_b32_e32 v10, 0x60, v100
	v_cmp_gt_i32_e32 vcc, s20, v102
	v_lshl_add_u64 v[4:5], v[0:1], 2, v[2:3]
	s_and_saveexec_b64 s[4:5], s[8:9]
	s_cbranch_execz .LBB59_48
; %bb.47:
	v_mov_b32_e32 v6, 0
	v_mov_b32_e32 v7, v6
	;; [unrolled: 1-line block ×3, first 2 shown]
	s_mov_b64 s[6:7], 0x60
	scratch_store_dword off, v6, off
	scratch_store_dwordx3 off, v[6:8], off offset:4
	v_lshl_add_u64 v[0:1], v[4:5], 0, s[6:7]
	s_nop 0
	v_mov_b32_e32 v6, s15
	v_cndmask_b32_e32 v1, v6, v1, vcc
	v_mov_b32_e32 v6, 0
	v_cndmask_b32_e32 v0, v6, v0, vcc
	flat_load_dwordx4 v[6:9], v[0:1]
	s_waitcnt vmcnt(0) lgkmcnt(0)
	ds_write_b128 v10, v[6:9]
.LBB59_48:
	s_or_b64 exec, exec, s[4:5]
	v_lshl_add_u32 v72, v55, 4, v101
	v_lshlrev_b32_e32 v0, 7, v72
	v_lshlrev_b32_e32 v62, 2, v56
	v_or3_b32 v11, v0, v62, 64
	v_mul_lo_u32 v0, s50, v72
	v_ashrrev_i32_e32 v1, 31, v0
	v_cmp_gt_u32_e64 s[10:11], 32, v72
	v_cmp_gt_i32_e64 s[4:5], s20, v72
	v_lshl_add_u64 v[6:7], v[0:1], 2, v[2:3]
	s_and_saveexec_b64 s[6:7], s[10:11]
	s_cbranch_execz .LBB59_50
; %bb.49:
	v_mov_b32_e32 v12, 0
	v_mov_b32_e32 v63, v12
	v_lshl_add_u64 v[0:1], v[6:7], 0, v[62:63]
	v_lshl_add_u64 v[0:1], v[0:1], 0, 64
	v_mov_b32_e32 v8, s15
	v_mov_b32_e32 v13, v12
	;; [unrolled: 1-line block ×3, first 2 shown]
	v_cndmask_b32_e64 v1, v8, v1, s[4:5]
	v_mov_b32_e32 v8, 0
	scratch_store_dword off, v12, off
	scratch_store_dwordx3 off, v[12:14], off offset:4
	v_cndmask_b32_e64 v0, v8, v0, s[4:5]
	flat_load_dwordx4 v[12:15], v[0:1]
	s_waitcnt vmcnt(0) lgkmcnt(0)
	ds_write_b128 v11, v[12:15]
.LBB59_50:
	s_or_b64 exec, exec, s[6:7]
	v_lshl_add_u32 v73, v55, 3, v61
	v_mul_lo_u32 v8, s50, v73
	v_lshlrev_b32_e32 v60, 2, v60
	v_ashrrev_i32_e32 v9, 31, v8
	v_cmp_gt_u32_e64 s[12:13], 32, v73
	s_mov_b64 s[16:17], src_private_base
	v_mov_b32_e32 v1, 0
	v_lshl_or_b32 v12, v73, 7, v60
	v_cmp_gt_i32_e64 s[6:7], s20, v73
	v_lshl_add_u64 v[8:9], v[8:9], 2, v[2:3]
	s_and_saveexec_b64 s[18:19], s[12:13]
	s_cbranch_execz .LBB59_52
; %bb.51:
	v_mov_b32_e32 v0, v1
	v_mov_b32_e32 v2, v1
	;; [unrolled: 1-line block ×3, first 2 shown]
	scratch_store_dwordx3 off, v[0:2], off offset:4
	scratch_store_dword off, v1, off
	s_nop 0
	v_lshl_add_u64 v[2:3], v[8:9], 0, v[60:61]
	v_mov_b32_e32 v0, s17
	v_cndmask_b32_e64 v3, v0, v3, s[6:7]
	v_mov_b32_e32 v0, 0
	v_cndmask_b32_e64 v2, v0, v2, s[6:7]
	flat_load_dwordx4 v[14:17], v[2:3]
	s_waitcnt vmcnt(0) lgkmcnt(0)
	ds_write_b128 v12, v[14:17]
.LBB59_52:
	s_or_b64 exec, exec, s[18:19]
	v_mul_u32_u24_e32 v2, 0x1c0, v55
	s_waitcnt lgkmcnt(0)
	s_barrier
	ds_read_b128 v[14:17], v100
	ds_read_b128 v[18:21], v2 offset:4160
	ds_read_b128 v[22:25], v2 offset:4384
	v_mov_b32_e32 v0, 0
	s_waitcnt lgkmcnt(1)
	;;#ASMSTART
	v_dot2_f32_f16 v0, v14, v18, v0
	;;#ASMEND
	s_nop 0
	;;#ASMSTART
	v_dot2_f32_f16 v0, v15, v19, v0
	;;#ASMEND
	s_nop 0
	;;#ASMSTART
	v_dot2_f32_f16 v0, v16, v20, v0
	;;#ASMEND
	s_nop 0
	;;#ASMSTART
	v_dot2_f32_f16 v0, v17, v21, v0
	;;#ASMEND
	s_waitcnt lgkmcnt(0)
	;;#ASMSTART
	v_dot2_f32_f16 v1, v14, v22, v1
	;;#ASMEND
	s_nop 0
	;;#ASMSTART
	v_dot2_f32_f16 v1, v15, v23, v1
	;;#ASMEND
	s_nop 0
	;;#ASMSTART
	v_dot2_f32_f16 v1, v16, v24, v1
	;;#ASMEND
	s_nop 0
	;;#ASMSTART
	v_dot2_f32_f16 v1, v17, v25, v1
	;;#ASMEND
	ds_read_b128 v[14:17], v100 offset:16
	ds_read_b128 v[18:21], v2 offset:4176
	ds_read_b128 v[22:25], v2 offset:4400
	s_waitcnt lgkmcnt(1)
	;;#ASMSTART
	v_dot2_f32_f16 v0, v14, v18, v0
	;;#ASMEND
	s_nop 0
	;;#ASMSTART
	v_dot2_f32_f16 v0, v15, v19, v0
	;;#ASMEND
	s_nop 0
	;;#ASMSTART
	v_dot2_f32_f16 v0, v16, v20, v0
	;;#ASMEND
	s_nop 0
	;;#ASMSTART
	v_dot2_f32_f16 v0, v17, v21, v0
	;;#ASMEND
	s_waitcnt lgkmcnt(0)
	;;#ASMSTART
	v_dot2_f32_f16 v1, v14, v22, v1
	;;#ASMEND
	s_nop 0
	;;#ASMSTART
	v_dot2_f32_f16 v1, v15, v23, v1
	;;#ASMEND
	s_nop 0
	;;#ASMSTART
	v_dot2_f32_f16 v1, v16, v24, v1
	;;#ASMEND
	s_nop 0
	;;#ASMSTART
	v_dot2_f32_f16 v1, v17, v25, v1
	;;#ASMEND
	ds_read_b128 v[14:17], v100 offset:32
	ds_read_b128 v[18:21], v2 offset:4192
	ds_read_b128 v[22:25], v2 offset:4416
	;; [unrolled: 35-line block ×6, first 2 shown]
	s_waitcnt lgkmcnt(1)
	;;#ASMSTART
	v_dot2_f32_f16 v0, v14, v18, v0
	;;#ASMEND
	s_nop 0
	;;#ASMSTART
	v_dot2_f32_f16 v0, v15, v19, v0
	;;#ASMEND
	s_nop 0
	;; [unrolled: 4-line block ×3, first 2 shown]
	;;#ASMSTART
	v_dot2_f32_f16 v0, v17, v21, v0
	;;#ASMEND
	s_waitcnt lgkmcnt(0)
	;;#ASMSTART
	v_dot2_f32_f16 v1, v14, v22, v1
	;;#ASMEND
	s_nop 0
	;;#ASMSTART
	v_dot2_f32_f16 v1, v15, v23, v1
	;;#ASMEND
	s_nop 0
	;; [unrolled: 4-line block ×3, first 2 shown]
	;;#ASMSTART
	v_dot2_f32_f16 v1, v17, v25, v1
	;;#ASMEND
	s_barrier
	s_and_saveexec_b64 s[18:19], s[8:9]
	s_cbranch_execnz .LBB59_59
; %bb.53:
	s_or_b64 exec, exec, s[18:19]
	s_and_saveexec_b64 s[8:9], s[10:11]
	s_cbranch_execnz .LBB59_60
.LBB59_54:
	s_or_b64 exec, exec, s[8:9]
	s_and_saveexec_b64 s[8:9], s[12:13]
	s_cbranch_execz .LBB59_56
.LBB59_55:
	v_mov_b32_e32 v4, 0
	v_mov_b32_e32 v5, v4
	;; [unrolled: 1-line block ×4, first 2 shown]
	scratch_store_dword off, v4, off
	scratch_store_dwordx3 off, v[4:6], off offset:4
	s_mov_b64 s[10:11], 0x70
	v_mov_b32_e32 v3, s17
	v_lshl_add_u64 v[4:5], v[8:9], 0, v[60:61]
	v_lshl_add_u64 v[4:5], v[4:5], 0, s[10:11]
	v_cndmask_b32_e64 v5, v3, v5, s[6:7]
	v_mov_b32_e32 v3, 0
	v_cndmask_b32_e64 v4, v3, v4, s[6:7]
	flat_load_dwordx4 v[4:7], v[4:5]
	s_waitcnt vmcnt(0) lgkmcnt(0)
	ds_write_b128 v12, v[4:7]
.LBB59_56:
	s_or_b64 exec, exec, s[8:9]
	s_waitcnt lgkmcnt(0)
	s_barrier
	ds_read_b128 v[4:7], v100
	ds_read_b128 v[8:11], v2 offset:4272
	ds_read_b128 v[12:15], v2 offset:4496
	s_waitcnt lgkmcnt(1)
	;;#ASMSTART
	v_dot2_f32_f16 v0, v4, v8, v0
	;;#ASMEND
	s_nop 0
	;;#ASMSTART
	v_dot2_f32_f16 v0, v5, v9, v0
	;;#ASMEND
	s_cmp_lg_u64 s[40:41], 0
	;;#ASMSTART
	v_dot2_f32_f16 v0, v6, v10, v0
	;;#ASMEND
	s_cselect_b64 s[10:11], -1, 0
	;;#ASMSTART
	v_dot2_f32_f16 v0, v7, v11, v0
	;;#ASMEND
	s_waitcnt lgkmcnt(0)
	;;#ASMSTART
	v_dot2_f32_f16 v1, v4, v12, v1
	;;#ASMEND
	v_cndmask_b32_e64 v3, 0, 1, s[10:11]
	;;#ASMSTART
	v_dot2_f32_f16 v1, v5, v13, v1
	;;#ASMEND
	v_cmp_gt_i32_e64 s[8:9], s20, v88
	;;#ASMSTART
	v_dot2_f32_f16 v1, v6, v14, v1
	;;#ASMEND
	v_cmp_ne_u32_e64 s[10:11], 1, v3
	;;#ASMSTART
	v_dot2_f32_f16 v1, v7, v15, v1
	;;#ASMEND
	ds_read_b128 v[4:7], v100 offset:16
	ds_read_b128 v[8:11], v2 offset:4288
	;; [unrolled: 1-line block ×3, first 2 shown]
	s_waitcnt lgkmcnt(1)
	;;#ASMSTART
	v_dot2_f32_f16 v0, v4, v8, v0
	;;#ASMEND
	s_nop 0
	;;#ASMSTART
	v_dot2_f32_f16 v0, v5, v9, v0
	;;#ASMEND
	v_mov_b32_e32 v3, v58
	;;#ASMSTART
	v_dot2_f32_f16 v0, v6, v10, v0
	;;#ASMEND
	s_nop 0
	;;#ASMSTART
	v_dot2_f32_f16 v0, v7, v11, v0
	;;#ASMEND
	s_waitcnt lgkmcnt(0)
	;;#ASMSTART
	v_dot2_f32_f16 v1, v4, v12, v1
	;;#ASMEND
	s_nop 0
	;;#ASMSTART
	v_dot2_f32_f16 v1, v5, v13, v1
	;;#ASMEND
	s_nop 0
	;;#ASMSTART
	v_dot2_f32_f16 v1, v6, v14, v1
	;;#ASMEND
	s_nop 0
	;;#ASMSTART
	v_dot2_f32_f16 v1, v7, v15, v1
	;;#ASMEND
	ds_read_b128 v[4:7], v100 offset:32
	ds_read_b128 v[8:11], v2 offset:4304
	ds_read_b128 v[12:15], v2 offset:4528
	s_waitcnt lgkmcnt(1)
	;;#ASMSTART
	v_dot2_f32_f16 v0, v4, v8, v0
	;;#ASMEND
	s_nop 0
	;;#ASMSTART
	v_dot2_f32_f16 v0, v5, v9, v0
	;;#ASMEND
	s_nop 0
	;;#ASMSTART
	v_dot2_f32_f16 v0, v6, v10, v0
	;;#ASMEND
	s_nop 0
	;;#ASMSTART
	v_dot2_f32_f16 v0, v7, v11, v0
	;;#ASMEND
	s_waitcnt lgkmcnt(0)
	;;#ASMSTART
	v_dot2_f32_f16 v1, v4, v12, v1
	;;#ASMEND
	s_nop 0
	;;#ASMSTART
	v_dot2_f32_f16 v1, v5, v13, v1
	;;#ASMEND
	s_nop 0
	;;#ASMSTART
	v_dot2_f32_f16 v1, v6, v14, v1
	;;#ASMEND
	s_nop 0
	;;#ASMSTART
	v_dot2_f32_f16 v1, v7, v15, v1
	;;#ASMEND
	ds_read_b128 v[4:7], v100 offset:48
	ds_read_b128 v[8:11], v2 offset:4320
	ds_read_b128 v[12:15], v2 offset:4544
	s_waitcnt lgkmcnt(1)
	;;#ASMSTART
	v_dot2_f32_f16 v0, v4, v8, v0
	;;#ASMEND
	s_nop 0
	;;#ASMSTART
	v_dot2_f32_f16 v0, v5, v9, v0
	;;#ASMEND
	s_nop 0
	;; [unrolled: 35-line block ×4, first 2 shown]
	;;#ASMSTART
	v_dot2_f32_f16 v0, v6, v10, v0
	;;#ASMEND
	s_nop 0
	;;#ASMSTART
	v_dot2_f32_f16 v0, v7, v11, v0
	;;#ASMEND
	s_waitcnt lgkmcnt(0)
	;;#ASMSTART
	v_dot2_f32_f16 v1, v4, v12, v1
	;;#ASMEND
	s_nop 0
	;;#ASMSTART
	v_dot2_f32_f16 v1, v5, v13, v1
	;;#ASMEND
	s_nop 0
	;; [unrolled: 4-line block ×3, first 2 shown]
	;;#ASMSTART
	v_dot2_f32_f16 v1, v7, v15, v1
	;;#ASMEND
	ds_read_b128 v[4:7], v100 offset:96
	ds_read_b128 v[8:11], v2 offset:4368
	;; [unrolled: 1-line block ×3, first 2 shown]
	s_waitcnt lgkmcnt(1)
	;;#ASMSTART
	v_dot2_f32_f16 v0, v4, v8, v0
	;;#ASMEND
	s_nop 0
	;;#ASMSTART
	v_dot2_f32_f16 v0, v5, v9, v0
	;;#ASMEND
	v_add_u32_e32 v2, s48, v88
	;;#ASMSTART
	v_dot2_f32_f16 v0, v6, v10, v0
	;;#ASMEND
	s_nop 0
	;;#ASMSTART
	v_dot2_f32_f16 v0, v7, v11, v0
	;;#ASMEND
	s_waitcnt lgkmcnt(0)
	;;#ASMSTART
	v_dot2_f32_f16 v1, v4, v12, v1
	;;#ASMEND
	s_nop 0
	;;#ASMSTART
	v_dot2_f32_f16 v1, v5, v13, v1
	;;#ASMEND
	s_nop 0
	;; [unrolled: 4-line block ×3, first 2 shown]
	;;#ASMSTART
	v_dot2_f32_f16 v1, v7, v15, v1
	;;#ASMEND
	s_and_saveexec_b64 s[12:13], s[8:9]
	s_cbranch_execz .LBB59_63
; %bb.57:
	s_and_b64 vcc, exec, s[10:11]
	s_cbranch_vccnz .LBB59_61
; %bb.58:
	v_mul_hi_u32 v3, s36, v91
	v_add_u32_e32 v3, v91, v3
	v_lshrrev_b32_e32 v3, s37, v3
	v_mul_lo_u32 v3, v3, s38
	v_sub_u32_e32 v3, v91, v3
	v_mad_u64_u32 v[4:5], s[14:15], v3, s49, v[2:3]
	v_ashrrev_i32_e32 v5, 31, v4
	v_lshl_add_u64 v[4:5], v[4:5], 1, s[40:41]
	flat_load_ushort v3, v[4:5]
	s_waitcnt vmcnt(0) lgkmcnt(0)
	v_cvt_f32_f16_e32 v3, v3
	v_mul_f32_e32 v3, v97, v3
	s_branch .LBB59_62
.LBB59_59:
	s_mov_b64 s[8:9], 0xd0
	v_mov_b32_e32 v14, 0
	v_lshl_add_u64 v[4:5], v[4:5], 0, s[8:9]
	v_mov_b32_e32 v3, s15
	v_mov_b32_e32 v15, v14
	;; [unrolled: 1-line block ×3, first 2 shown]
	v_cndmask_b32_e32 v5, v3, v5, vcc
	v_mov_b32_e32 v3, 0
	scratch_store_dword off, v14, off
	scratch_store_dwordx3 off, v[14:16], off offset:4
	v_cndmask_b32_e32 v4, v3, v4, vcc
	flat_load_dwordx4 v[14:17], v[4:5]
	s_waitcnt vmcnt(0) lgkmcnt(0)
	ds_write_b128 v10, v[14:17]
	s_or_b64 exec, exec, s[18:19]
	s_and_saveexec_b64 s[8:9], s[10:11]
	s_cbranch_execz .LBB59_54
.LBB59_60:
	v_mov_b32_e32 v14, 0
	v_mov_b32_e32 v63, v14
	v_lshl_add_u64 v[4:5], v[6:7], 0, v[62:63]
	s_mov_b64 s[10:11], 0xb0
	v_lshl_add_u64 v[4:5], v[4:5], 0, s[10:11]
	v_mov_b32_e32 v3, s15
	v_mov_b32_e32 v15, v14
	;; [unrolled: 1-line block ×3, first 2 shown]
	v_cndmask_b32_e64 v5, v3, v5, s[4:5]
	v_mov_b32_e32 v3, 0
	scratch_store_dword off, v14, off
	scratch_store_dwordx3 off, v[14:16], off offset:4
	v_cndmask_b32_e64 v4, v3, v4, s[4:5]
	flat_load_dwordx4 v[4:7], v[4:5]
	s_waitcnt vmcnt(0) lgkmcnt(0)
	ds_write_b128 v11, v[4:7]
	s_or_b64 exec, exec, s[8:9]
	s_and_saveexec_b64 s[8:9], s[12:13]
	s_cbranch_execnz .LBB59_55
	s_branch .LBB59_56
.LBB59_61:
	v_mov_b32_e32 v3, 0
.LBB59_62:
	v_add_f32_e32 v0, v0, v3
	v_add_f32_e32 v3, 0x40051340, v0
	v_max_f32_e32 v4, v58, v58
	v_max_f32_e32 v3, v4, v3
.LBB59_63:
	s_or_b64 exec, exec, s[12:13]
	v_mbcnt_hi_u32_b32 v74, -1, v99
	v_and_b32_e32 v4, 0x60, v74
	v_add_u32_e32 v75, 32, v4
	v_xor_b32_e32 v76, 16, v74
	v_cmp_lt_i32_e32 vcc, v76, v75
	v_xor_b32_e32 v77, 8, v74
	v_xor_b32_e32 v78, 4, v74
	v_cndmask_b32_e32 v4, v74, v76, vcc
	v_lshlrev_b32_e32 v7, 2, v4
	ds_bpermute_b32 v4, v7, v3
	v_cmp_lt_i32_e32 vcc, v77, v75
	v_max_f32_e32 v3, v3, v3
	v_xor_b32_e32 v79, 2, v74
	v_cndmask_b32_e32 v5, v74, v77, vcc
	s_waitcnt lgkmcnt(0)
	v_max_f32_e32 v4, v4, v4
	v_lshlrev_b32_e32 v8, 2, v5
	v_max_f32_e32 v3, v3, v4
	ds_bpermute_b32 v5, v8, v3
	v_cmp_lt_i32_e32 vcc, v78, v75
	v_xor_b32_e32 v80, 1, v74
	s_waitcnt lgkmcnt(0)
	v_max_f32_e32 v5, v5, v5
	v_cndmask_b32_e32 v4, v74, v78, vcc
	v_lshlrev_b32_e32 v4, 2, v4
	v_max_f32_e32 v3, v3, v5
	ds_bpermute_b32 v6, v4, v3
	v_cmp_lt_i32_e32 vcc, v79, v75
	s_waitcnt lgkmcnt(0)
	v_max_f32_e32 v6, v6, v6
	v_cndmask_b32_e32 v5, v74, v79, vcc
	v_lshlrev_b32_e32 v5, 2, v5
	v_max_f32_e32 v3, v3, v6
	ds_bpermute_b32 v9, v5, v3
	v_cmp_lt_i32_e32 vcc, v80, v75
	s_waitcnt lgkmcnt(0)
	v_max_f32_e32 v9, v9, v9
	v_cndmask_b32_e32 v6, v74, v80, vcc
	v_lshlrev_b32_e32 v6, 2, v6
	v_max_f32_e32 v3, v3, v9
	ds_bpermute_b32 v9, v6, v3
	s_waitcnt lgkmcnt(0)
	v_max_f32_e32 v9, v9, v9
	v_max_f32_e32 v64, v3, v9
	v_mov_b32_e32 v3, v59
	s_and_saveexec_b64 s[12:13], s[8:9]
	s_cbranch_execz .LBB59_68
; %bb.64:
	s_and_b64 vcc, exec, s[10:11]
	s_cbranch_vccnz .LBB59_66
; %bb.65:
	v_or_b32_e32 v3, 1, v91
	v_mul_hi_u32 v9, s36, v3
	v_add_u32_e32 v9, v3, v9
	v_lshrrev_b32_e32 v9, s37, v9
	v_mul_lo_u32 v9, v9, s38
	v_sub_u32_e32 v3, v3, v9
	v_mad_u64_u32 v[2:3], s[8:9], v3, s49, v[2:3]
	v_ashrrev_i32_e32 v3, 31, v2
	v_lshl_add_u64 v[2:3], v[2:3], 1, s[40:41]
	flat_load_ushort v2, v[2:3]
	s_waitcnt vmcnt(0) lgkmcnt(0)
	v_cvt_f32_f16_e32 v2, v2
	v_mul_f32_e32 v2, v97, v2
	s_branch .LBB59_67
.LBB59_66:
	v_mov_b32_e32 v2, 0
.LBB59_67:
	v_add_f32_e32 v1, v1, v2
	v_add_f32_e32 v2, 0x40051340, v1
	v_max_f32_e32 v3, v59, v59
	v_max_f32_e32 v3, v3, v2
.LBB59_68:
	s_or_b64 exec, exec, s[12:13]
	ds_bpermute_b32 v2, v7, v3
	v_max_f32_e32 v3, v3, v3
	v_sub_f32_e32 v0, v0, v64
	s_mov_b32 s8, 0x3fb8aa3b
	s_mov_b32 s9, 0xc2ce8ed0
	s_waitcnt lgkmcnt(0)
	v_max_f32_e32 v2, v2, v2
	v_max_f32_e32 v2, v3, v2
	ds_bpermute_b32 v3, v8, v2
	s_mov_b32 s10, 0x42b17218
	v_cmp_ngt_f32_e32 vcc, s9, v0
	s_waitcnt lgkmcnt(0)
	s_barrier
	v_max_f32_e32 v3, v3, v3
	v_max_f32_e32 v2, v2, v3
	ds_bpermute_b32 v3, v4, v2
	v_mul_f32_e32 v4, 0x3fb8aa3b, v0
	v_fma_f32 v7, v0, s8, -v4
	v_rndne_f32_e32 v8, v4
	v_fmac_f32_e32 v7, 0x32a5705f, v0
	s_waitcnt lgkmcnt(0)
	v_max_f32_e32 v3, v3, v3
	v_max_f32_e32 v2, v2, v3
	ds_bpermute_b32 v3, v5, v2
	v_sub_f32_e32 v4, v4, v8
	v_add_f32_e32 v4, v4, v7
	v_cvt_i32_f32_e32 v5, v8
	v_exp_f32_e32 v4, v4
	s_waitcnt lgkmcnt(0)
	v_max_f32_e32 v3, v3, v3
	v_max_f32_e32 v2, v2, v3
	ds_bpermute_b32 v3, v6, v2
	v_ldexp_f32 v4, v4, v5
	v_mov_b32_e32 v6, 0x7f800000
	v_cndmask_b32_e32 v4, 0, v4, vcc
	v_cmp_nlt_f32_e32 vcc, s10, v0
	s_waitcnt lgkmcnt(0)
	v_max_f32_e32 v3, v3, v3
	v_max_f32_e32 v65, v2, v3
	v_sub_f32_e32 v1, v1, v65
	v_mul_f32_e32 v2, 0x3fb8aa3b, v1
	v_cndmask_b32_e32 v0, v6, v4, vcc
	v_fma_f32 v3, v1, s8, -v2
	v_rndne_f32_e32 v4, v2
	v_fmac_f32_e32 v3, 0x32a5705f, v1
	v_sub_f32_e32 v2, v2, v4
	v_add_f32_e32 v2, v2, v3
	v_exp_f32_e32 v2, v2
	v_cvt_i32_f32_e32 v3, v4
	v_cmp_ngt_f32_e64 s[8:9], s9, v1
	v_cmp_gt_u32_e32 vcc, s20, v88
	v_ldexp_f32 v2, v2, v3
	v_cndmask_b32_e64 v2, 0, v2, s[8:9]
	v_cmp_nlt_f32_e64 s[8:9], s10, v1
	v_cndmask_b32_e32 v66, 0, v0, vcc
	v_cvt_f16_f32_e32 v0, v66
	v_cndmask_b32_e64 v1, v6, v2, s[8:9]
	v_cndmask_b32_e32 v67, 0, v1, vcc
	v_cvt_f16_f32_e32 v1, v67
	v_mov_b32_e32 v2, 0x1e40
	v_lshl_add_u32 v81, v55, 7, v2
	v_lshl_add_u32 v2, v57, 1, v81
	v_pack_b32_f16 v0, v0, v1
	ds_write_b32 v2, v0
	v_mul_u32_u24_e32 v0, 0xe0, v72
	s_mul_hi_i32 s9, s48, s2
	s_mul_i32 s8, s48, s2
	v_lshl_or_b32 v0, v56, 2, v0
	v_mul_lo_u32 v56, s2, v72
	s_lshl_b64 s[8:9], s[8:9], 2
	v_cmp_gt_u32_e32 vcc, 16, v72
	s_mov_b64 s[16:17], src_private_base
	v_add_u32_e32 v82, 0xc0, v0
	v_ashrrev_i32_e32 v57, 31, v56
	v_lshl_add_u64 v[4:5], v[52:53], 0, s[8:9]
	s_and_saveexec_b64 s[8:9], vcc
	s_cbranch_execz .LBB59_70
; %bb.69:
	v_mov_b32_e32 v0, 0
	v_mov_b32_e32 v1, v0
	v_mov_b32_e32 v2, v0
	scratch_store_dwordx3 off, v[0:2], off offset:4
	v_mov_b32_e32 v63, v0
	scratch_store_dword off, v0, off
	v_lshl_add_u64 v[2:3], v[56:57], 2, v[4:5]
	v_lshl_add_u64 v[0:1], v[2:3], 0, v[62:63]
	s_mov_b64 s[10:11], 0xc0
	v_lshl_add_u64 v[0:1], v[0:1], 0, s[10:11]
	v_mov_b32_e32 v2, s17
	v_cndmask_b32_e64 v1, v2, v1, s[4:5]
	v_mov_b32_e32 v2, 0
	v_cndmask_b32_e64 v0, v2, v0, s[4:5]
	flat_load_dwordx4 v[0:3], v[0:1]
	s_waitcnt vmcnt(0) lgkmcnt(0)
	ds_write_b128 v82, v[0:3]
.LBB59_70:
	s_or_b64 exec, exec, s[8:9]
	v_mul_u32_u24_e32 v0, 0xe0, v73
	s_movk_i32 s8, 0x80
	v_mul_lo_u32 v68, s2, v73
	v_cmp_gt_u32_e64 s[4:5], 16, v73
	v_add3_u32 v83, v0, v60, s8
	v_ashrrev_i32_e32 v69, 31, v68
	s_and_saveexec_b64 s[8:9], s[4:5]
	s_cbranch_execz .LBB59_72
; %bb.71:
	v_mov_b32_e32 v0, 0
	v_mov_b32_e32 v1, v0
	;; [unrolled: 1-line block ×3, first 2 shown]
	scratch_store_dwordx3 off, v[0:2], off offset:4
	v_mov_b32_e32 v61, v0
	scratch_store_dword off, v0, off
	v_lshl_add_u64 v[2:3], v[68:69], 2, v[4:5]
	v_lshl_add_u64 v[0:1], v[2:3], 0, v[60:61]
	s_mov_b64 s[10:11], 0x80
	v_lshl_add_u64 v[0:1], v[0:1], 0, s[10:11]
	v_mov_b32_e32 v2, s17
	v_cndmask_b32_e64 v1, v2, v1, s[6:7]
	v_mov_b32_e32 v2, 0
	v_cndmask_b32_e64 v0, v2, v0, s[6:7]
	flat_load_dwordx4 v[0:3], v[0:1]
	s_waitcnt vmcnt(0) lgkmcnt(0)
	ds_write_b128 v83, v[0:3]
.LBB59_72:
	s_or_b64 exec, exec, s[8:9]
	v_lshl_add_u32 v84, v55, 2, v98
	v_lshlrev_b32_e32 v54, 2, v54
	s_movk_i32 s8, 0xe0
	v_mul_lo_u32 v70, s2, v84
	v_cmp_gt_u32_e64 s[6:7], 16, v84
	s_mov_b64 s[18:19], src_private_base
	v_mov_b32_e32 v0, 0
	v_mad_u32_u24 v85, v84, s8, v54
	v_ashrrev_i32_e32 v71, 31, v70
	s_and_saveexec_b64 s[10:11], s[6:7]
	s_cbranch_execz .LBB59_74
; %bb.73:
	v_mov_b32_e32 v1, v0
	v_mov_b32_e32 v2, v0
	scratch_store_dwordx3 off, v[0:2], off offset:4
	v_mov_b32_e32 v55, v0
	scratch_store_dword off, v0, off
	v_lshl_add_u64 v[2:3], v[70:71], 2, v[4:5]
	v_lshl_add_u64 v[0:1], v[2:3], 0, v[54:55]
	v_mov_b32_e32 v2, s19
	v_cmp_gt_i32_e64 s[8:9], s20, v84
	s_nop 1
	v_cndmask_b32_e64 v1, v2, v1, s[8:9]
	v_mov_b32_e32 v2, 0
	v_cndmask_b32_e64 v0, v2, v0, s[8:9]
	flat_load_dwordx4 v[0:3], v[0:1]
	s_waitcnt vmcnt(0) lgkmcnt(0)
	ds_write_b128 v85, v[0:3]
.LBB59_74:
	s_or_b64 exec, exec, s[10:11]
	v_sub_f32_e32 v0, v58, v64
	s_mov_b32 s8, 0x3fb8aa3b
	v_mul_f32_e32 v1, 0x3fb8aa3b, v0
	v_fma_f32 v2, v0, s8, -v1
	v_rndne_f32_e32 v3, v1
	v_fmac_f32_e32 v2, 0x32a5705f, v0
	v_sub_f32_e32 v1, v1, v3
	v_add_f32_e32 v1, v1, v2
	v_exp_f32_e32 v1, v1
	v_cvt_i32_f32_e32 v2, v3
	s_mov_b32 s10, 0xc2ce8ed0
	s_mov_b32 s11, 0x42b17218
	v_cmp_ngt_f32_e64 s[12:13], s10, v0
	v_ldexp_f32 v55, v1, v2
	v_sub_f32_e32 v1, v59, v65
	v_mul_f32_e32 v2, 0x3fb8aa3b, v1
	v_fma_f32 v3, v1, s8, -v2
	v_rndne_f32_e32 v4, v2
	v_fmac_f32_e32 v3, 0x32a5705f, v1
	v_sub_f32_e32 v2, v2, v4
	v_add_f32_e32 v2, v2, v3
	v_exp_f32_e32 v2, v2
	v_cvt_i32_f32_e32 v3, v4
	v_cmp_nlt_f32_e64 s[8:9], s11, v0
	v_cmp_ngt_f32_e64 s[14:15], s10, v1
	v_cmp_nlt_f32_e64 s[10:11], s11, v1
	v_ldexp_f32 v58, v2, v3
	s_waitcnt lgkmcnt(0)
	s_barrier
	ds_read2_b64 v[44:47], v92 offset1:28
	ds_read_b128 v[36:39], v81
	ds_read_b128 v[16:19], v81 offset:16
	ds_read_b128 v[4:7], v81 offset:32
	;; [unrolled: 1-line block ×3, first 2 shown]
	ds_read2_b64 v[40:43], v92 offset0:56 offset1:84
	ds_read2_b64 v[32:35], v92 offset0:112 offset1:140
	;; [unrolled: 1-line block ×4, first 2 shown]
	v_add_u32_e32 v8, 0x800, v92
	ds_read2_b64 v[20:23], v8 offset0:24 offset1:52
	ds_read2_b64 v[12:15], v8 offset0:80 offset1:108
	ds_read2_b64 v[8:11], v8 offset0:136 offset1:164
	s_or_b32 s16, s48, 16
	s_mul_hi_i32 s27, s16, s2
	s_mul_i32 s26, s16, s2
	s_lshl_b64 s[26:27], s[26:27], 2
	v_lshl_add_u64 v[52:53], v[52:53], 0, s[26:27]
	s_add_i32 s2, s20, -16
	s_waitcnt lgkmcnt(0)
	s_barrier
	s_and_saveexec_b64 s[20:21], vcc
	s_cbranch_execz .LBB59_76
; %bb.75:
	v_mov_b32_e32 v98, 0
	v_lshl_add_u64 v[56:57], v[56:57], 2, v[52:53]
	v_mov_b32_e32 v63, v98
	v_lshl_add_u64 v[56:57], v[56:57], 0, v[62:63]
	s_mov_b64 s[26:27], 0xc0
	v_lshl_add_u64 v[56:57], v[56:57], 0, s[26:27]
	v_mov_b32_e32 v59, s17
	v_cmp_gt_i32_e32 vcc, s2, v72
	v_mov_b32_e32 v99, v98
	v_mov_b32_e32 v100, v98
	v_cndmask_b32_e32 v57, v59, v57, vcc
	v_mov_b32_e32 v59, 0
	scratch_store_dword off, v98, off
	scratch_store_dwordx3 off, v[98:100], off offset:4
	v_cndmask_b32_e32 v56, v59, v56, vcc
	flat_load_dwordx4 v[98:101], v[56:57]
	s_waitcnt vmcnt(0) lgkmcnt(0)
	ds_write_b128 v82, v[98:101]
.LBB59_76:
	s_or_b64 exec, exec, s[20:21]
	v_cndmask_b32_e64 v55, 0, v55, s[12:13]
	v_mov_b32_e32 v56, 0x7f800000
	v_cndmask_b32_e64 v58, 0, v58, s[14:15]
	s_and_saveexec_b64 s[12:13], s[4:5]
	s_cbranch_execz .LBB59_78
; %bb.77:
	v_mov_b32_e32 v98, 0
	v_lshl_add_u64 v[62:63], v[68:69], 2, v[52:53]
	v_mov_b32_e32 v61, v98
	v_lshl_add_u64 v[60:61], v[62:63], 0, v[60:61]
	s_mov_b64 s[4:5], 0x80
	v_lshl_add_u64 v[60:61], v[60:61], 0, s[4:5]
	v_mov_b32_e32 v57, s17
	v_cmp_gt_i32_e32 vcc, s2, v73
	v_mov_b32_e32 v99, v98
	v_mov_b32_e32 v100, v98
	v_cndmask_b32_e32 v61, v57, v61, vcc
	v_mov_b32_e32 v57, 0
	scratch_store_dword off, v98, off
	scratch_store_dwordx3 off, v[98:100], off offset:4
	v_cndmask_b32_e32 v60, v57, v60, vcc
	flat_load_dwordx4 v[60:63], v[60:61]
	s_waitcnt vmcnt(0) lgkmcnt(0)
	ds_write_b128 v83, v[60:63]
.LBB59_78:
	s_or_b64 exec, exec, s[12:13]
	v_cndmask_b32_e64 v57, v56, v55, s[8:9]
	v_cndmask_b32_e64 v56, v56, v58, s[10:11]
	s_and_saveexec_b64 s[4:5], s[6:7]
	s_cbranch_execz .LBB59_80
; %bb.79:
	v_mov_b32_e32 v58, 0
	v_lshl_add_u64 v[52:53], v[70:71], 2, v[52:53]
	v_mov_b32_e32 v55, v58
	v_lshl_add_u64 v[52:53], v[52:53], 0, v[54:55]
	v_mov_b32_e32 v54, s19
	v_cmp_gt_i32_e32 vcc, s2, v84
	v_mov_b32_e32 v59, v58
	v_mov_b32_e32 v60, v58
	v_cndmask_b32_e32 v53, v54, v53, vcc
	v_mov_b32_e32 v54, 0
	scratch_store_dword off, v58, off
	scratch_store_dwordx3 off, v[58:60], off offset:4
	v_cndmask_b32_e32 v52, v54, v52, vcc
	flat_load_dwordx4 v[52:55], v[52:53]
	s_waitcnt vmcnt(0) lgkmcnt(0)
	ds_write_b128 v85, v[52:55]
.LBB59_80:
	s_or_b64 exec, exec, s[4:5]
	v_cvt_f16_f32_e32 v52, v56
	v_cvt_f16_f32_e32 v53, v57
	v_pk_mul_f16 v54, v44, v36 op_sel_hi:[1,0]
	v_pk_mul_f16 v44, v44, v36 op_sel:[0,1]
	v_pk_mul_f16 v55, v52, v94 op_sel_hi:[0,1]
	v_pk_fma_f16 v44, v52, v93, v44 op_sel_hi:[0,1,1]
	v_pk_mul_f16 v52, v45, v36 op_sel_hi:[1,0]
	v_pk_fma_f16 v54, v53, v95, v54 op_sel_hi:[0,1,1]
	v_pk_fma_f16 v52, v53, v96, v52 op_sel_hi:[0,1,1]
	v_pk_fma_f16 v36, v45, v36, v55 op_sel:[0,1,0]
	v_pk_fma_f16 v45, v46, v37, v54 op_sel_hi:[1,0,1]
	v_pk_fma_f16 v44, v46, v37, v44 op_sel:[0,1,0]
	;; [unrolled: 2-line block ×31, first 2 shown]
	s_waitcnt lgkmcnt(0)
	s_barrier
	ds_read2_b64 v[0:3], v92 offset1:28
	ds_read_b128 v[4:7], v81 offset:64
	ds_read_b128 v[8:11], v81 offset:80
	;; [unrolled: 1-line block ×4, first 2 shown]
	v_fmac_f32_e32 v66, v50, v57
	v_fmac_f32_e32 v67, v51, v56
	v_mov_b64_e32 v[58:59], v[64:65]
	s_waitcnt lgkmcnt(3)
	v_pk_fma_f16 v24, v0, v4, v20 op_sel_hi:[1,0,1]
	v_pk_fma_f16 v0, v0, v4, v21 op_sel:[0,1,0]
	v_pk_fma_f16 v25, v1, v4, v22 op_sel_hi:[1,0,1]
	v_pk_fma_f16 v1, v1, v4, v23 op_sel:[0,1,0]
	ds_read2_b64 v[20:23], v92 offset0:56 offset1:84
	v_pk_fma_f16 v4, v2, v5, v24 op_sel_hi:[1,0,1]
	v_pk_fma_f16 v0, v2, v5, v0 op_sel:[0,1,0]
	v_pk_fma_f16 v2, v3, v5, v25 op_sel_hi:[1,0,1]
	v_pk_fma_f16 v1, v3, v5, v1 op_sel:[0,1,0]
	s_waitcnt lgkmcnt(0)
	v_pk_fma_f16 v4, v20, v6, v4 op_sel_hi:[1,0,1]
	v_pk_fma_f16 v5, v20, v6, v0 op_sel:[0,1,0]
	v_pk_fma_f16 v20, v21, v6, v2 op_sel_hi:[1,0,1]
	v_pk_fma_f16 v6, v21, v6, v1 op_sel:[0,1,0]
	ds_read2_b64 v[0:3], v92 offset0:112 offset1:140
	v_pk_fma_f16 v4, v22, v7, v4 op_sel_hi:[1,0,1]
	v_pk_fma_f16 v5, v22, v7, v5 op_sel:[0,1,0]
	v_pk_fma_f16 v20, v23, v7, v20 op_sel_hi:[1,0,1]
	v_pk_fma_f16 v6, v23, v7, v6 op_sel:[0,1,0]
	;; [unrolled: 10-line block ×4, first 2 shown]
	v_add_u32_e32 v10, 0x800, v92
	s_waitcnt lgkmcnt(0)
	v_pk_fma_f16 v8, v0, v12, v8 op_sel_hi:[1,0,1]
	v_pk_fma_f16 v0, v0, v12, v4 op_sel:[0,1,0]
	v_pk_fma_f16 v9, v1, v12, v6 op_sel_hi:[1,0,1]
	v_pk_fma_f16 v1, v1, v12, v5 op_sel:[0,1,0]
	ds_read2_b64 v[4:7], v10 offset0:24 offset1:52
	v_pk_fma_f16 v8, v2, v13, v8 op_sel_hi:[1,0,1]
	v_pk_fma_f16 v0, v2, v13, v0 op_sel:[0,1,0]
	v_pk_fma_f16 v2, v3, v13, v9 op_sel_hi:[1,0,1]
	v_pk_fma_f16 v1, v3, v13, v1 op_sel:[0,1,0]
	s_waitcnt lgkmcnt(0)
	v_pk_fma_f16 v8, v4, v14, v8 op_sel_hi:[1,0,1]
	v_pk_fma_f16 v4, v4, v14, v0 op_sel:[0,1,0]
	v_pk_fma_f16 v9, v5, v14, v2 op_sel_hi:[1,0,1]
	v_pk_fma_f16 v5, v5, v14, v1 op_sel:[0,1,0]
	ds_read2_b64 v[0:3], v10 offset0:80 offset1:108
	v_pk_fma_f16 v8, v6, v15, v8 op_sel_hi:[1,0,1]
	v_pk_fma_f16 v4, v6, v15, v4 op_sel:[0,1,0]
	v_pk_fma_f16 v6, v7, v15, v9 op_sel_hi:[1,0,1]
	v_pk_fma_f16 v5, v7, v15, v5 op_sel:[0,1,0]
	;; [unrolled: 10-line block ×3, first 2 shown]
	s_waitcnt lgkmcnt(0)
	v_pk_fma_f16 v3, v4, v18, v8 op_sel_hi:[1,0,1]
	v_pk_fma_f16 v0, v4, v18, v0 op_sel:[0,1,0]
	v_pk_fma_f16 v2, v5, v18, v2 op_sel_hi:[1,0,1]
	v_pk_fma_f16 v1, v5, v18, v1 op_sel:[0,1,0]
	;; [unrolled: 2-line block ×4, first 2 shown]
	s_barrier
.LBB59_81:
	v_cmp_lt_i32_e32 vcc, v76, v75
	s_cmp_eq_u64 s[24:25], 0
	s_cselect_b64 s[4:5], -1, 0
	v_cndmask_b32_e32 v0, v74, v76, vcc
	v_lshlrev_b32_e32 v1, 2, v0
	ds_bpermute_b32 v0, v1, v66
	ds_bpermute_b32 v1, v1, v67
	v_cmp_lt_i32_e32 vcc, v77, v75
	s_cmp_lg_u32 s3, 0
	s_cselect_b64 s[6:7], -1, 0
	v_cndmask_b32_e32 v2, v74, v77, vcc
	v_lshlrev_b32_e32 v3, 2, v2
	s_waitcnt lgkmcnt(0)
	v_pk_add_f32 v[0:1], v[66:67], v[0:1]
	ds_bpermute_b32 v2, v3, v0
	ds_bpermute_b32 v3, v3, v1
	v_cmp_lt_i32_e32 vcc, v78, v75
	s_or_b64 s[4:5], s[6:7], s[4:5]
	s_waitcnt lgkmcnt(0)
	v_pk_add_f32 v[0:1], v[0:1], v[2:3]
	v_cndmask_b32_e32 v4, v74, v78, vcc
	v_lshlrev_b32_e32 v4, 2, v4
	ds_bpermute_b32 v2, v4, v0
	ds_bpermute_b32 v3, v4, v1
	v_cmp_lt_i32_e32 vcc, v79, v75
	s_waitcnt lgkmcnt(0)
	v_pk_add_f32 v[0:1], v[0:1], v[2:3]
	v_cndmask_b32_e32 v4, v74, v79, vcc
	v_lshlrev_b32_e32 v4, 2, v4
	ds_bpermute_b32 v2, v4, v0
	ds_bpermute_b32 v3, v4, v1
	v_cmp_lt_i32_e32 vcc, v80, v75
	s_waitcnt lgkmcnt(0)
	v_pk_add_f32 v[0:1], v[0:1], v[2:3]
	v_cndmask_b32_e32 v4, v74, v80, vcc
	v_lshlrev_b32_e32 v4, 2, v4
	ds_bpermute_b32 v2, v4, v0
	ds_bpermute_b32 v3, v4, v1
	s_and_b64 vcc, exec, s[4:5]
	s_waitcnt lgkmcnt(0)
	v_pk_add_f32 v[0:1], v[0:1], v[2:3]
	s_cbranch_vccnz .LBB59_83
; %bb.82:
	s_lshl_b64 s[4:5], s[34:35], 2
	s_add_u32 s4, s24, s4
	s_addc_u32 s5, s25, s5
	v_mov_b32_e32 v2, 0
	global_load_dword v2, v2, s[4:5]
	v_max_f32_e32 v3, v59, v59
	v_max_f32_e32 v4, v58, v58
	s_mov_b32 s2, 0x3fb8aa3b
	s_mov_b32 s4, 0xc2ce8ed0
	;; [unrolled: 1-line block ×3, first 2 shown]
	v_mov_b32_e32 v8, 0x7f800000
	s_waitcnt vmcnt(0)
	v_max_f32_e32 v6, v2, v2
	v_max_f32_e32 v5, v3, v6
	;; [unrolled: 1-line block ×3, first 2 shown]
	v_pk_add_f32 v[6:7], v[58:59], v[4:5] neg_lo:[0,1] neg_hi:[0,1]
	v_pk_add_f32 v[2:3], v[2:3], v[4:5] op_sel_hi:[0,1] neg_lo:[0,1] neg_hi:[0,1]
	v_mul_f32_e32 v9, 0x3fb8aa3b, v7
	v_mul_f32_e32 v10, 0x3fb8aa3b, v6
	v_fma_f32 v13, v7, s2, -v9
	v_rndne_f32_e32 v14, v9
	v_mul_f32_e32 v11, 0x3fb8aa3b, v3
	v_fma_f32 v15, v6, s2, -v10
	v_rndne_f32_e32 v16, v10
	v_fmac_f32_e32 v13, 0x32a5705f, v7
	v_sub_f32_e32 v9, v9, v14
	v_mul_f32_e32 v12, 0x3fb8aa3b, v2
	v_fma_f32 v17, v3, s2, -v11
	v_rndne_f32_e32 v18, v11
	v_fmac_f32_e32 v15, 0x32a5705f, v6
	v_sub_f32_e32 v10, v10, v16
	v_add_f32_e32 v9, v9, v13
	v_fma_f32 v19, v2, s2, -v12
	v_rndne_f32_e32 v20, v12
	v_cvt_i32_f32_e32 v14, v14
	v_fmac_f32_e32 v17, 0x32a5705f, v3
	v_sub_f32_e32 v11, v11, v18
	v_add_f32_e32 v10, v10, v15
	v_exp_f32_e32 v9, v9
	v_cvt_i32_f32_e32 v16, v16
	v_fmac_f32_e32 v19, 0x32a5705f, v2
	v_sub_f32_e32 v12, v12, v20
	v_add_f32_e32 v11, v11, v17
	v_exp_f32_e32 v10, v10
	v_cvt_i32_f32_e32 v18, v18
	v_add_f32_e32 v12, v12, v19
	v_exp_f32_e32 v11, v11
	v_cvt_i32_f32_e32 v20, v20
	v_exp_f32_e32 v12, v12
	v_ldexp_f32 v9, v9, v14
	v_cmp_ngt_f32_e32 vcc, s4, v7
	v_ldexp_f32 v10, v10, v16
	v_ldexp_f32 v11, v11, v18
	v_cndmask_b32_e32 v9, 0, v9, vcc
	v_cmp_ngt_f32_e32 vcc, s4, v6
	v_ldexp_f32 v12, v12, v20
	v_mov_b64_e32 v[58:59], v[4:5]
	v_cndmask_b32_e32 v10, 0, v10, vcc
	v_cmp_ngt_f32_e32 vcc, s4, v3
	s_nop 1
	v_cndmask_b32_e32 v11, 0, v11, vcc
	v_cmp_ngt_f32_e32 vcc, s4, v2
	s_nop 1
	v_cndmask_b32_e32 v12, 0, v12, vcc
	v_cmp_nlt_f32_e32 vcc, s5, v7
	s_nop 1
	v_cndmask_b32_e32 v7, v8, v9, vcc
	v_cmp_nlt_f32_e32 vcc, s5, v6
	;; [unrolled: 3-line block ×3, first 2 shown]
	v_cvt_f16_f32_e32 v9, v6
	v_pk_mul_f16 v95, v9, v95 op_sel_hi:[0,1]
	v_cndmask_b32_e32 v3, v8, v11, vcc
	v_cmp_nlt_f32_e32 vcc, s5, v2
	v_pk_mul_f16 v96, v9, v96 op_sel_hi:[0,1]
	s_nop 0
	v_cndmask_b32_e32 v2, v8, v12, vcc
	v_cvt_f16_f32_e32 v8, v7
	v_pk_fma_f32 v[0:1], v[0:1], v[6:7], v[2:3]
	v_pk_mul_f16 v93, v8, v93 op_sel_hi:[0,1]
	v_pk_mul_f16 v94, v8, v94 op_sel_hi:[0,1]
.LBB59_83:
	v_cmp_gt_i32_e32 vcc, s38, v91
	s_and_saveexec_b64 s[4:5], vcc
	s_cbranch_execz .LBB59_97
; %bb.84:
	s_load_dword s2, s[0:1], 0xd4
	v_mov_b32_e32 v4, 1.0
	s_waitcnt lgkmcnt(0)
	s_cmp_lg_u32 s2, 1
	s_cselect_b64 s[4:5], -1, 0
	s_cmp_eq_u32 s2, 1
	s_cselect_b64 s[0:1], -1, 0
	s_and_b64 vcc, exec, s[4:5]
	s_cbranch_vccnz .LBB59_86
; %bb.85:
	v_div_scale_f32 v2, s[6:7], v0, v0, 1.0
	v_rcp_f32_e32 v3, v2
	v_div_scale_f32 v4, vcc, 1.0, v0, 1.0
	v_fma_f32 v5, -v2, v3, 1.0
	v_fmac_f32_e32 v3, v5, v3
	v_mul_f32_e32 v5, v4, v3
	v_fma_f32 v6, -v2, v5, v4
	v_fmac_f32_e32 v5, v6, v3
	v_fma_f32 v2, -v2, v5, v4
	v_div_fmas_f32 v2, v2, v3, v5
	v_div_fixup_f32 v4, v2, v0, 1.0
.LBB59_86:
	s_mul_i32 s8, s33, s38
	s_add_i32 s8, s8, s43
	v_add_u32_e32 v2, s8, v90
	v_mul_lo_u32 v2, v2, s39
	v_add_u32_e32 v2, s34, v2
	v_mul_lo_u32 v2, s2, v2
	v_add_u32_e32 v2, s3, v2
	s_and_saveexec_b64 s[6:7], s[22:23]
	s_cbranch_execz .LBB59_88
; %bb.87:
	v_cvt_f32_f16_sdwa v9, v95 dst_sel:DWORD dst_unused:UNUSED_PAD src0_sel:WORD_1
	v_cvt_f32_f16_e32 v8, v95
	v_cvt_f32_f16_sdwa v11, v96 dst_sel:DWORD dst_unused:UNUSED_PAD src0_sel:WORD_1
	v_cvt_f32_f16_e32 v10, v96
	s_movk_i32 s9, 0x70
	v_mad_u64_u32 v[6:7], s[10:11], v2, s9, v[48:49]
	v_mov_b32_e32 v7, 0
	v_lshl_add_u64 v[12:13], v[6:7], 2, s[28:29]
	v_pk_mul_f32 v[6:7], v[4:5], v[8:9] op_sel_hi:[0,1]
	v_pk_mul_f32 v[8:9], v[4:5], v[10:11] op_sel_hi:[0,1]
	global_store_dwordx4 v[12:13], v[6:9], off
.LBB59_88:
	s_or_b64 exec, exec, s[6:7]
	v_cmp_eq_u32_e32 vcc, 0, v88
	s_and_b64 s[4:5], vcc, s[4:5]
	s_and_saveexec_b64 s[6:7], s[4:5]
	s_cbranch_execz .LBB59_90
; %bb.89:
	v_ashrrev_i32_e32 v3, 31, v2
	v_lshl_add_u64 v[2:3], v[2:3], 3, s[30:31]
	v_mov_b32_e32 v4, v58
	v_mov_b32_e32 v5, v0
	global_store_dwordx2 v[2:3], v[4:5], off
.LBB59_90:
	s_or_b64 exec, exec, s[6:7]
	v_cmp_gt_i32_e32 vcc, s38, v89
	s_and_b64 exec, exec, vcc
	s_cbranch_execz .LBB59_97
; %bb.91:
	s_andn2_b64 vcc, exec, s[0:1]
	v_mov_b32_e32 v0, 1.0
	s_cbranch_vccnz .LBB59_93
; %bb.92:
	v_div_scale_f32 v0, s[0:1], v1, v1, 1.0
	v_rcp_f32_e32 v2, v0
	v_div_scale_f32 v3, vcc, 1.0, v1, 1.0
	v_fma_f32 v4, -v0, v2, 1.0
	v_fmac_f32_e32 v2, v4, v2
	v_mul_f32_e32 v4, v3, v2
	v_fma_f32 v5, -v0, v4, v3
	v_fmac_f32_e32 v4, v5, v2
	v_fma_f32 v0, -v0, v4, v3
	v_div_fmas_f32 v0, v0, v2, v4
	v_div_fixup_f32 v0, v0, v1, 1.0
.LBB59_93:
	v_add_u32_e32 v2, s8, v49
	v_mul_lo_u32 v2, v2, s39
	v_add_u32_e32 v2, s34, v2
	v_mul_lo_u32 v2, s2, v2
	v_add_u32_e32 v2, s3, v2
	s_and_saveexec_b64 s[0:1], s[22:23]
	s_cbranch_execz .LBB59_95
; %bb.94:
	v_cvt_f32_f16_sdwa v7, v93 dst_sel:DWORD dst_unused:UNUSED_PAD src0_sel:WORD_1
	v_cvt_f32_f16_e32 v6, v93
	v_cvt_f32_f16_sdwa v9, v94 dst_sel:DWORD dst_unused:UNUSED_PAD src0_sel:WORD_1
	v_cvt_f32_f16_e32 v8, v94
	s_movk_i32 s2, 0x70
	v_mad_u64_u32 v[4:5], s[2:3], v2, s2, v[48:49]
	v_mov_b32_e32 v5, 0
	v_lshl_add_u64 v[10:11], v[4:5], 2, s[28:29]
	v_pk_mul_f32 v[4:5], v[0:1], v[6:7] op_sel_hi:[0,1]
	v_pk_mul_f32 v[6:7], v[0:1], v[8:9] op_sel_hi:[0,1]
	global_store_dwordx4 v[10:11], v[4:7], off
.LBB59_95:
	s_or_b64 exec, exec, s[0:1]
	s_and_b64 exec, exec, s[4:5]
	s_cbranch_execz .LBB59_97
; %bb.96:
	v_ashrrev_i32_e32 v3, 31, v2
	v_lshl_add_u64 v[2:3], v[2:3], 3, s[30:31]
	v_mov_b32_e32 v0, v59
	global_store_dwordx2 v[2:3], v[0:1], off
.LBB59_97:
	s_endpgm
	.section	.rodata,"a",@progbits
	.p2align	6, 0x0
	.amdhsa_kernel _ZL15flash_attn_tileILi112ELi112ELi16ELi1ELb0EEvPKcS1_S1_S1_S1_PKiPfP15HIP_vector_typeIfLj2EEffffjfiS5_IjLj3EEiiiiiiiiiiiliiliiiiil
		.amdhsa_group_segment_fixed_size 8768
		.amdhsa_private_segment_fixed_size 32
		.amdhsa_kernarg_size 464
		.amdhsa_user_sgpr_count 2
		.amdhsa_user_sgpr_dispatch_ptr 0
		.amdhsa_user_sgpr_queue_ptr 0
		.amdhsa_user_sgpr_kernarg_segment_ptr 1
		.amdhsa_user_sgpr_dispatch_id 0
		.amdhsa_user_sgpr_kernarg_preload_length 0
		.amdhsa_user_sgpr_kernarg_preload_offset 0
		.amdhsa_user_sgpr_private_segment_size 0
		.amdhsa_uses_dynamic_stack 0
		.amdhsa_enable_private_segment 1
		.amdhsa_system_sgpr_workgroup_id_x 1
		.amdhsa_system_sgpr_workgroup_id_y 1
		.amdhsa_system_sgpr_workgroup_id_z 1
		.amdhsa_system_sgpr_workgroup_info 0
		.amdhsa_system_vgpr_workitem_id 1
		.amdhsa_next_free_vgpr 122
		.amdhsa_next_free_sgpr 55
		.amdhsa_accum_offset 124
		.amdhsa_reserve_vcc 1
		.amdhsa_float_round_mode_32 0
		.amdhsa_float_round_mode_16_64 0
		.amdhsa_float_denorm_mode_32 3
		.amdhsa_float_denorm_mode_16_64 3
		.amdhsa_dx10_clamp 1
		.amdhsa_ieee_mode 1
		.amdhsa_fp16_overflow 0
		.amdhsa_tg_split 0
		.amdhsa_exception_fp_ieee_invalid_op 0
		.amdhsa_exception_fp_denorm_src 0
		.amdhsa_exception_fp_ieee_div_zero 0
		.amdhsa_exception_fp_ieee_overflow 0
		.amdhsa_exception_fp_ieee_underflow 0
		.amdhsa_exception_fp_ieee_inexact 0
		.amdhsa_exception_int_div_zero 0
	.end_amdhsa_kernel
	.section	.text._ZL15flash_attn_tileILi112ELi112ELi16ELi1ELb0EEvPKcS1_S1_S1_S1_PKiPfP15HIP_vector_typeIfLj2EEffffjfiS5_IjLj3EEiiiiiiiiiiiliiliiiiil,"axG",@progbits,_ZL15flash_attn_tileILi112ELi112ELi16ELi1ELb0EEvPKcS1_S1_S1_S1_PKiPfP15HIP_vector_typeIfLj2EEffffjfiS5_IjLj3EEiiiiiiiiiiiliiliiiiil,comdat
.Lfunc_end59:
	.size	_ZL15flash_attn_tileILi112ELi112ELi16ELi1ELb0EEvPKcS1_S1_S1_S1_PKiPfP15HIP_vector_typeIfLj2EEffffjfiS5_IjLj3EEiiiiiiiiiiiliiliiiiil, .Lfunc_end59-_ZL15flash_attn_tileILi112ELi112ELi16ELi1ELb0EEvPKcS1_S1_S1_S1_PKiPfP15HIP_vector_typeIfLj2EEffffjfiS5_IjLj3EEiiiiiiiiiiiliiliiiiil
                                        ; -- End function
	.section	.AMDGPU.csdata,"",@progbits
; Kernel info:
; codeLenInByte = 14536
; NumSgprs: 61
; NumVgprs: 122
; NumAgprs: 0
; TotalNumVgprs: 122
; ScratchSize: 32
; MemoryBound: 0
; FloatMode: 240
; IeeeMode: 1
; LDSByteSize: 8768 bytes/workgroup (compile time only)
; SGPRBlocks: 7
; VGPRBlocks: 15
; NumSGPRsForWavesPerEU: 61
; NumVGPRsForWavesPerEU: 122
; AccumOffset: 124
; Occupancy: 4
; WaveLimiterHint : 1
; COMPUTE_PGM_RSRC2:SCRATCH_EN: 1
; COMPUTE_PGM_RSRC2:USER_SGPR: 2
; COMPUTE_PGM_RSRC2:TRAP_HANDLER: 0
; COMPUTE_PGM_RSRC2:TGID_X_EN: 1
; COMPUTE_PGM_RSRC2:TGID_Y_EN: 1
; COMPUTE_PGM_RSRC2:TGID_Z_EN: 1
; COMPUTE_PGM_RSRC2:TIDIG_COMP_CNT: 1
; COMPUTE_PGM_RSRC3_GFX90A:ACCUM_OFFSET: 30
; COMPUTE_PGM_RSRC3_GFX90A:TG_SPLIT: 0
	.section	.text._ZL33flash_attn_stream_k_fixup_uniformILi112ELi16ELi1EEvPfPK15HIP_vector_typeIfLj2EEiiiiiiS1_IjLj3EES5_S5_,"axG",@progbits,_ZL33flash_attn_stream_k_fixup_uniformILi112ELi16ELi1EEvPfPK15HIP_vector_typeIfLj2EEiiiiiiS1_IjLj3EES5_S5_,comdat
	.globl	_ZL33flash_attn_stream_k_fixup_uniformILi112ELi16ELi1EEvPfPK15HIP_vector_typeIfLj2EEiiiiiiS1_IjLj3EES5_S5_ ; -- Begin function _ZL33flash_attn_stream_k_fixup_uniformILi112ELi16ELi1EEvPfPK15HIP_vector_typeIfLj2EEiiiiiiS1_IjLj3EES5_S5_
	.p2align	8
	.type	_ZL33flash_attn_stream_k_fixup_uniformILi112ELi16ELi1EEvPfPK15HIP_vector_typeIfLj2EEiiiiiiS1_IjLj3EES5_S5_,@function
_ZL33flash_attn_stream_k_fixup_uniformILi112ELi16ELi1EEvPfPK15HIP_vector_typeIfLj2EEiiiiiiS1_IjLj3EES5_S5_: ; @_ZL33flash_attn_stream_k_fixup_uniformILi112ELi16ELi1EEvPfPK15HIP_vector_typeIfLj2EEiiiiiiS1_IjLj3EES5_S5_
; %bb.0:
	s_load_dwordx8 s[8:15], s[0:1], 0x1c
	s_load_dwordx2 s[6:7], s[0:1], 0x10
	s_load_dwordx4 s[16:19], s[0:1], 0x3c
	s_waitcnt lgkmcnt(0)
	s_mul_hi_u32 s5, s11, s2
	s_add_i32 s5, s2, s5
	s_lshr_b32 s5, s5, s12
	s_mul_i32 s11, s5, s13
	s_sub_i32 s12, s2, s11
	s_mul_hi_u32 s11, s12, s14
	s_add_i32 s11, s12, s11
	s_lshr_b32 s11, s11, s15
	s_mul_i32 s13, s11, s16
	s_sub_i32 s12, s12, s13
	;; [unrolled: 5-line block ×3, first 2 shown]
	s_lshl_b32 s12, s17, 4
	s_add_i32 s12, s12, s3
	s_cmp_lt_i32 s12, s6
	s_cselect_b64 s[12:13], -1, 0
	s_add_i32 s16, s16, s4
	s_cmp_lt_i32 s16, s9
	s_cselect_b64 s[14:15], -1, 0
	s_and_b64 s[12:13], s[12:13], s[14:15]
	s_andn2_b64 vcc, exec, s[12:13]
	s_cbranch_vccnz .LBB60_6
; %bb.1:
	s_load_dwordx4 s[12:15], s[0:1], 0x0
	s_mul_i32 s0, s5, s6
	s_mul_i32 s11, s11, s9
	s_add_i32 s0, s0, s3
	s_mul_i32 s0, s0, s7
	s_add_i32 s5, s16, s11
	;; [unrolled: 2-line block ×3, first 2 shown]
	s_mulk_i32 s1, 0x700
	s_mulk_i32 s0, 0x70
	s_add_i32 s0, s0, s1
	v_add_u32_e32 v4, s0, v0
	s_waitcnt lgkmcnt(0)
	v_mov_b32_e32 v2, s12
	v_mov_b32_e32 v3, s13
	v_ashrrev_i32_e32 v5, 31, v4
	v_lshl_add_u64 v[2:3], v[4:5], 2, v[2:3]
	global_load_dword v7, v[2:3], off
	s_mul_i32 s6, s2, s10
	s_add_i32 s7, s6, s10
	s_add_i32 s3, s3, s4
	s_lshl_b32 s0, s7, 4
	s_add_i32 s0, s3, s0
	s_add_i32 s0, s0, -16
	s_ashr_i32 s1, s0, 31
	s_lshl_b64 s[0:1], s[0:1], 3
	s_add_u32 s0, s14, s0
	s_addc_u32 s1, s15, s1
	s_load_dword s9, s[0:1], 0x4
	s_add_i32 s4, s7, -2
	s_cmp_lt_i32 s4, s6
	s_cbranch_scc1 .LBB60_4
; %bb.2:
	s_lshl_b32 s4, s8, 6
	s_ashr_i32 s5, s4, 31
	s_lshl_b64 s[4:5], s[4:5], 2
	s_add_u32 s4, s14, s4
	s_addc_u32 s5, s15, s5
	s_load_dword s0, s[0:1], 0x0
	s_add_i32 s2, s2, 1
	s_mul_i32 s10, s10, s2
	s_mul_i32 s1, s3, 0x70
	s_lshl_b32 s2, s10, 4
	s_mulk_i32 s10, 0x700
	s_add_i32 s2, s3, s2
	s_lshl_b32 s3, s8, 4
	s_add_i32 s1, s1, s10
	s_add_i32 s2, s2, s3
	v_add_u32_e32 v0, s1, v0
	s_add_i32 s7, s7, -1
	s_sub_i32 s2, s2, 32
	v_add_u32_e32 v0, 0xfffff200, v0
	s_waitcnt lgkmcnt(0)
	v_mov_b32_e32 v6, s9
	v_mov_b32_e32 v5, s0
	s_mov_b32 s8, 0x3fb8aa3b
	s_mov_b32 s9, 0xc2ce8ed0
	;; [unrolled: 1-line block ×3, first 2 shown]
	v_mov_b32_e32 v4, 0x7f800000
	s_mov_b32 s11, 0xc1a00000
.LBB60_3:                               ; =>This Inner Loop Header: Depth=1
	v_ashrrev_i32_e32 v1, 31, v0
	v_lshl_add_u64 v[8:9], v[0:1], 2, s[4:5]
	global_load_dword v1, v[8:9], off
	s_ashr_i32 s3, s2, 31
	s_lshl_b64 s[0:1], s[2:3], 3
	s_add_u32 s0, s14, s0
	s_addc_u32 s1, s15, s1
	s_load_dwordx2 s[12:13], s[0:1], 0x0
	s_waitcnt vmcnt(1)
	v_mov_b32_e32 v8, v7
	v_max_f32_e32 v7, v5, v5
	v_mov_b32_e32 v9, v6
	s_add_i32 s7, s7, -1
	s_waitcnt lgkmcnt(0)
	v_max_f32_e64 v6, s12, s12
	v_max_f32_e32 v6, v7, v6
	v_sub_f32_e32 v10, s12, v6
	v_sub_f32_e32 v7, v5, v6
	v_mul_f32_e32 v11, 0x3fb8aa3b, v10
	v_mov_b32_e32 v5, v6
	v_mul_f32_e32 v6, 0x3fb8aa3b, v7
	v_fma_f32 v14, v10, s8, -v11
	v_rndne_f32_e32 v15, v11
	v_fma_f32 v12, v7, s8, -v6
	v_rndne_f32_e32 v13, v6
	v_fmac_f32_e32 v14, 0x32a5705f, v10
	v_sub_f32_e32 v11, v11, v15
	v_fmac_f32_e32 v12, 0x32a5705f, v7
	v_sub_f32_e32 v6, v6, v13
	v_add_f32_e32 v11, v11, v14
	v_cvt_i32_f32_e32 v15, v15
	v_add_f32_e32 v6, v6, v12
	v_exp_f32_e32 v11, v11
	v_cvt_i32_f32_e32 v13, v13
	v_exp_f32_e32 v6, v6
	v_cmp_ngt_f32_e32 vcc, s9, v10
	v_ldexp_f32 v11, v11, v15
	v_cmp_ngt_f32_e64 s[0:1], s9, v7
	v_ldexp_f32 v6, v6, v13
	v_cndmask_b32_e32 v11, 0, v11, vcc
	v_cmp_nlt_f32_e32 vcc, s10, v10
	v_cndmask_b32_e64 v6, 0, v6, s[0:1]
	v_cmp_nlt_f32_e64 s[0:1], s10, v7
	v_cndmask_b32_e32 v11, v4, v11, vcc
	v_cmp_le_f32_e32 vcc, s11, v10
	v_cndmask_b32_e64 v6, v4, v6, s[0:1]
	v_cmp_le_f32_e64 s[0:1], s11, v7
	v_cndmask_b32_e32 v7, 0, v11, vcc
	s_add_i32 s2, s2, -16
	v_cndmask_b32_e64 v10, 0, v6, s[0:1]
	v_mul_f32_e32 v6, s13, v7
	v_add_u32_e32 v0, 0xfffff900, v0
	s_cmp_le_i32 s7, s6
	v_fmac_f32_e32 v6, v9, v10
	s_waitcnt vmcnt(0)
	v_mul_f32_e32 v7, v1, v7
	v_fmac_f32_e32 v7, v8, v10
	s_cbranch_scc0 .LBB60_3
	s_branch .LBB60_5
.LBB60_4:
	s_waitcnt lgkmcnt(0)
	v_mov_b32_e32 v6, s9
.LBB60_5:
	s_waitcnt vmcnt(0)
	v_div_scale_f32 v0, s[0:1], v6, v6, v7
	v_rcp_f32_e32 v1, v0
	v_div_scale_f32 v4, vcc, v7, v6, v7
	v_fma_f32 v5, -v0, v1, 1.0
	v_fmac_f32_e32 v1, v5, v1
	v_mul_f32_e32 v5, v4, v1
	v_fma_f32 v8, -v0, v5, v4
	v_fmac_f32_e32 v5, v8, v1
	v_fma_f32 v0, -v0, v5, v4
	v_div_fmas_f32 v0, v0, v1, v5
	v_div_fixup_f32 v0, v0, v6, v7
	global_store_dword v[2:3], v0, off
.LBB60_6:
	s_endpgm
	.section	.rodata,"a",@progbits
	.p2align	6, 0x0
	.amdhsa_kernel _ZL33flash_attn_stream_k_fixup_uniformILi112ELi16ELi1EEvPfPK15HIP_vector_typeIfLj2EEiiiiiiS1_IjLj3EES5_S5_
		.amdhsa_group_segment_fixed_size 0
		.amdhsa_private_segment_fixed_size 0
		.amdhsa_kernarg_size 76
		.amdhsa_user_sgpr_count 2
		.amdhsa_user_sgpr_dispatch_ptr 0
		.amdhsa_user_sgpr_queue_ptr 0
		.amdhsa_user_sgpr_kernarg_segment_ptr 1
		.amdhsa_user_sgpr_dispatch_id 0
		.amdhsa_user_sgpr_kernarg_preload_length 0
		.amdhsa_user_sgpr_kernarg_preload_offset 0
		.amdhsa_user_sgpr_private_segment_size 0
		.amdhsa_uses_dynamic_stack 0
		.amdhsa_enable_private_segment 0
		.amdhsa_system_sgpr_workgroup_id_x 1
		.amdhsa_system_sgpr_workgroup_id_y 1
		.amdhsa_system_sgpr_workgroup_id_z 1
		.amdhsa_system_sgpr_workgroup_info 0
		.amdhsa_system_vgpr_workitem_id 0
		.amdhsa_next_free_vgpr 16
		.amdhsa_next_free_sgpr 20
		.amdhsa_accum_offset 16
		.amdhsa_reserve_vcc 1
		.amdhsa_float_round_mode_32 0
		.amdhsa_float_round_mode_16_64 0
		.amdhsa_float_denorm_mode_32 3
		.amdhsa_float_denorm_mode_16_64 3
		.amdhsa_dx10_clamp 1
		.amdhsa_ieee_mode 1
		.amdhsa_fp16_overflow 0
		.amdhsa_tg_split 0
		.amdhsa_exception_fp_ieee_invalid_op 0
		.amdhsa_exception_fp_denorm_src 0
		.amdhsa_exception_fp_ieee_div_zero 0
		.amdhsa_exception_fp_ieee_overflow 0
		.amdhsa_exception_fp_ieee_underflow 0
		.amdhsa_exception_fp_ieee_inexact 0
		.amdhsa_exception_int_div_zero 0
	.end_amdhsa_kernel
	.section	.text._ZL33flash_attn_stream_k_fixup_uniformILi112ELi16ELi1EEvPfPK15HIP_vector_typeIfLj2EEiiiiiiS1_IjLj3EES5_S5_,"axG",@progbits,_ZL33flash_attn_stream_k_fixup_uniformILi112ELi16ELi1EEvPfPK15HIP_vector_typeIfLj2EEiiiiiiS1_IjLj3EES5_S5_,comdat
.Lfunc_end60:
	.size	_ZL33flash_attn_stream_k_fixup_uniformILi112ELi16ELi1EEvPfPK15HIP_vector_typeIfLj2EEiiiiiiS1_IjLj3EES5_S5_, .Lfunc_end60-_ZL33flash_attn_stream_k_fixup_uniformILi112ELi16ELi1EEvPfPK15HIP_vector_typeIfLj2EEiiiiiiS1_IjLj3EES5_S5_
                                        ; -- End function
	.section	.AMDGPU.csdata,"",@progbits
; Kernel info:
; codeLenInByte = 820
; NumSgprs: 26
; NumVgprs: 16
; NumAgprs: 0
; TotalNumVgprs: 16
; ScratchSize: 0
; MemoryBound: 0
; FloatMode: 240
; IeeeMode: 1
; LDSByteSize: 0 bytes/workgroup (compile time only)
; SGPRBlocks: 3
; VGPRBlocks: 1
; NumSGPRsForWavesPerEU: 26
; NumVGPRsForWavesPerEU: 16
; AccumOffset: 16
; Occupancy: 8
; WaveLimiterHint : 0
; COMPUTE_PGM_RSRC2:SCRATCH_EN: 0
; COMPUTE_PGM_RSRC2:USER_SGPR: 2
; COMPUTE_PGM_RSRC2:TRAP_HANDLER: 0
; COMPUTE_PGM_RSRC2:TGID_X_EN: 1
; COMPUTE_PGM_RSRC2:TGID_Y_EN: 1
; COMPUTE_PGM_RSRC2:TGID_Z_EN: 1
; COMPUTE_PGM_RSRC2:TIDIG_COMP_CNT: 0
; COMPUTE_PGM_RSRC3_GFX90A:ACCUM_OFFSET: 3
; COMPUTE_PGM_RSRC3_GFX90A:TG_SPLIT: 0
	.section	.text._ZL33flash_attn_stream_k_fixup_generalILi112ELi16ELi1EEvPfPK15HIP_vector_typeIfLj2EEiiiiS1_IjLj3EES5_S5_S5_,"axG",@progbits,_ZL33flash_attn_stream_k_fixup_generalILi112ELi16ELi1EEvPfPK15HIP_vector_typeIfLj2EEiiiiS1_IjLj3EES5_S5_S5_,comdat
	.globl	_ZL33flash_attn_stream_k_fixup_generalILi112ELi16ELi1EEvPfPK15HIP_vector_typeIfLj2EEiiiiS1_IjLj3EES5_S5_S5_ ; -- Begin function _ZL33flash_attn_stream_k_fixup_generalILi112ELi16ELi1EEvPfPK15HIP_vector_typeIfLj2EEiiiiS1_IjLj3EES5_S5_S5_
	.p2align	8
	.type	_ZL33flash_attn_stream_k_fixup_generalILi112ELi16ELi1EEvPfPK15HIP_vector_typeIfLj2EEiiiiS1_IjLj3EES5_S5_S5_,@function
_ZL33flash_attn_stream_k_fixup_generalILi112ELi16ELi1EEvPfPK15HIP_vector_typeIfLj2EEiiiiS1_IjLj3EES5_S5_S5_: ; @_ZL33flash_attn_stream_k_fixup_generalILi112ELi16ELi1EEvPfPK15HIP_vector_typeIfLj2EEiiiiS1_IjLj3EES5_S5_S5_
; %bb.0:
	s_load_dwordx4 s[12:15], s[0:1], 0x10
	s_load_dword s22, s[0:1], 0x50
	s_mov_b32 s8, 0
	s_waitcnt lgkmcnt(0)
	s_mul_hi_i32 s9, s15, s2
	s_cmp_lg_u64 s[8:9], 0
	s_mul_i32 s5, s15, s2
	s_cbranch_scc0 .LBB61_21
; %bb.1:
	v_cvt_f32_u32_e32 v1, s22
	v_cvt_f32_ubyte0_e32 v2, 0
	s_sub_u32 s8, 0, s22
	s_subb_u32 s10, 0, 0
	v_fmamk_f32 v1, v2, 0x4f800000, v1
	v_rcp_f32_e32 v1, v1
	s_nop 0
	v_mul_f32_e32 v1, 0x5f7ffffc, v1
	v_mul_f32_e32 v2, 0x2f800000, v1
	v_trunc_f32_e32 v2, v2
	v_fmamk_f32 v1, v2, 0xcf800000, v1
	v_cvt_u32_f32_e32 v2, v2
	v_cvt_u32_f32_e32 v1, v1
	v_readfirstlane_b32 s11, v2
	v_readfirstlane_b32 s16, v1
	s_mul_i32 s17, s8, s11
	s_mul_hi_u32 s19, s8, s16
	s_mul_i32 s18, s10, s16
	s_add_i32 s17, s19, s17
	s_add_i32 s17, s17, s18
	s_mul_i32 s20, s8, s16
	s_mul_hi_u32 s18, s16, s17
	s_mul_i32 s19, s16, s17
	s_mul_hi_u32 s16, s16, s20
	s_add_u32 s16, s16, s19
	s_addc_u32 s18, 0, s18
	s_mul_hi_u32 s21, s11, s20
	s_mul_i32 s20, s11, s20
	s_add_u32 s16, s16, s20
	s_mul_hi_u32 s19, s11, s17
	s_addc_u32 s16, s18, s21
	s_addc_u32 s18, s19, 0
	s_mul_i32 s17, s11, s17
	s_add_u32 s16, s16, s17
	s_addc_u32 s17, 0, s18
	v_add_co_u32_e32 v1, vcc, s16, v1
	s_cmp_lg_u64 vcc, 0
	s_addc_u32 s11, s11, s17
	v_readfirstlane_b32 s17, v1
	s_mul_i32 s16, s8, s11
	s_mul_hi_u32 s18, s8, s17
	s_add_i32 s16, s18, s16
	s_mul_i32 s10, s10, s17
	s_add_i32 s16, s16, s10
	s_mul_i32 s8, s8, s17
	s_mul_hi_u32 s18, s11, s8
	s_mul_i32 s19, s11, s8
	s_mul_i32 s21, s17, s16
	s_mul_hi_u32 s8, s17, s8
	s_mul_hi_u32 s20, s17, s16
	s_add_u32 s8, s8, s21
	s_addc_u32 s17, 0, s20
	s_add_u32 s8, s8, s19
	s_mul_hi_u32 s10, s11, s16
	s_addc_u32 s8, s17, s18
	s_addc_u32 s10, s10, 0
	s_mul_i32 s16, s11, s16
	s_add_u32 s8, s8, s16
	s_addc_u32 s10, 0, s10
	v_add_co_u32_e32 v1, vcc, s8, v1
	s_cmp_lg_u64 vcc, 0
	s_addc_u32 s16, s11, s10
	s_ashr_i32 s10, s9, 31
	s_add_u32 s8, s5, s10
	s_mov_b32 s11, s10
	s_addc_u32 s9, s9, s10
	s_xor_b64 s[8:9], s[8:9], s[10:11]
	v_readfirstlane_b32 s19, v1
	s_mul_i32 s18, s8, s16
	s_mul_hi_u32 s20, s8, s19
	s_mul_hi_u32 s17, s8, s16
	s_add_u32 s18, s20, s18
	s_addc_u32 s17, 0, s17
	s_mul_hi_u32 s21, s9, s19
	s_mul_i32 s19, s9, s19
	s_add_u32 s18, s18, s19
	s_mul_hi_u32 s20, s9, s16
	s_addc_u32 s17, s17, s21
	s_addc_u32 s18, s20, 0
	s_mul_i32 s16, s9, s16
	s_add_u32 s16, s17, s16
	s_addc_u32 s17, 0, s18
	s_add_u32 s18, s16, 1
	s_addc_u32 s19, s17, 0
	s_add_u32 s20, s16, 2
	s_mul_i32 s23, s22, s17
	s_mul_hi_u32 s24, s22, s16
	s_addc_u32 s21, s17, 0
	s_add_i32 s24, s24, s23
	s_mul_i32 s23, s22, s16
	v_mov_b32_e32 v1, s23
	v_sub_co_u32_e32 v1, vcc, s8, v1
	s_cmp_lg_u64 vcc, 0
	s_subb_u32 s8, s9, s24
	v_subrev_co_u32_e32 v2, vcc, s22, v1
	s_cmp_lg_u64 vcc, 0
	s_subb_u32 s9, s8, 0
	v_readfirstlane_b32 s23, v2
	s_cmp_ge_u32 s23, s22
	s_cselect_b32 s23, -1, 0
	s_cmp_eq_u32 s9, 0
	s_cselect_b32 s9, s23, -1
	s_cmp_lg_u32 s9, 0
	s_cselect_b32 s9, s21, s19
	v_readfirstlane_b32 s19, v1
	s_cselect_b32 s18, s20, s18
	s_cmp_ge_u32 s19, s22
	s_cselect_b32 s19, -1, 0
	s_cmp_eq_u32 s8, 0
	s_cselect_b32 s8, s19, -1
	s_cmp_lg_u32 s8, 0
	s_cselect_b32 s9, s9, s17
	s_cselect_b32 s8, s18, s16
	s_xor_b64 s[8:9], s[8:9], s[10:11]
	s_sub_u32 s20, s8, s10
	s_load_dwordx4 s[16:19], s[0:1], 0x44
	s_cbranch_execnz .LBB61_3
.LBB61_2:
	v_cvt_f32_u32_e32 v1, s22
	s_sub_i32 s6, 0, s22
	v_rcp_iflag_f32_e32 v1, v1
	s_nop 0
	v_mul_f32_e32 v1, 0x4f7ffffe, v1
	v_cvt_u32_f32_e32 v1, v1
	s_nop 0
	v_readfirstlane_b32 s7, v1
	s_mul_i32 s6, s6, s7
	s_mul_hi_u32 s6, s7, s6
	s_add_i32 s7, s7, s6
	s_mul_hi_u32 s6, s5, s7
	s_mul_i32 s8, s6, s22
	s_sub_i32 s5, s5, s8
	s_add_i32 s7, s6, 1
	s_sub_i32 s8, s5, s22
	s_cmp_ge_u32 s5, s22
	s_cselect_b32 s6, s7, s6
	s_cselect_b32 s5, s8, s5
	s_add_i32 s7, s6, 1
	s_cmp_ge_u32 s5, s22
	s_cselect_b32 s20, s7, s6
.LBB61_3:
	s_add_i32 s5, s2, 1
	s_mul_hi_i32 s9, s15, s5
	s_mov_b32 s8, 0
	s_cmp_lg_u64 s[8:9], 0
	s_mul_i32 s5, s15, s5
	s_cbranch_scc0 .LBB61_22
; %bb.4:
	v_cvt_f32_u32_e32 v1, s22
	v_cvt_f32_ubyte0_e32 v2, 0
	s_sub_u32 s8, 0, s22
	s_subb_u32 s10, 0, 0
	v_fmamk_f32 v1, v2, 0x4f800000, v1
	v_rcp_f32_e32 v1, v1
	s_nop 0
	v_mul_f32_e32 v1, 0x5f7ffffc, v1
	v_mul_f32_e32 v2, 0x2f800000, v1
	v_trunc_f32_e32 v2, v2
	v_fmamk_f32 v1, v2, 0xcf800000, v1
	v_cvt_u32_f32_e32 v2, v2
	v_cvt_u32_f32_e32 v1, v1
	v_readfirstlane_b32 s11, v2
	s_waitcnt lgkmcnt(0)
	v_readfirstlane_b32 s19, v1
	s_mul_i32 s21, s8, s11
	s_mul_hi_u32 s24, s8, s19
	s_mul_i32 s23, s10, s19
	s_add_i32 s21, s24, s21
	s_add_i32 s21, s21, s23
	s_mul_i32 s25, s8, s19
	s_mul_hi_u32 s23, s19, s21
	s_mul_i32 s24, s19, s21
	s_mul_hi_u32 s19, s19, s25
	s_add_u32 s19, s19, s24
	s_addc_u32 s23, 0, s23
	s_mul_hi_u32 s26, s11, s25
	s_mul_i32 s25, s11, s25
	s_add_u32 s19, s19, s25
	s_mul_hi_u32 s24, s11, s21
	s_addc_u32 s19, s23, s26
	s_addc_u32 s23, s24, 0
	s_mul_i32 s21, s11, s21
	s_add_u32 s19, s19, s21
	s_addc_u32 s21, 0, s23
	v_add_co_u32_e32 v1, vcc, s19, v1
	s_cmp_lg_u64 vcc, 0
	s_addc_u32 s11, s11, s21
	v_readfirstlane_b32 s21, v1
	s_mul_i32 s19, s8, s11
	s_mul_hi_u32 s23, s8, s21
	s_add_i32 s19, s23, s19
	s_mul_i32 s10, s10, s21
	s_add_i32 s19, s19, s10
	s_mul_i32 s8, s8, s21
	s_mul_hi_u32 s23, s11, s8
	s_mul_i32 s24, s11, s8
	s_mul_i32 s26, s21, s19
	s_mul_hi_u32 s8, s21, s8
	s_mul_hi_u32 s25, s21, s19
	s_add_u32 s8, s8, s26
	s_addc_u32 s21, 0, s25
	s_add_u32 s8, s8, s24
	s_mul_hi_u32 s10, s11, s19
	s_addc_u32 s8, s21, s23
	s_addc_u32 s10, s10, 0
	s_mul_i32 s19, s11, s19
	s_add_u32 s8, s8, s19
	s_addc_u32 s10, 0, s10
	v_add_co_u32_e32 v1, vcc, s8, v1
	s_cmp_lg_u64 vcc, 0
	s_addc_u32 s19, s11, s10
	s_ashr_i32 s10, s9, 31
	s_add_u32 s8, s5, s10
	s_mov_b32 s11, s10
	s_addc_u32 s9, s9, s10
	s_xor_b64 s[8:9], s[8:9], s[10:11]
	v_readfirstlane_b32 s23, v1
	s_mul_i32 s21, s8, s19
	s_mul_hi_u32 s24, s8, s23
	s_mul_hi_u32 s11, s8, s19
	s_add_u32 s21, s24, s21
	s_addc_u32 s11, 0, s11
	s_mul_hi_u32 s25, s9, s23
	s_mul_i32 s23, s9, s23
	s_add_u32 s21, s21, s23
	s_mul_hi_u32 s24, s9, s19
	s_addc_u32 s11, s11, s25
	s_addc_u32 s21, s24, 0
	s_mul_i32 s19, s9, s19
	s_add_u32 s11, s11, s19
	s_addc_u32 s19, 0, s21
	s_mul_i32 s19, s22, s19
	s_mul_hi_u32 s24, s22, s11
	s_add_i32 s24, s24, s19
	s_mul_i32 s19, s22, s11
	v_mov_b32_e32 v1, s19
	s_add_u32 s21, s11, 1
	s_add_u32 s23, s11, 2
	v_sub_co_u32_e32 v1, vcc, s8, v1
	s_cmp_lg_u64 vcc, 0
	s_subb_u32 s8, s9, s24
	v_subrev_co_u32_e32 v2, vcc, s22, v1
	s_cmp_lg_u64 vcc, 0
	s_subb_u32 s9, s8, 0
	v_cmp_le_u32_e32 vcc, s22, v2
	s_cmp_eq_u32 s9, 0
	v_mov_b32_e32 v3, s21
	v_cndmask_b32_e64 v2, 0, -1, vcc
	s_cselect_b64 vcc, -1, 0
	v_cndmask_b32_e32 v2, -1, v2, vcc
	v_mov_b32_e32 v4, s23
	v_cmp_ne_u32_e32 vcc, 0, v2
	s_cmp_eq_u32 s8, 0
	s_nop 0
	v_cndmask_b32_e32 v2, v3, v4, vcc
	v_cmp_le_u32_e32 vcc, s22, v1
	v_mov_b32_e32 v3, s11
	s_nop 0
	v_cndmask_b32_e64 v1, 0, -1, vcc
	s_cselect_b64 vcc, -1, 0
	v_cndmask_b32_e32 v1, -1, v1, vcc
	v_cmp_ne_u32_e32 vcc, 0, v1
	s_nop 1
	v_cndmask_b32_e32 v1, v3, v2, vcc
	v_xor_b32_e32 v1, s10, v1
	v_subrev_co_u32_e32 v2, vcc, s10, v1
	s_cbranch_execnz .LBB61_6
.LBB61_5:
	v_cvt_f32_u32_e32 v1, s22
	s_sub_i32 s6, 0, s22
	s_mov_b32 s7, 0
	v_rcp_iflag_f32_e32 v1, v1
	s_nop 0
	v_mul_f32_e32 v1, 0x4f7ffffe, v1
	v_cvt_u32_f32_e32 v1, v1
	s_nop 0
	v_readfirstlane_b32 s8, v1
	s_mul_i32 s6, s6, s8
	s_mul_hi_u32 s6, s8, s6
	s_add_i32 s8, s8, s6
	s_mul_hi_u32 s6, s5, s8
	s_mul_i32 s9, s6, s22
	s_sub_i32 s5, s5, s9
	s_add_i32 s8, s6, 1
	s_sub_i32 s9, s5, s22
	s_cmp_ge_u32 s5, s22
	s_cselect_b32 s6, s8, s6
	s_cselect_b32 s5, s9, s5
	s_add_i32 s8, s6, 1
	s_cmp_ge_u32 s5, s22
	s_cselect_b32 s6, s8, s6
	v_mov_b64_e32 v[2:3], s[6:7]
.LBB61_6:
	s_waitcnt lgkmcnt(0)
	s_mul_hi_u32 s5, s20, s16
	s_add_i32 s5, s5, s20
	v_mul_hi_u32 v1, v2, s16
	s_lshr_b32 s19, s5, s17
	v_add_u32_e32 v1, v1, v2
	s_mul_i32 s5, s19, s18
	v_lshrrev_b32_e32 v1, s17, v1
	s_cmp_eq_u32 s5, s20
	v_cmp_eq_u32_e64 s[6:7], s19, v1
	v_mul_lo_u32 v1, v1, s18
	v_cmp_eq_u32_e32 vcc, s20, v2
	s_cselect_b64 s[10:11], -1, 0
	v_cmp_ne_u32_e64 s[8:9], v1, v2
	s_and_b64 s[6:7], s[6:7], s[8:9]
	s_or_b64 s[8:9], vcc, s[10:11]
	s_or_b64 s[6:7], s[8:9], s[6:7]
	s_and_b64 vcc, exec, s[6:7]
	s_cbranch_vccnz .LBB61_24
; %bb.7:
	s_load_dwordx8 s[24:31], s[0:1], 0x20
	s_load_dword s5, s[0:1], 0x40
	s_waitcnt lgkmcnt(0)
	s_mul_hi_u32 s6, s20, s24
	s_add_i32 s6, s6, s20
	s_lshr_b32 s7, s6, s25
	s_mul_i32 s6, s7, s26
	s_sub_i32 s6, s20, s6
	s_mul_hi_u32 s8, s6, s27
	s_add_i32 s8, s6, s8
	s_lshr_b32 s23, s8, s28
	s_mul_i32 s8, s23, s29
	s_sub_i32 s6, s6, s8
	;; [unrolled: 5-line block ×3, first 2 shown]
	s_mul_hi_u32 s6, s5, s16
	s_add_i32 s5, s5, s6
	s_lshr_b32 s24, s5, s17
	s_lshl_b32 s5, s24, 4
	s_add_i32 s5, s5, s3
	s_cmp_lt_i32 s5, s12
	s_cselect_b64 s[8:9], -1, 0
	s_add_i32 s25, s25, s4
	s_cmp_lt_i32 s25, s14
	s_cselect_b64 s[10:11], -1, 0
	s_and_b64 s[8:9], s[8:9], s[10:11]
	s_andn2_b64 vcc, exec, s[8:9]
	s_mov_b32 s6, 0
	s_cbranch_vccnz .LBB61_24
; %bb.8:
	s_load_dwordx4 s[8:11], s[0:1], 0x0
	s_lshl_b32 s0, s22, 6
	s_mov_b32 s1, s6
	s_add_i32 s21, s3, s4
	s_lshl_b64 s[0:1], s[0:1], 2
	s_waitcnt lgkmcnt(0)
	s_add_u32 s4, s10, s0
	s_mul_i32 s0, s7, s12
	s_addc_u32 s5, s11, s1
	s_mul_i32 s23, s23, s14
	s_add_i32 s0, s0, s3
	s_mul_i32 s0, s0, s13
	s_add_i32 s3, s25, s23
	;; [unrolled: 2-line block ×3, first 2 shown]
	s_mulk_i32 s1, 0x700
	s_mulk_i32 s0, 0x70
	s_add_i32 s1, s1, s0
	v_add_u32_e32 v4, s1, v0
	v_mov_b32_e32 v2, s8
	v_mov_b32_e32 v3, s9
	v_ashrrev_i32_e32 v5, 31, v4
	v_lshl_add_u64 v[2:3], v[4:5], 2, v[2:3]
	global_load_dword v5, v[2:3], off
	s_lshl_b32 s0, s2, 4
	s_add_i32 s0, s0, s21
	s_ashr_i32 s1, s0, 31
	s_lshl_b64 s[0:1], s[0:1], 3
	s_add_u32 s0, s10, s0
	s_addc_u32 s1, s11, s1
	s_add_i32 s12, s2, -1
	s_mul_i32 s2, s21, 0x70
	v_add_u32_e32 v4, s2, v0
	v_cvt_f32_u32_e32 v0, s22
	v_cvt_f32_ubyte0_e32 v1, 0
	s_load_dwordx2 s[0:1], s[0:1], 0x0
	v_mov_b32_e32 v8, s20
	v_fmac_f32_e32 v0, 0x4f800000, v1
	v_rcp_f32_e32 v0, v0
	v_cvt_f32_u32_e32 v1, s22
	s_waitcnt lgkmcnt(0)
	v_mov_b32_e32 v6, s1
	v_mov_b32_e32 v7, s0
	v_mul_f32_e32 v0, 0x5f7ffffc, v0
	v_rcp_iflag_f32_e32 v1, v1
	v_mul_f32_e32 v9, 0x2f800000, v0
	v_trunc_f32_e32 v10, v9
	v_fmac_f32_e32 v0, 0xcf800000, v10
	v_cvt_u32_f32_e32 v9, v0
	v_mul_f32_e32 v0, 0x4f7ffffe, v1
	v_cvt_u32_f32_e32 v10, v10
	v_cvt_u32_f32_e32 v11, v0
	s_mov_b32 s8, 0x3fb8aa3b
	s_mov_b32 s9, 0xc2ce8ed0
	s_mov_b32 s13, 0x42b17218
	s_mov_b32 s14, 0xc1a00000
	v_mov_b32_e32 v12, 0x7f800000
	s_mul_hi_i32 s7, s12, s15
	s_cmp_lg_u64 s[6:7], 0
	s_mul_i32 s2, s12, s15
	s_cbranch_scc0 .LBB61_15
.LBB61_9:
	s_sub_u32 s0, 0, s22
	v_readfirstlane_b32 s3, v9
	v_readfirstlane_b32 s24, v10
	s_subb_u32 s1, 0, 0
	s_mul_hi_u32 s23, s0, s3
	s_mul_i32 s25, s0, s24
	s_mul_i32 s20, s1, s3
	s_add_i32 s23, s23, s25
	s_add_i32 s23, s23, s20
	s_mul_i32 s26, s0, s3
	s_mul_hi_u32 s20, s3, s23
	s_mul_i32 s25, s3, s23
	s_mul_hi_u32 s3, s3, s26
	s_add_u32 s3, s3, s25
	s_addc_u32 s20, 0, s20
	s_mul_hi_u32 s27, s24, s26
	s_mul_i32 s26, s24, s26
	s_add_u32 s3, s3, s26
	s_mul_hi_u32 s25, s24, s23
	s_addc_u32 s3, s20, s27
	s_addc_u32 s20, s25, 0
	s_mul_i32 s23, s24, s23
	s_add_u32 s3, s3, s23
	s_addc_u32 s20, 0, s20
	v_add_co_u32_e32 v0, vcc, s3, v9
	s_cmp_lg_u64 vcc, 0
	s_addc_u32 s3, s24, s20
	v_readfirstlane_b32 s23, v0
	s_mul_i32 s20, s0, s3
	s_mul_hi_u32 s24, s0, s23
	s_add_i32 s20, s24, s20
	s_mul_i32 s1, s1, s23
	s_add_i32 s20, s20, s1
	s_mul_i32 s0, s0, s23
	s_mul_hi_u32 s24, s3, s0
	s_mul_i32 s25, s3, s0
	s_mul_i32 s27, s23, s20
	s_mul_hi_u32 s0, s23, s0
	s_mul_hi_u32 s26, s23, s20
	s_add_u32 s0, s0, s27
	s_addc_u32 s23, 0, s26
	s_add_u32 s0, s0, s25
	s_mul_hi_u32 s1, s3, s20
	s_addc_u32 s0, s23, s24
	s_addc_u32 s1, s1, 0
	s_mul_i32 s20, s3, s20
	s_add_u32 s0, s0, s20
	s_addc_u32 s1, 0, s1
	v_add_co_u32_e32 v0, vcc, s0, v0
	s_cmp_lg_u64 vcc, 0
	s_addc_u32 s3, s3, s1
	s_ashr_i32 s0, s7, 31
	s_add_u32 s24, s2, s0
	s_mov_b32 s1, s0
	s_addc_u32 s25, s7, s0
	s_xor_b64 s[24:25], s[24:25], s[0:1]
	v_readfirstlane_b32 s20, v0
	s_mul_i32 s7, s24, s3
	s_mul_hi_u32 s23, s24, s20
	s_mul_hi_u32 s1, s24, s3
	s_add_u32 s7, s23, s7
	s_addc_u32 s1, 0, s1
	s_mul_hi_u32 s26, s25, s20
	s_mul_i32 s20, s25, s20
	s_add_u32 s7, s7, s20
	s_mul_hi_u32 s23, s25, s3
	s_addc_u32 s1, s1, s26
	s_addc_u32 s7, s23, 0
	s_mul_i32 s3, s25, s3
	s_add_u32 s1, s1, s3
	s_addc_u32 s3, 0, s7
	s_mul_i32 s3, s22, s3
	s_mul_hi_u32 s23, s22, s1
	s_add_i32 s23, s23, s3
	s_mul_i32 s3, s22, s1
	v_mov_b32_e32 v0, s3
	s_add_u32 s7, s1, 1
	s_add_u32 s20, s1, 2
	v_sub_co_u32_e32 v0, vcc, s24, v0
	s_cmp_lg_u64 vcc, 0
	s_subb_u32 s3, s25, s23
	v_subrev_co_u32_e32 v1, vcc, s22, v0
	s_cmp_lg_u64 vcc, 0
	s_subb_u32 s23, s3, 0
	v_cmp_le_u32_e32 vcc, s22, v1
	s_cmp_eq_u32 s23, 0
	v_mov_b32_e32 v13, s7
	v_cndmask_b32_e64 v1, 0, -1, vcc
	s_cselect_b64 vcc, -1, 0
	v_cndmask_b32_e32 v1, -1, v1, vcc
	v_mov_b32_e32 v14, s20
	v_cmp_ne_u32_e32 vcc, 0, v1
	s_cmp_eq_u32 s3, 0
	s_nop 0
	v_cndmask_b32_e32 v1, v13, v14, vcc
	v_cmp_le_u32_e32 vcc, s22, v0
	v_mov_b32_e32 v13, s1
	s_nop 0
	v_cndmask_b32_e64 v0, 0, -1, vcc
	s_cselect_b64 vcc, -1, 0
	v_cndmask_b32_e32 v0, -1, v0, vcc
	v_cmp_ne_u32_e32 vcc, 0, v0
	s_nop 1
	v_cndmask_b32_e32 v0, v13, v1, vcc
	v_xor_b32_e32 v0, s0, v0
	v_subrev_co_u32_e32 v0, vcc, s0, v0
	s_cbranch_execnz .LBB61_11
.LBB61_10:
	s_sub_i32 s0, 0, s22
	v_mul_lo_u32 v0, s0, v11
	v_mul_hi_u32 v0, v11, v0
	v_add_u32_e32 v0, v11, v0
	v_mul_hi_u32 v0, s2, v0
	v_mul_lo_u32 v13, v0, s22
	v_sub_u32_e32 v13, s2, v13
	v_add_u32_e32 v1, 1, v0
	v_subrev_u32_e32 v14, s22, v13
	v_cmp_le_u32_e32 vcc, s22, v13
	s_nop 1
	v_cndmask_b32_e32 v13, v13, v14, vcc
	v_cndmask_b32_e32 v0, v0, v1, vcc
	v_add_u32_e32 v1, 1, v0
	v_cmp_le_u32_e32 vcc, s22, v13
	s_nop 1
	v_cndmask_b32_e32 v0, v0, v1, vcc
.LBB61_11:
	v_cmp_ne_u32_e32 vcc, v8, v0
	s_cbranch_vccz .LBB61_14
; %bb.12:
	s_add_i32 s0, s12, s22
	s_lshl_b32 s0, s0, 4
	v_mul_hi_u32 v1, v0, s16
	s_add_i32 s0, s0, s21
	s_mov_b32 s1, s6
	v_add_u32_e32 v1, v1, v0
	s_lshl_b64 s[0:1], s[0:1], 3
	v_lshrrev_b32_e32 v1, s17, v1
	s_add_u32 s2, s10, s0
	v_mul_lo_u32 v13, v1, s18
	s_addc_u32 s3, s11, s1
	v_cmp_eq_u32_e32 vcc, v13, v0
	v_cmp_gt_u32_e64 s[0:1], s19, v1
	s_or_b64 s[0:1], s[0:1], vcc
	s_and_b64 vcc, exec, s[0:1]
	s_cbranch_vccnz .LBB61_16
; %bb.13:
	s_add_i32 s7, s12, -1
	s_mov_b64 s[0:1], 0
	s_branch .LBB61_17
.LBB61_14:
                                        ; implicit-def: $sgpr0_sgpr1
                                        ; implicit-def: $vgpr14
                                        ; implicit-def: $vgpr1
                                        ; implicit-def: $vgpr13
                                        ; implicit-def: $sgpr7
                                        ; implicit-def: $vgpr0
	s_branch .LBB61_18
.LBB61_15:
                                        ; implicit-def: $vgpr0_vgpr1
	s_branch .LBB61_10
.LBB61_16:
	s_mov_b64 s[0:1], -1
	s_mov_b32 s7, s12
	v_mov_b32_e32 v0, v8
.LBB61_17:
	s_mul_i32 s20, s12, 0x700
	v_add_u32_e32 v14, s20, v4
	v_ashrrev_i32_e32 v15, 31, v14
	v_lshl_add_u64 v[14:15], v[14:15], 2, s[4:5]
	global_load_dword v14, v[14:15], off
	s_load_dwordx2 s[2:3], s[2:3], 0x0
	v_max_f32_e32 v1, v7, v7
	s_waitcnt lgkmcnt(0)
	v_max_f32_e64 v13, s2, s2
	v_max_f32_e32 v1, v1, v13
	v_sub_f32_e32 v13, v7, v1
	v_sub_f32_e32 v15, s2, v1
	v_mul_f32_e32 v16, 0x3fb8aa3b, v13
	v_mul_f32_e32 v17, 0x3fb8aa3b, v15
	v_fma_f32 v18, v13, s8, -v16
	v_rndne_f32_e32 v19, v16
	v_fma_f32 v20, v15, s8, -v17
	v_rndne_f32_e32 v21, v17
	v_fmac_f32_e32 v18, 0x32a5705f, v13
	v_sub_f32_e32 v16, v16, v19
	v_fmac_f32_e32 v20, 0x32a5705f, v15
	v_sub_f32_e32 v17, v17, v21
	v_add_f32_e32 v16, v16, v18
	v_cvt_i32_f32_e32 v19, v19
	v_add_f32_e32 v17, v17, v20
	v_exp_f32_e32 v16, v16
	v_cvt_i32_f32_e32 v21, v21
	v_exp_f32_e32 v17, v17
	v_cmp_ngt_f32_e32 vcc, s9, v13
	v_ldexp_f32 v16, v16, v19
	v_ldexp_f32 v17, v17, v21
	v_cndmask_b32_e32 v16, 0, v16, vcc
	v_cmp_ngt_f32_e32 vcc, s9, v15
	s_nop 1
	v_cndmask_b32_e32 v17, 0, v17, vcc
	v_cmp_nlt_f32_e32 vcc, s13, v13
	s_nop 1
	v_cndmask_b32_e32 v16, v12, v16, vcc
	v_cmp_nlt_f32_e32 vcc, s13, v15
	s_nop 1
	v_cndmask_b32_e32 v17, v12, v17, vcc
	v_cmp_le_f32_e32 vcc, s14, v13
	s_nop 1
	v_cndmask_b32_e32 v16, 0, v16, vcc
	v_cmp_le_f32_e32 vcc, s14, v15
	s_nop 1
	v_cndmask_b32_e32 v15, 0, v17, vcc
	v_mul_f32_e32 v13, s3, v15
	v_fmac_f32_e32 v13, v6, v16
	s_waitcnt vmcnt(0)
	v_mul_f32_e32 v14, v14, v15
	v_fmac_f32_e32 v14, v5, v16
	s_cbranch_execnz .LBB61_19
.LBB61_18:
	s_add_i32 s7, s12, -1
	s_mov_b64 s[0:1], 0
	v_mov_b32_e32 v0, v8
	v_mov_b32_e32 v13, v6
	;; [unrolled: 1-line block ×3, first 2 shown]
	s_waitcnt vmcnt(0)
	v_mov_b32_e32 v14, v5
.LBB61_19:
	s_andn2_b64 vcc, exec, s[0:1]
	s_cbranch_vccz .LBB61_23
; %bb.20:
	v_mov_b32_e32 v8, v0
	s_mov_b32 s12, s7
	v_mov_b32_e32 v6, v13
	v_mov_b32_e32 v7, v1
	s_waitcnt vmcnt(0)
	v_mov_b32_e32 v5, v14
	s_mul_hi_i32 s7, s12, s15
	s_cmp_lg_u64 s[6:7], 0
	s_mul_i32 s2, s12, s15
	s_cbranch_scc1 .LBB61_9
	s_branch .LBB61_15
.LBB61_21:
                                        ; implicit-def: $sgpr20_sgpr21
	s_load_dwordx4 s[16:19], s[0:1], 0x44
	s_branch .LBB61_2
.LBB61_22:
                                        ; implicit-def: $vgpr2_vgpr3
	s_branch .LBB61_5
.LBB61_23:
	v_div_scale_f32 v0, s[0:1], v13, v13, v14
	v_rcp_f32_e32 v1, v0
	v_div_scale_f32 v4, vcc, v14, v13, v14
	s_waitcnt vmcnt(0)
	v_fma_f32 v5, -v0, v1, 1.0
	v_fmac_f32_e32 v1, v5, v1
	v_mul_f32_e32 v5, v4, v1
	v_fma_f32 v6, -v0, v5, v4
	v_fmac_f32_e32 v5, v6, v1
	v_fma_f32 v0, -v0, v5, v4
	v_div_fmas_f32 v0, v0, v1, v5
	v_div_fixup_f32 v0, v0, v13, v14
	global_store_dword v[2:3], v0, off
.LBB61_24:
	s_endpgm
	.section	.rodata,"a",@progbits
	.p2align	6, 0x0
	.amdhsa_kernel _ZL33flash_attn_stream_k_fixup_generalILi112ELi16ELi1EEvPfPK15HIP_vector_typeIfLj2EEiiiiS1_IjLj3EES5_S5_S5_
		.amdhsa_group_segment_fixed_size 0
		.amdhsa_private_segment_fixed_size 0
		.amdhsa_kernarg_size 336
		.amdhsa_user_sgpr_count 2
		.amdhsa_user_sgpr_dispatch_ptr 0
		.amdhsa_user_sgpr_queue_ptr 0
		.amdhsa_user_sgpr_kernarg_segment_ptr 1
		.amdhsa_user_sgpr_dispatch_id 0
		.amdhsa_user_sgpr_kernarg_preload_length 0
		.amdhsa_user_sgpr_kernarg_preload_offset 0
		.amdhsa_user_sgpr_private_segment_size 0
		.amdhsa_uses_dynamic_stack 0
		.amdhsa_enable_private_segment 0
		.amdhsa_system_sgpr_workgroup_id_x 1
		.amdhsa_system_sgpr_workgroup_id_y 1
		.amdhsa_system_sgpr_workgroup_id_z 1
		.amdhsa_system_sgpr_workgroup_info 0
		.amdhsa_system_vgpr_workitem_id 0
		.amdhsa_next_free_vgpr 22
		.amdhsa_next_free_sgpr 32
		.amdhsa_accum_offset 24
		.amdhsa_reserve_vcc 1
		.amdhsa_float_round_mode_32 0
		.amdhsa_float_round_mode_16_64 0
		.amdhsa_float_denorm_mode_32 3
		.amdhsa_float_denorm_mode_16_64 3
		.amdhsa_dx10_clamp 1
		.amdhsa_ieee_mode 1
		.amdhsa_fp16_overflow 0
		.amdhsa_tg_split 0
		.amdhsa_exception_fp_ieee_invalid_op 0
		.amdhsa_exception_fp_denorm_src 0
		.amdhsa_exception_fp_ieee_div_zero 0
		.amdhsa_exception_fp_ieee_overflow 0
		.amdhsa_exception_fp_ieee_underflow 0
		.amdhsa_exception_fp_ieee_inexact 0
		.amdhsa_exception_int_div_zero 0
	.end_amdhsa_kernel
	.section	.text._ZL33flash_attn_stream_k_fixup_generalILi112ELi16ELi1EEvPfPK15HIP_vector_typeIfLj2EEiiiiS1_IjLj3EES5_S5_S5_,"axG",@progbits,_ZL33flash_attn_stream_k_fixup_generalILi112ELi16ELi1EEvPfPK15HIP_vector_typeIfLj2EEiiiiS1_IjLj3EES5_S5_S5_,comdat
.Lfunc_end61:
	.size	_ZL33flash_attn_stream_k_fixup_generalILi112ELi16ELi1EEvPfPK15HIP_vector_typeIfLj2EEiiiiS1_IjLj3EES5_S5_S5_, .Lfunc_end61-_ZL33flash_attn_stream_k_fixup_generalILi112ELi16ELi1EEvPfPK15HIP_vector_typeIfLj2EEiiiiS1_IjLj3EES5_S5_S5_
                                        ; -- End function
	.section	.AMDGPU.csdata,"",@progbits
; Kernel info:
; codeLenInByte = 2860
; NumSgprs: 38
; NumVgprs: 22
; NumAgprs: 0
; TotalNumVgprs: 22
; ScratchSize: 0
; MemoryBound: 0
; FloatMode: 240
; IeeeMode: 1
; LDSByteSize: 0 bytes/workgroup (compile time only)
; SGPRBlocks: 4
; VGPRBlocks: 2
; NumSGPRsForWavesPerEU: 38
; NumVGPRsForWavesPerEU: 22
; AccumOffset: 24
; Occupancy: 8
; WaveLimiterHint : 0
; COMPUTE_PGM_RSRC2:SCRATCH_EN: 0
; COMPUTE_PGM_RSRC2:USER_SGPR: 2
; COMPUTE_PGM_RSRC2:TRAP_HANDLER: 0
; COMPUTE_PGM_RSRC2:TGID_X_EN: 1
; COMPUTE_PGM_RSRC2:TGID_Y_EN: 1
; COMPUTE_PGM_RSRC2:TGID_Z_EN: 1
; COMPUTE_PGM_RSRC2:TIDIG_COMP_CNT: 0
; COMPUTE_PGM_RSRC3_GFX90A:ACCUM_OFFSET: 5
; COMPUTE_PGM_RSRC3_GFX90A:TG_SPLIT: 0
	.section	.text._ZL15flash_attn_tileILi112ELi112ELi8ELi1ELb0EEvPKcS1_S1_S1_S1_PKiPfP15HIP_vector_typeIfLj2EEffffjfiS5_IjLj3EEiiiiiiiiiiiliiliiiiil,"axG",@progbits,_ZL15flash_attn_tileILi112ELi112ELi8ELi1ELb0EEvPKcS1_S1_S1_S1_PKiPfP15HIP_vector_typeIfLj2EEffffjfiS5_IjLj3EEiiiiiiiiiiiliiliiiiil,comdat
	.globl	_ZL15flash_attn_tileILi112ELi112ELi8ELi1ELb0EEvPKcS1_S1_S1_S1_PKiPfP15HIP_vector_typeIfLj2EEffffjfiS5_IjLj3EEiiiiiiiiiiiliiliiiiil ; -- Begin function _ZL15flash_attn_tileILi112ELi112ELi8ELi1ELb0EEvPKcS1_S1_S1_S1_PKiPfP15HIP_vector_typeIfLj2EEffffjfiS5_IjLj3EEiiiiiiiiiiiliiliiiiil
	.p2align	8
	.type	_ZL15flash_attn_tileILi112ELi112ELi8ELi1ELb0EEvPKcS1_S1_S1_S1_PKiPfP15HIP_vector_typeIfLj2EEffffjfiS5_IjLj3EEiiiiiiiiiiiliiliiiiil,@function
_ZL15flash_attn_tileILi112ELi112ELi8ELi1ELb0EEvPKcS1_S1_S1_S1_PKiPfP15HIP_vector_typeIfLj2EEffffjfiS5_IjLj3EEiiiiiiiiiiiliiliiiiil: ; @_ZL15flash_attn_tileILi112ELi112ELi8ELi1ELb0EEvPKcS1_S1_S1_S1_PKiPfP15HIP_vector_typeIfLj2EEffffjfiS5_IjLj3EEiiiiiiiiiiiliiliiiiil
; %bb.0:
	s_load_dwordx4 s[28:31], s[0:1], 0x5c
	s_load_dwordx2 s[42:43], s[0:1], 0x80
	s_load_dwordx16 s[12:27], s[0:1], 0x0
	s_load_dwordx2 s[10:11], s[0:1], 0xb8
	s_mov_b64 s[40:41], 0
	s_waitcnt lgkmcnt(0)
	v_cvt_f32_u32_e32 v1, s31
	s_sub_i32 s5, 0, s31
	v_rcp_iflag_f32_e32 v1, v1
	s_nop 0
	v_mul_f32_e32 v1, 0x4f7ffffe, v1
	v_cvt_u32_f32_e32 v1, v1
	s_nop 0
	v_readfirstlane_b32 s6, v1
	s_mul_i32 s5, s5, s6
	s_mul_hi_u32 s5, s6, s5
	s_add_i32 s6, s6, s5
	s_mul_hi_u32 s5, s4, s6
	s_mul_i32 s6, s5, s31
	s_sub_i32 s6, s4, s6
	s_add_i32 s7, s5, 1
	s_sub_i32 s8, s6, s31
	s_cmp_ge_u32 s6, s31
	s_cselect_b32 s5, s7, s5
	s_cselect_b32 s6, s8, s6
	s_add_i32 s7, s5, 1
	s_cmp_ge_u32 s6, s31
	s_cselect_b32 s33, s7, s5
	s_abs_i32 s5, s43
	v_cvt_f32_u32_e32 v1, s5
	s_sub_i32 s8, 0, s5
	s_abs_i32 s7, s31
	s_xor_b32 s6, s31, s43
	v_rcp_iflag_f32_e32 v1, v1
	s_ashr_i32 s6, s6, 31
	v_mul_f32_e32 v1, 0x4f7ffffe, v1
	v_cvt_u32_f32_e32 v1, v1
	v_mul_lo_u32 v2, s8, v1
	v_mul_hi_u32 v2, v1, v2
	v_add_u32_e32 v1, v1, v2
	v_mul_hi_u32 v1, s7, v1
	v_mul_lo_u32 v2, v1, s5
	v_sub_u32_e32 v2, s7, v2
	v_add_u32_e32 v3, 1, v1
	v_subrev_u32_e32 v4, s5, v2
	v_cmp_le_u32_e32 vcc, s5, v2
	s_nop 1
	v_cndmask_b32_e32 v1, v1, v3, vcc
	v_cndmask_b32_e32 v2, v2, v4, vcc
	v_add_u32_e32 v3, 1, v1
	v_cmp_le_u32_e32 vcc, s5, v2
	s_mul_i32 s5, s33, s31
	s_sub_i32 s34, s4, s5
	v_cndmask_b32_e32 v1, v1, v3, vcc
	v_xor_b32_e32 v1, s6, v1
	v_subrev_u32_e32 v2, s6, v1
	v_sub_u32_e32 v1, 0, v2
	v_max_i32_e32 v1, v2, v1
	v_cvt_f32_u32_e32 v3, v1
	v_sub_u32_e32 v4, 0, v1
	s_cmp_eq_u64 s[18:19], 0
	v_rcp_iflag_f32_e32 v3, v3
	s_nop 0
	v_mul_f32_e32 v3, 0x4f7ffffe, v3
	v_cvt_u32_f32_e32 v3, v3
	v_mul_lo_u32 v4, v4, v3
	v_mul_hi_u32 v4, v3, v4
	s_cbranch_scc1 .LBB62_2
; %bb.1:
	s_abs_i32 s6, s10
	v_cvt_f32_u32_e32 v5, s6
	s_sub_i32 s9, 0, s6
	s_abs_i32 s8, s33
	s_ashr_i32 s7, s33, 31
	v_rcp_iflag_f32_e32 v5, v5
	s_load_dwordx2 s[4:5], s[0:1], 0xc8
	v_mul_f32_e32 v5, 0x4f7ffffe, v5
	v_cvt_u32_f32_e32 v5, v5
	s_nop 0
	v_readfirstlane_b32 s10, v5
	s_mul_i32 s9, s9, s10
	s_mul_hi_u32 s9, s10, s9
	s_add_i32 s10, s10, s9
	s_mul_hi_u32 s9, s8, s10
	s_mul_i32 s9, s9, s6
	s_sub_i32 s8, s8, s9
	s_sub_i32 s9, s8, s6
	s_cmp_ge_u32 s8, s6
	s_cselect_b32 s8, s9, s8
	s_sub_i32 s9, s8, s6
	s_cmp_ge_u32 s8, s6
	s_cselect_b32 s6, s9, s8
	s_xor_b32 s6, s6, s7
	s_sub_i32 s6, s6, s7
	s_ashr_i32 s7, s6, 31
	s_waitcnt lgkmcnt(0)
	s_mul_i32 s5, s6, s5
	s_mul_hi_u32 s8, s6, s4
	s_add_i32 s5, s8, s5
	s_mul_i32 s7, s7, s4
	s_add_i32 s5, s5, s7
	s_mul_i32 s6, s6, s4
	s_add_u32 s40, s18, s6
	s_addc_u32 s41, s19, s5
.LBB62_2:
	s_load_dwordx4 s[36:39], s[0:1], 0x40
	s_load_dword s4, s[0:1], 0x50
	s_abs_i32 s10, s34
	v_add_u32_e32 v3, v3, v4
	v_mov_b32_e32 v53, 1.0
	s_waitcnt lgkmcnt(0)
	v_cmp_le_f32_e64 s[6:7], s37, 0
	s_and_b64 vcc, exec, s[6:7]
	s_cbranch_vccnz .LBB62_4
; %bb.3:
	s_sub_i32 s5, s34, s4
	s_lshl_b32 s5, s5, 1
	s_add_i32 s6, s34, 1
	s_or_b32 s7, s5, 1
	s_cmp_lt_u32 s34, s4
	s_cselect_b64 vcc, -1, 0
	s_and_b64 s[4:5], vcc, exec
	v_mov_b32_e32 v4, s39
	v_mov_b32_e32 v5, s38
	s_cselect_b32 s4, s6, s7
	v_cndmask_b32_e32 v20, v4, v5, vcc
	v_cvt_f32_i32_e32 v4, s4
	v_cmp_neq_f32_e32 vcc, 1.0, v20
	s_mov_b32 s4, 0x3f2aaaab
	s_movk_i32 s6, 0x204
	v_cndmask_b32_e32 v21, 1.0, v4, vcc
	v_cmp_eq_f32_e32 vcc, 0, v21
	s_mov_b32 s8, 0x42b17218
	s_mov_b32 s7, 0x7f800000
	v_cndmask_b32_e64 v22, |v20|, 1.0, vcc
	v_frexp_mant_f32_e32 v4, v22
	v_cmp_gt_f32_e64 s[4:5], s4, v4
	s_brev_b32 s18, -2
	s_nop 0
	v_cndmask_b32_e64 v5, 1.0, 2.0, s[4:5]
	v_mul_f32_e32 v4, v4, v5
	v_add_f32_e32 v7, 1.0, v4
	v_rcp_f32_e32 v12, v7
	v_add_f32_e32 v5, -1.0, v7
	v_sub_f32_e32 v9, v4, v5
	v_add_f32_e32 v5, -1.0, v4
	v_mul_f32_e32 v13, v5, v12
	v_mul_f32_e32 v6, v7, v13
	v_fma_f32 v8, v13, v7, -v6
	v_fmac_f32_e32 v8, v13, v9
	v_add_f32_e32 v4, v6, v8
	v_sub_f32_e32 v7, v5, v4
	v_pk_add_f32 v[10:11], v[4:5], v[6:7] neg_lo:[0,1] neg_hi:[0,1]
	v_mov_b32_e32 v9, v4
	v_pk_add_f32 v[4:5], v[10:11], v[8:9] neg_lo:[0,1] neg_hi:[0,1]
	v_mov_b32_e32 v8, 0x3e91f4c4
	v_add_f32_e32 v4, v4, v5
	v_add_f32_e32 v4, v7, v4
	v_mul_f32_e32 v5, v12, v4
	v_add_f32_e32 v4, v13, v5
	v_sub_f32_e32 v6, v4, v13
	v_sub_f32_e32 v14, v5, v6
	v_mul_f32_e32 v5, v4, v4
	v_fma_f32 v7, v4, v4, -v5
	v_add_f32_e32 v6, v14, v14
	v_fmac_f32_e32 v7, v4, v6
	v_add_f32_e32 v6, v5, v7
	v_fmac_f32_e32 v8, 0x3e76c4e1, v6
	v_fmaak_f32 v8, v6, v8, 0x3ecccdef
	v_sub_f32_e32 v5, v6, v5
	v_sub_f32_e32 v15, v7, v5
	v_mul_f32_e32 v5, v6, v8
	v_fma_f32 v7, v6, v8, -v5
	v_fmac_f32_e32 v7, v15, v8
	v_add_f32_e32 v8, v5, v7
	v_add_f32_e32 v9, 0x3f2aaaaa, v8
	v_sub_f32_e32 v5, v8, v5
	v_sub_f32_e32 v5, v7, v5
	v_add_f32_e32 v7, 0xbf2aaaaa, v9
	v_add_f32_e32 v5, 0x31739010, v5
	v_sub_f32_e32 v7, v8, v7
	v_pk_mul_f32 v[10:11], v[4:5], v[6:7]
	v_pk_add_f32 v[12:13], v[4:5], v[6:7]
	v_fma_f32 v8, v6, v4, -v10
	v_fmac_f32_e32 v8, v6, v14
	v_mov_b32_e32 v11, v13
	v_fmac_f32_e32 v8, v15, v4
	v_pk_add_f32 v[6:7], v[10:11], v[8:9]
	v_ldexp_f32 v16, v14, 1
	v_sub_f32_e32 v5, v6, v10
	v_sub_f32_e32 v5, v8, v5
	;; [unrolled: 1-line block ×3, first 2 shown]
	v_add_f32_e32 v11, v13, v8
	v_mov_b32_e32 v8, v7
	v_pk_mul_f32 v[8:9], v[6:7], v[8:9]
	v_cvt_f64_f32_e32 v[12:13], v22
	v_frexp_exp_i32_f64_e32 v9, v[12:13]
	v_subbrev_co_u32_e64 v9, s[4:5], 0, v9, s[4:5]
	v_cvt_f32_i32_e32 v9, v9
	v_fma_f32 v10, v6, v7, -v8
	v_fmac_f32_e32 v10, v6, v11
	s_mov_b32 s4, 0x3f317218
	v_mul_f32_e32 v6, 0x3f317218, v9
	v_fmac_f32_e32 v10, v5, v7
	v_fma_f32 v5, v9, s4, -v6
	v_fmamk_f32 v12, v9, 0xb102e308, v5
	v_ldexp_f32 v13, v4, 1
	v_add_f32_e32 v7, v8, v10
	v_pk_add_f32 v[4:5], v[6:7], v[12:13]
	v_mov_b32_e32 v14, v7
	v_mov_b32_e32 v15, v5
	;; [unrolled: 1-line block ×3, first 2 shown]
	v_pk_add_f32 v[8:9], v[14:15], v[8:9] neg_lo:[0,1] neg_hi:[0,1]
	v_mov_b32_e32 v11, v7
	v_pk_add_f32 v[8:9], v[10:11], v[8:9] neg_lo:[0,1] neg_hi:[0,1]
	v_mov_b32_e32 v13, v4
	v_add_f32_e32 v7, v16, v8
	v_add_f32_e32 v7, v7, v9
	v_pk_add_f32 v[8:9], v[4:5], v[6:7] neg_lo:[0,1] neg_hi:[0,1]
	v_pk_add_f32 v[10:11], v[4:5], v[6:7]
	v_mov_b32_e32 v14, v8
	v_mov_b32_e32 v15, v11
	v_pk_add_f32 v[14:15], v[12:13], v[14:15]
	v_pk_add_f32 v[8:9], v[12:13], v[8:9] neg_lo:[0,1] neg_hi:[0,1]
	v_mov_b32_e32 v6, v15
	v_pk_add_f32 v[16:17], v[6:7], v[4:5] neg_lo:[0,1] neg_hi:[0,1]
	v_mov_b32_e32 v14, v11
	v_mov_b32_e32 v17, v16
	;; [unrolled: 1-line block ×4, first 2 shown]
	v_pk_add_f32 v[18:19], v[10:11], v[16:17] neg_lo:[0,1] neg_hi:[0,1]
	v_pk_add_f32 v[4:5], v[14:15], v[4:5] neg_lo:[0,1] neg_hi:[0,1]
	v_mov_b32_e32 v12, v7
	v_pk_add_f32 v[4:5], v[12:13], v[4:5] neg_lo:[0,1] neg_hi:[0,1]
	v_mov_b32_e32 v18, v8
	v_pk_add_f32 v[10:11], v[18:19], v[4:5]
	v_mov_b32_e32 v9, v15
	v_mov_b32_e32 v12, v11
	v_pk_add_f32 v[12:13], v[10:11], v[12:13]
	s_nop 0
	v_pk_add_f32 v[6:7], v[6:7], v[12:13]
	v_mov_b32_e32 v5, v12
	v_mov_b32_e32 v11, v6
	v_pk_add_f32 v[14:15], v[10:11], v[8:9] neg_lo:[0,1] neg_hi:[0,1]
	s_nop 0
	v_sub_f32_e32 v7, v10, v14
	v_pk_add_f32 v[4:5], v[4:5], v[14:15] neg_lo:[0,1] neg_hi:[0,1]
	v_sub_f32_e32 v7, v8, v7
	v_add_f32_e32 v4, v4, v7
	v_add_f32_e32 v4, v4, v5
	;; [unrolled: 1-line block ×3, first 2 shown]
	v_sub_f32_e32 v6, v5, v6
	v_sub_f32_e32 v4, v4, v6
	v_mul_f32_e32 v6, v21, v5
	v_fma_f32 v5, v21, v5, -v6
	v_fmac_f32_e32 v5, v21, v4
	v_add_f32_e32 v4, v6, v5
	v_cmp_class_f32_e64 s[4:5], v6, s6
	v_sub_f32_e32 v7, v4, v6
	v_sub_f32_e32 v5, v5, v7
	v_cndmask_b32_e64 v4, v4, v6, s[4:5]
	v_mov_b32_e32 v6, 0x37000000
	v_cmp_eq_f32_e64 s[4:5], s8, v4
	s_nop 1
	v_cndmask_b32_e64 v6, 0, v6, s[4:5]
	v_sub_f32_e32 v7, v4, v6
	s_mov_b32 s4, 0x3fb8aa3b
	v_mul_f32_e32 v8, 0x3fb8aa3b, v7
	v_fma_f32 v9, v7, s4, -v8
	v_rndne_f32_e32 v10, v8
	v_fmamk_f32 v9, v7, 0x32a5705f, v9
	v_sub_f32_e32 v8, v8, v10
	v_add_f32_e32 v8, v8, v9
	v_exp_f32_e32 v8, v8
	v_cvt_i32_f32_e32 v9, v10
	v_cmp_neq_f32_e64 s[4:5], |v4|, s7
	s_nop 1
	v_cndmask_b32_e64 v4, 0, v5, s[4:5]
	s_mov_b32 s4, 0xc2ce8ed0
	v_ldexp_f32 v5, v8, v9
	v_cmp_ngt_f32_e64 s[4:5], s4, v7
	v_add_f32_e32 v4, v6, v4
	v_mov_b32_e32 v6, 0x7f800000
	v_cndmask_b32_e64 v5, 0, v5, s[4:5]
	v_cmp_nlt_f32_e64 s[4:5], s8, v7
	v_trunc_f32_e32 v7, v21
	v_mov_b32_e32 v8, 0x7fc00000
	v_cndmask_b32_e64 v5, v6, v5, s[4:5]
	v_fma_f32 v4, v5, v4, v5
	v_cmp_class_f32_e64 s[4:5], v5, s6
	v_cmp_gt_f32_e64 s[8:9], 0, v21
	s_nop 0
	v_cndmask_b32_e64 v4, v4, v5, s[4:5]
	v_cndmask_b32_e64 v5, v20, 1.0, vcc
	v_cmp_eq_f32_e32 vcc, v7, v21
	v_mul_f32_e32 v7, 0.5, v21
	v_trunc_f32_e32 v9, v7
	v_cmp_neq_f32_e64 s[4:5], v9, v7
	s_and_b64 s[4:5], vcc, s[4:5]
	s_nop 0
	v_cndmask_b32_e64 v7, 1.0, v5, s[4:5]
	v_bfi_b32 v4, s18, v4, v7
	v_cndmask_b32_e32 v7, v8, v4, vcc
	v_cmp_gt_f32_e32 vcc, 0, v5
	s_nop 1
	v_cndmask_b32_e32 v4, v4, v7, vcc
	v_cmp_eq_f32_e32 vcc, s7, v22
	v_cmp_eq_f32_e64 s[6:7], 0, v5
	s_xor_b64 s[8:9], s[8:9], s[6:7]
	v_cndmask_b32_e64 v6, v6, 0, s[8:9]
	v_cndmask_b32_e64 v7, 0, v5, s[4:5]
	v_bfi_b32 v6, s18, v6, v7
	s_or_b64 vcc, vcc, s[6:7]
	v_cndmask_b32_e32 v4, v4, v6, vcc
	v_cmp_o_f32_e32 vcc, v5, v5
	s_nop 1
	v_cndmask_b32_e32 v53, v8, v4, vcc
.LBB62_4:
	s_lshl_b32 s4, s2, 3
	v_bfe_u32 v74, v0, 10, 10
	v_and_b32_e32 v40, 0x3ff, v0
	v_mul_hi_u32 v3, s10, v3
	v_cmp_gt_u32_e64 s[18:19], 28, v40
	v_add_u32_e32 v41, s4, v74
	s_and_saveexec_b64 s[4:5], s[18:19]
	s_cbranch_execz .LBB62_6
; %bb.5:
	s_load_dwordx4 s[44:47], s[0:1], 0x70
	v_mul_hi_u32 v0, s28, v41
	v_add_u32_e32 v0, v41, v0
	v_lshrrev_b32_e32 v0, s29, v0
	v_mul_lo_u32 v0, v0, s30
	s_waitcnt lgkmcnt(0)
	s_mul_i32 s6, s33, s46
	s_ashr_i32 s8, s6, 31
	s_mul_i32 s7, s34, s45
	s_add_u32 s6, s12, s6
	s_addc_u32 s8, s13, s8
	s_ashr_i32 s9, s7, 31
	s_add_u32 s6, s6, s7
	s_addc_u32 s7, s8, s9
	v_sub_u32_e32 v6, v41, v0
	s_ashr_i32 s12, s44, 31
	v_mov_b32_e32 v0, s44
	v_alignbit_b32 v0, s12, v0, 2
	v_mad_u64_u32 v[4:5], s[8:9], v0, v6, 0
	v_mov_b32_e32 v0, v5
	s_lshr_b32 s8, s12, 2
	v_mad_u64_u32 v[6:7], s[8:9], s8, v6, v[0:1]
	v_mov_b32_e32 v5, v6
	v_lshl_add_u64 v[4:5], v[4:5], 2, s[6:7]
	v_lshlrev_b32_e32 v6, 4, v40
	v_mov_b32_e32 v7, 0
	v_lshl_add_u64 v[4:5], v[4:5], 0, v[6:7]
	global_load_dwordx4 v[4:7], v[4:5], off
	v_mul_u32_u24_e32 v0, 56, v74
	s_waitcnt vmcnt(0)
	v_pk_mul_f32 v[4:5], v[4:5], s[36:37] op_sel_hi:[1,0]
	v_pk_mul_f32 v[6:7], v[6:7], s[36:37] op_sel_hi:[1,0]
	v_cvt_f16_f32_e32 v8, v5
	v_cvt_f16_f32_e32 v5, v7
	v_cvt_f16_f32_e32 v6, v6
	v_cvt_f16_f32_e32 v4, v4
	v_lshlrev_b32_e32 v7, 1, v40
	v_add_lshl_u32 v0, v0, v7, 2
	v_pack_b32_f16 v5, v6, v5
	v_pack_b32_f16 v4, v4, v8
	ds_write_b64 v0, v[4:5] offset:4160
.LBB62_6:
	s_or_b64 exec, exec, s[4:5]
	s_ashr_i32 s35, s34, 31
	v_ashrrev_i32_e32 v0, 31, v2
	s_cmp_eq_u64 s[22:23], 0
	s_waitcnt lgkmcnt(0)
	s_barrier
	s_cbranch_scc1 .LBB62_8
; %bb.7:
	s_load_dword s4, s[0:1], 0xd0
	s_mov_b32 s5, 0
	s_waitcnt lgkmcnt(0)
	s_mul_i32 s4, s4, s33
	s_add_i32 s4, s4, s2
	s_lshl_b64 s[4:5], s[4:5], 2
	s_add_u32 s4, s22, s4
	s_addc_u32 s5, s23, s5
	s_load_dword s42, s[4:5], 0x0
.LBB62_8:
	v_mul_lo_u32 v2, v3, v1
	s_load_dwordx2 s[8:9], s[0:1], 0x8c
	s_load_dwordx4 s[4:7], s[0:1], 0x98
	s_load_dwordx2 s[12:13], s[0:1], 0xa8
	v_sub_u32_e32 v2, s10, v2
	v_add_u32_e32 v4, 1, v3
	v_sub_u32_e32 v5, v2, v1
	v_cmp_ge_u32_e32 vcc, v2, v1
	s_waitcnt lgkmcnt(0)
	s_ashr_i32 s45, s8, 2
	s_ashr_i32 s2, s6, 2
	v_cndmask_b32_e32 v3, v3, v4, vcc
	v_cndmask_b32_e32 v2, v2, v5, vcc
	v_add_u32_e32 v4, 1, v3
	v_cmp_ge_u32_e32 vcc, v2, v1
	s_ashr_i32 s6, s33, 31
	s_mul_i32 s5, s33, s5
	s_mul_hi_u32 s8, s33, s4
	v_xor_b32_e32 v0, s35, v0
	v_cndmask_b32_e32 v1, v3, v4, vcc
	s_add_i32 s5, s8, s5
	s_mul_i32 s8, s6, s4
	v_xor_b32_e32 v1, v1, v0
	s_ashr_i32 s44, s11, 1
	s_add_i32 s5, s5, s8
	s_mul_i32 s4, s33, s4
	v_sub_u32_e32 v2, v1, v0
	s_add_u32 s4, s14, s4
	v_mul_lo_u32 v0, v2, s9
	s_addc_u32 s5, s15, s5
	v_ashrrev_i32_e32 v1, 31, v0
	v_lshl_add_u64 v[44:45], s[4:5], 0, v[0:1]
	s_mul_i32 s4, s33, s13
	s_mul_hi_u32 s5, s33, s12
	s_add_i32 s4, s5, s4
	s_mul_i32 s6, s6, s12
	s_add_i32 s5, s4, s6
	s_mul_i32 s4, s33, s12
	s_add_u32 s4, s16, s4
	v_mul_lo_u32 v0, v2, s7
	s_addc_u32 s5, s17, s5
	v_ashrrev_i32_e32 v1, 31, v0
	s_lshl_b32 s43, s3, 5
	s_sub_i32 s46, s42, 32
	v_lshl_add_u64 v[42:43], s[4:5], 0, v[0:1]
	s_cmp_ge_i32 s43, s46
	v_mov_b32_e32 v59, 0
	v_lshl_add_u32 v83, v74, 5, v40
	v_lshrrev_b32_e32 v82, 1, v40
	v_lshrrev_b32_e32 v81, 2, v40
	v_lshlrev_b32_e32 v78, 7, v40
	v_lshlrev_b32_e32 v75, 2, v40
	v_lshrrev_b32_e32 v76, 3, v40
	v_lshlrev_b32_e32 v49, 3, v40
	v_mbcnt_lo_u32_b32 v77, -1, 0
	s_cbranch_scc1 .LBB62_39
; %bb.9:
	v_mul_hi_u32 v4, s28, v41
	v_add_u32_e32 v4, v41, v4
	v_lshrrev_b32_e32 v4, s29, v4
	v_mul_lo_u32 v4, v4, s30
	v_lshl_add_u32 v0, v74, 4, v82
	s_movk_i32 s16, 0xe0
	v_mov_b32_e32 v2, 0x1040
	v_and_b32_e32 v48, 4, v75
	v_sub_u32_e32 v4, v41, v4
	v_lshl_add_u32 v1, v74, 3, v81
	v_mad_u32_u24 v84, v74, s16, v2
	v_lshlrev_b32_e32 v2, 7, v0
	v_lshlrev_b32_e32 v3, 2, v48
	v_and_b32_e32 v52, 12, v75
	v_mad_u64_u32 v[58:59], s[10:11], v4, s44, v[40:41]
	v_mov_b32_e32 v4, 0x1740
	v_cmp_gt_u32_e64 s[6:7], 32, v0
	v_or3_b32 v86, v2, v3, 64
	v_mul_lo_u32 v50, s45, v0
	v_lshlrev_b32_e32 v2, 2, v52
	s_cmp_lg_u64 s[40:41], 0
	v_lshl_add_u32 v88, v74, 6, v4
	v_cmp_gt_u32_e64 s[10:11], 16, v0
	v_lshl_add_u32 v4, v74, 2, v76
	v_mul_u32_u24_e32 v5, 0xe0, v0
	v_mul_lo_u32 v60, s2, v0
	v_mul_u32_u24_e32 v0, 0xe0, v1
	s_movk_i32 s17, 0x80
	v_and_b32_e32 v64, 28, v75
	v_mul_lo_u32 v46, s45, v83
	v_mul_lo_u32 v56, s45, v1
	s_cselect_b64 s[22:23], -1, 0
	v_or_b32_e32 v3, v5, v3
	v_add3_u32 v91, v0, v2, s17
	v_mul_lo_u32 v62, s2, v1
	v_lshlrev_b32_e32 v0, 2, v64
	v_mul_lo_u32 v66, s2, v4
	s_add_u32 s36, s0, 0xd0
	v_cmp_gt_u32_e64 s[4:5], 32, v83
	v_cmp_gt_u32_e64 s[8:9], 32, v1
	v_or_b32_e32 v85, 0x60, v78
	v_ashrrev_i32_e32 v47, 31, v46
	v_ashrrev_i32_e32 v51, 31, v50
	v_mov_b32_e32 v55, 0
	v_lshl_or_b32 v87, v1, 7, v2
	v_ashrrev_i32_e32 v57, 31, v56
	v_lshl_add_u32 v89, v40, 1, v88
	v_cmp_gt_u32_e64 s[12:13], 16, v1
	v_cmp_gt_u32_e64 s[14:15], 16, v4
	v_add_u32_e32 v90, 0xc0, v3
	v_ashrrev_i32_e32 v61, 31, v60
	v_ashrrev_i32_e32 v63, 31, v62
	v_mad_u32_u24 v92, v4, s16, v0
	v_ashrrev_i32_e32 v67, 31, v66
	s_addc_u32 s37, s1, 0
	v_mov_b32_e32 v6, 0xfeffffff
	v_mbcnt_hi_u32_b32 v93, -1, v77
	s_mov_b32 s47, 0x3fb8aa3b
	s_mov_b32 s48, 0xc2ce8ed0
	;; [unrolled: 1-line block ×3, first 2 shown]
	v_mov_b32_e32 v94, 0x7f800000
	v_mov_b32_e32 v65, 0
	;; [unrolled: 1-line block ×4, first 2 shown]
.LBB62_10:                              ; =>This Inner Loop Header: Depth=1
	s_mul_hi_i32 s17, s43, s45
	s_mul_i32 s16, s43, s45
	s_lshl_b64 s[16:17], s[16:17], 2
	v_lshl_add_u64 v[4:5], v[44:45], 0, s[16:17]
	v_lshl_add_u64 v[2:3], v[46:47], 2, v[4:5]
	s_and_saveexec_b64 s[16:17], s[4:5]
	s_cbranch_execz .LBB62_12
; %bb.11:                               ;   in Loop: Header=BB62_10 Depth=1
	global_load_dwordx4 v[8:11], v[2:3], off offset:96
	s_waitcnt vmcnt(0)
	ds_write_b128 v85, v[8:11]
.LBB62_12:                              ;   in Loop: Header=BB62_10 Depth=1
	s_or_b64 exec, exec, s[16:17]
	v_lshl_add_u64 v[0:1], v[50:51], 2, v[4:5]
	v_lshlrev_b32_e32 v54, 2, v48
	s_and_saveexec_b64 s[16:17], s[6:7]
	s_cbranch_execz .LBB62_14
; %bb.13:                               ;   in Loop: Header=BB62_10 Depth=1
	v_lshl_add_u64 v[8:9], v[0:1], 0, v[54:55]
	global_load_dwordx4 v[8:11], v[8:9], off offset:64
	s_waitcnt vmcnt(0)
	ds_write_b128 v86, v[8:11]
.LBB62_14:                              ;   in Loop: Header=BB62_10 Depth=1
	s_or_b64 exec, exec, s[16:17]
	v_lshl_add_u64 v[4:5], v[56:57], 2, v[4:5]
	v_lshlrev_b32_e32 v68, 2, v52
	s_and_saveexec_b64 s[16:17], s[8:9]
	s_cbranch_execz .LBB62_16
; %bb.15:                               ;   in Loop: Header=BB62_10 Depth=1
	v_mov_b32_e32 v69, v55
	v_lshl_add_u64 v[8:9], v[4:5], 0, v[68:69]
	global_load_dwordx4 v[8:11], v[8:9], off
	s_waitcnt vmcnt(0)
	ds_write_b128 v87, v[8:11]
.LBB62_16:                              ;   in Loop: Header=BB62_10 Depth=1
	s_or_b64 exec, exec, s[16:17]
	s_waitcnt lgkmcnt(0)
	s_barrier
	ds_read_b128 v[8:11], v78
	ds_read_b128 v[12:15], v84
	v_mov_b32_e32 v7, 0
	s_waitcnt lgkmcnt(0)
	;;#ASMSTART
	v_dot2_f32_f16 v7, v8, v12, v7
	;;#ASMEND
	s_nop 0
	;;#ASMSTART
	v_dot2_f32_f16 v7, v9, v13, v7
	;;#ASMEND
	s_nop 0
	;;#ASMSTART
	v_dot2_f32_f16 v7, v10, v14, v7
	;;#ASMEND
	s_nop 0
	;;#ASMSTART
	v_dot2_f32_f16 v7, v11, v15, v7
	;;#ASMEND
	ds_read_b128 v[8:11], v78 offset:16
	ds_read_b128 v[12:15], v84 offset:16
	s_waitcnt lgkmcnt(0)
	;;#ASMSTART
	v_dot2_f32_f16 v7, v8, v12, v7
	;;#ASMEND
	s_nop 0
	;;#ASMSTART
	v_dot2_f32_f16 v7, v9, v13, v7
	;;#ASMEND
	s_nop 0
	;;#ASMSTART
	v_dot2_f32_f16 v7, v10, v14, v7
	;;#ASMEND
	s_nop 0
	;;#ASMSTART
	v_dot2_f32_f16 v7, v11, v15, v7
	;;#ASMEND
	ds_read_b128 v[8:11], v78 offset:32
	ds_read_b128 v[12:15], v84 offset:32
	;; [unrolled: 18-line block ×6, first 2 shown]
	s_waitcnt lgkmcnt(0)
	;;#ASMSTART
	v_dot2_f32_f16 v7, v8, v12, v7
	;;#ASMEND
	s_nop 0
	;;#ASMSTART
	v_dot2_f32_f16 v7, v9, v13, v7
	;;#ASMEND
	s_nop 0
	;; [unrolled: 4-line block ×3, first 2 shown]
	;;#ASMSTART
	v_dot2_f32_f16 v7, v11, v15, v7
	;;#ASMEND
	s_barrier
	s_and_saveexec_b64 s[16:17], s[4:5]
	s_cbranch_execnz .LBB62_22
; %bb.17:                               ;   in Loop: Header=BB62_10 Depth=1
	s_or_b64 exec, exec, s[16:17]
	s_and_saveexec_b64 s[16:17], s[6:7]
	s_cbranch_execnz .LBB62_23
.LBB62_18:                              ;   in Loop: Header=BB62_10 Depth=1
	s_or_b64 exec, exec, s[16:17]
	s_and_saveexec_b64 s[16:17], s[8:9]
	s_cbranch_execz .LBB62_20
.LBB62_19:                              ;   in Loop: Header=BB62_10 Depth=1
	v_mov_b32_e32 v69, v55
	v_lshl_add_u64 v[0:1], v[4:5], 0, v[68:69]
	global_load_dwordx4 v[0:3], v[0:1], off offset:112
	s_waitcnt vmcnt(0)
	ds_write_b128 v87, v[0:3]
.LBB62_20:                              ;   in Loop: Header=BB62_10 Depth=1
	s_or_b64 exec, exec, s[16:17]
	s_waitcnt lgkmcnt(0)
	s_barrier
	ds_read_b128 v[0:3], v78
	ds_read_b128 v[8:11], v84 offset:112
	s_andn2_b64 vcc, exec, s[22:23]
	s_waitcnt lgkmcnt(0)
	;;#ASMSTART
	v_dot2_f32_f16 v7, v0, v8, v7
	;;#ASMEND
	s_nop 0
	;;#ASMSTART
	v_dot2_f32_f16 v7, v1, v9, v7
	;;#ASMEND
	s_nop 0
	;;#ASMSTART
	v_dot2_f32_f16 v7, v2, v10, v7
	;;#ASMEND
	s_nop 0
	;;#ASMSTART
	v_dot2_f32_f16 v7, v3, v11, v7
	;;#ASMEND
	ds_read_b128 v[0:3], v78 offset:16
	ds_read_b128 v[8:11], v84 offset:128
	s_waitcnt lgkmcnt(0)
	;;#ASMSTART
	v_dot2_f32_f16 v7, v0, v8, v7
	;;#ASMEND
	s_nop 0
	;;#ASMSTART
	v_dot2_f32_f16 v7, v1, v9, v7
	;;#ASMEND
	s_nop 0
	;;#ASMSTART
	v_dot2_f32_f16 v7, v2, v10, v7
	;;#ASMEND
	s_nop 0
	;;#ASMSTART
	v_dot2_f32_f16 v7, v3, v11, v7
	;;#ASMEND
	ds_read_b128 v[0:3], v78 offset:32
	ds_read_b128 v[8:11], v84 offset:144
	;; [unrolled: 18-line block ×6, first 2 shown]
	s_waitcnt lgkmcnt(0)
	;;#ASMSTART
	v_dot2_f32_f16 v7, v0, v8, v7
	;;#ASMEND
	s_nop 0
	;;#ASMSTART
	v_dot2_f32_f16 v7, v1, v9, v7
	;;#ASMEND
	s_nop 0
	;; [unrolled: 4-line block ×3, first 2 shown]
	;;#ASMSTART
	v_dot2_f32_f16 v7, v3, v11, v7
	;;#ASMEND
	s_cbranch_vccnz .LBB62_24
; %bb.21:                               ;   in Loop: Header=BB62_10 Depth=1
	v_add_u32_e32 v0, s43, v58
	v_ashrrev_i32_e32 v1, 31, v0
	v_lshl_add_u64 v[0:1], v[0:1], 1, s[40:41]
	flat_load_ushort v0, v[0:1]
	s_waitcnt vmcnt(0) lgkmcnt(0)
	v_cvt_f32_f16_e32 v0, v0
	v_mul_f32_e32 v0, v53, v0
	s_branch .LBB62_25
.LBB62_22:                              ;   in Loop: Header=BB62_10 Depth=1
	global_load_dwordx4 v[8:11], v[2:3], off offset:208
	s_waitcnt vmcnt(0)
	ds_write_b128 v85, v[8:11]
	s_or_b64 exec, exec, s[16:17]
	s_and_saveexec_b64 s[16:17], s[6:7]
	s_cbranch_execz .LBB62_18
.LBB62_23:                              ;   in Loop: Header=BB62_10 Depth=1
	v_lshl_add_u64 v[0:1], v[0:1], 0, v[54:55]
	global_load_dwordx4 v[0:3], v[0:1], off offset:176
	s_waitcnt vmcnt(0)
	ds_write_b128 v86, v[0:3]
	s_or_b64 exec, exec, s[16:17]
	s_and_saveexec_b64 s[16:17], s[8:9]
	s_cbranch_execnz .LBB62_19
	s_branch .LBB62_20
.LBB62_24:                              ;   in Loop: Header=BB62_10 Depth=1
	v_mov_b32_e32 v0, 0
.LBB62_25:                              ;   in Loop: Header=BB62_10 Depth=1
	v_add_f32_e32 v0, v7, v0
	v_add_f32_e32 v1, 0x40051340, v0
	v_max_f32_e32 v2, v6, v6
	v_max_f32_e32 v1, v2, v1
	v_and_b32_e32 v2, 0x60, v93
	v_add_u32_e32 v2, 32, v2
	v_xor_b32_e32 v3, 16, v93
	v_cmp_lt_i32_e32 vcc, v3, v2
	s_mul_hi_i32 s17, s43, s2
	s_mul_i32 s16, s43, s2
	v_cndmask_b32_e32 v3, v93, v3, vcc
	v_lshlrev_b32_e32 v3, 2, v3
	ds_bpermute_b32 v3, v3, v1
	s_lshl_b64 s[16:17], s[16:17], 2
	s_waitcnt lgkmcnt(0)
	s_barrier
	v_max_f32_e32 v3, v3, v3
	v_max_f32_e32 v1, v1, v3
	v_xor_b32_e32 v3, 8, v93
	v_cmp_lt_i32_e32 vcc, v3, v2
	s_nop 1
	v_cndmask_b32_e32 v3, v93, v3, vcc
	v_lshlrev_b32_e32 v3, 2, v3
	ds_bpermute_b32 v3, v3, v1
	s_waitcnt lgkmcnt(0)
	v_max_f32_e32 v3, v3, v3
	v_max_f32_e32 v1, v1, v3
	v_xor_b32_e32 v3, 4, v93
	v_cmp_lt_i32_e32 vcc, v3, v2
	s_nop 1
	v_cndmask_b32_e32 v3, v93, v3, vcc
	v_lshlrev_b32_e32 v3, 2, v3
	ds_bpermute_b32 v3, v3, v1
	s_waitcnt lgkmcnt(0)
	;; [unrolled: 9-line block ×4, first 2 shown]
	v_max_f32_e32 v2, v2, v2
	v_max_f32_e32 v80, v1, v2
	v_sub_f32_e32 v0, v0, v80
	v_mul_f32_e32 v1, 0x3fb8aa3b, v0
	v_fma_f32 v2, v0, s47, -v1
	v_rndne_f32_e32 v3, v1
	v_fmac_f32_e32 v2, 0x32a5705f, v0
	v_sub_f32_e32 v1, v1, v3
	v_add_f32_e32 v1, v1, v2
	v_exp_f32_e32 v1, v1
	v_cvt_i32_f32_e32 v2, v3
	v_cmp_ngt_f32_e32 vcc, s48, v0
	v_ldexp_f32 v1, v1, v2
	s_nop 0
	v_cndmask_b32_e32 v1, 0, v1, vcc
	v_cmp_nlt_f32_e32 vcc, s49, v0
	s_nop 1
	v_cndmask_b32_e32 v79, v94, v1, vcc
	v_cvt_f16_f32_e32 v0, v79
	ds_write_b16 v89, v0
	v_lshl_add_u64 v[0:1], v[42:43], 0, s[16:17]
	s_and_saveexec_b64 s[16:17], s[10:11]
	s_cbranch_execnz .LBB62_35
; %bb.26:                               ;   in Loop: Header=BB62_10 Depth=1
	s_or_b64 exec, exec, s[16:17]
	s_and_saveexec_b64 s[16:17], s[12:13]
	s_cbranch_execnz .LBB62_36
.LBB62_27:                              ;   in Loop: Header=BB62_10 Depth=1
	s_or_b64 exec, exec, s[16:17]
	v_lshlrev_b32_e32 v70, 2, v64
	s_and_saveexec_b64 s[16:17], s[14:15]
	s_cbranch_execz .LBB62_29
.LBB62_28:                              ;   in Loop: Header=BB62_10 Depth=1
	v_lshl_add_u64 v[0:1], v[66:67], 2, v[0:1]
	v_mov_b32_e32 v71, v55
	v_lshl_add_u64 v[0:1], v[0:1], 0, v[70:71]
	global_load_dwordx4 v[0:3], v[0:1], off
	s_waitcnt vmcnt(0)
	ds_write_b128 v92, v[0:3]
.LBB62_29:                              ;   in Loop: Header=BB62_10 Depth=1
	s_or_b64 exec, exec, s[16:17]
	s_waitcnt lgkmcnt(0)
	s_barrier
	ds_read2_b64 v[28:31], v49 offset1:28
	ds_read_b128 v[8:11], v88
	ds_read_b128 v[0:3], v88 offset:16
	ds_read2_b64 v[36:39], v49 offset0:56 offset1:84
	ds_read2_b64 v[32:35], v49 offset0:112 offset1:140
	;; [unrolled: 1-line block ×4, first 2 shown]
	v_add_u32_e32 v96, 0x800, v49
	v_sub_f32_e32 v97, v6, v80
	ds_read2_b64 v[20:23], v96 offset0:24 offset1:52
	ds_read2_b64 v[12:15], v96 offset0:80 offset1:108
	;; [unrolled: 1-line block ×3, first 2 shown]
	s_or_b32 s38, s43, 16
	s_mul_hi_i32 s39, s38, s2
	s_mul_i32 s38, s38, s2
	s_lshl_b64 s[38:39], s[38:39], 2
	v_cmp_ngt_f32_e32 vcc, s48, v97
	v_cmp_nlt_f32_e64 s[16:17], s49, v97
	v_lshl_add_u64 v[72:73], v[42:43], 0, s[38:39]
	s_waitcnt lgkmcnt(0)
	s_barrier
	s_and_saveexec_b64 s[38:39], s[10:11]
	s_cbranch_execnz .LBB62_37
; %bb.30:                               ;   in Loop: Header=BB62_10 Depth=1
	s_or_b64 exec, exec, s[38:39]
	s_and_saveexec_b64 s[38:39], s[12:13]
	s_cbranch_execnz .LBB62_38
.LBB62_31:                              ;   in Loop: Header=BB62_10 Depth=1
	s_or_b64 exec, exec, s[38:39]
	s_and_saveexec_b64 s[38:39], s[14:15]
	s_cbranch_execz .LBB62_33
.LBB62_32:                              ;   in Loop: Header=BB62_10 Depth=1
	v_lshl_add_u64 v[68:69], v[66:67], 2, v[72:73]
	v_mov_b32_e32 v71, v55
	v_lshl_add_u64 v[68:69], v[68:69], 0, v[70:71]
	global_load_dwordx4 v[68:71], v[68:69], off
	s_waitcnt vmcnt(0)
	ds_write_b128 v92, v[68:71]
.LBB62_33:                              ;   in Loop: Header=BB62_10 Depth=1
	s_or_b64 exec, exec, s[38:39]
	v_mul_f32_e32 v54, 0x3fb8aa3b, v97
	v_fma_f32 v68, v97, s47, -v54
	v_rndne_f32_e32 v69, v54
	v_fmac_f32_e32 v68, 0x32a5705f, v97
	v_sub_f32_e32 v54, v54, v69
	v_add_f32_e32 v54, v54, v68
	v_cvt_i32_f32_e32 v68, v69
	v_exp_f32_e32 v54, v54
	v_pk_mul_f16 v28, v28, v8 op_sel_hi:[1,0]
	v_pk_mul_f16 v29, v29, v8 op_sel_hi:[1,0]
	s_waitcnt lgkmcnt(0)
	v_ldexp_f32 v54, v54, v68
	v_cndmask_b32_e32 v54, 0, v54, vcc
	v_cndmask_b32_e64 v54, v94, v54, s[16:17]
	v_cvt_f16_f32_e32 v68, v54
	s_barrier
	v_fmac_f32_e32 v79, v95, v54
	v_pk_fma_f16 v28, v65, v68, v28 op_sel_hi:[1,0,1]
	v_pk_fma_f16 v29, v59, v68, v29 op_sel_hi:[1,0,1]
	v_pk_fma_f16 v28, v30, v8, v28 op_sel:[0,1,0]
	v_pk_fma_f16 v8, v31, v8, v29 op_sel:[0,1,0]
	v_pk_fma_f16 v28, v36, v9, v28 op_sel_hi:[1,0,1]
	v_pk_fma_f16 v8, v37, v9, v8 op_sel_hi:[1,0,1]
	v_pk_fma_f16 v28, v38, v9, v28 op_sel:[0,1,0]
	v_pk_fma_f16 v8, v39, v9, v8 op_sel:[0,1,0]
	;; [unrolled: 4-line block ×7, first 2 shown]
	ds_read2_b64 v[8:11], v49 offset1:28
	ds_read_b128 v[12:15], v88 offset:32
	v_pk_fma_f16 v1, v4, v3, v1 op_sel_hi:[1,0,1]
	v_pk_fma_f16 v0, v5, v3, v0 op_sel_hi:[1,0,1]
	v_pk_fma_f16 v4, v6, v3, v1 op_sel:[0,1,0]
	v_pk_fma_f16 v16, v7, v3, v0 op_sel:[0,1,0]
	s_waitcnt lgkmcnt(0)
	v_pk_fma_f16 v8, v8, v12, v4 op_sel_hi:[1,0,1]
	ds_read2_b64 v[4:7], v49 offset0:56 offset1:84
	v_pk_fma_f16 v9, v9, v12, v16 op_sel_hi:[1,0,1]
	v_pk_fma_f16 v16, v10, v12, v8 op_sel:[0,1,0]
	v_pk_fma_f16 v12, v11, v12, v9 op_sel:[0,1,0]
	ds_read2_b64 v[8:11], v49 offset0:112 offset1:140
	s_waitcnt lgkmcnt(1)
	v_pk_fma_f16 v4, v4, v13, v16 op_sel_hi:[1,0,1]
	v_pk_fma_f16 v5, v5, v13, v12 op_sel_hi:[1,0,1]
	v_pk_fma_f16 v4, v6, v13, v4 op_sel:[0,1,0]
	v_pk_fma_f16 v12, v7, v13, v5 op_sel:[0,1,0]
	s_waitcnt lgkmcnt(0)
	v_pk_fma_f16 v8, v8, v14, v4 op_sel_hi:[1,0,1]
	ds_read2_b64 v[4:7], v49 offset0:168 offset1:196
	v_pk_fma_f16 v9, v9, v14, v12 op_sel_hi:[1,0,1]
	ds_read_b128 v[0:3], v88 offset:48
	v_pk_fma_f16 v12, v10, v14, v8 op_sel:[0,1,0]
	v_pk_fma_f16 v13, v11, v14, v9 op_sel:[0,1,0]
	ds_read2_b64 v[8:11], v49 offset0:224 offset1:252
	s_waitcnt lgkmcnt(2)
	v_pk_fma_f16 v4, v4, v15, v12 op_sel_hi:[1,0,1]
	v_pk_fma_f16 v5, v5, v15, v13 op_sel_hi:[1,0,1]
	v_pk_fma_f16 v4, v6, v15, v4 op_sel:[0,1,0]
	v_pk_fma_f16 v12, v7, v15, v5 op_sel:[0,1,0]
	s_waitcnt lgkmcnt(0)
	v_pk_fma_f16 v8, v8, v0, v4 op_sel_hi:[1,0,1]
	ds_read2_b64 v[4:7], v96 offset0:24 offset1:52
	v_pk_fma_f16 v9, v9, v0, v12 op_sel_hi:[1,0,1]
	v_pk_fma_f16 v12, v10, v0, v8 op_sel:[0,1,0]
	v_pk_fma_f16 v0, v11, v0, v9 op_sel:[0,1,0]
	ds_read2_b64 v[8:11], v96 offset0:80 offset1:108
	s_waitcnt lgkmcnt(1)
	v_pk_fma_f16 v4, v4, v1, v12 op_sel_hi:[1,0,1]
	v_pk_fma_f16 v0, v5, v1, v0 op_sel_hi:[1,0,1]
	v_pk_fma_f16 v4, v6, v1, v4 op_sel:[0,1,0]
	v_pk_fma_f16 v0, v7, v1, v0 op_sel:[0,1,0]
	s_waitcnt lgkmcnt(0)
	v_pk_fma_f16 v1, v8, v2, v4 op_sel_hi:[1,0,1]
	ds_read2_b64 v[4:7], v96 offset0:136 offset1:164
	s_waitcnt lgkmcnt(0)
	s_barrier
	s_load_dword s16, s[36:37], 0x4
	v_pk_fma_f16 v0, v9, v2, v0 op_sel_hi:[1,0,1]
	v_pk_fma_f16 v1, v10, v2, v1 op_sel:[0,1,0]
	v_pk_fma_f16 v0, v11, v2, v0 op_sel:[0,1,0]
	v_pk_fma_f16 v1, v4, v3, v1 op_sel_hi:[1,0,1]
	s_waitcnt lgkmcnt(0)
	s_lshl_b32 s16, s16, 5
	v_pk_fma_f16 v0, v5, v3, v0 op_sel_hi:[1,0,1]
	s_add_i32 s43, s16, s43
	v_pk_fma_f16 v65, v6, v3, v1 op_sel:[0,1,0]
	s_cmp_lt_i32 s43, s46
	v_pk_fma_f16 v59, v7, v3, v0 op_sel:[0,1,0]
	s_cbranch_scc0 .LBB62_40
; %bb.34:                               ;   in Loop: Header=BB62_10 Depth=1
	v_mov_b32_e32 v6, v80
	v_mov_b32_e32 v95, v79
	s_branch .LBB62_10
.LBB62_35:                              ;   in Loop: Header=BB62_10 Depth=1
	v_lshl_add_u64 v[2:3], v[60:61], 2, v[0:1]
	v_lshl_add_u64 v[2:3], v[2:3], 0, v[54:55]
	global_load_dwordx4 v[2:5], v[2:3], off offset:192
	s_waitcnt vmcnt(0)
	ds_write_b128 v90, v[2:5]
	s_or_b64 exec, exec, s[16:17]
	s_and_saveexec_b64 s[16:17], s[12:13]
	s_cbranch_execz .LBB62_27
.LBB62_36:                              ;   in Loop: Header=BB62_10 Depth=1
	v_lshl_add_u64 v[2:3], v[62:63], 2, v[0:1]
	v_mov_b32_e32 v69, v55
	v_lshl_add_u64 v[2:3], v[2:3], 0, v[68:69]
	global_load_dwordx4 v[2:5], v[2:3], off offset:128
	s_waitcnt vmcnt(0)
	ds_write_b128 v91, v[2:5]
	s_or_b64 exec, exec, s[16:17]
	v_lshlrev_b32_e32 v70, 2, v64
	s_and_saveexec_b64 s[16:17], s[14:15]
	s_cbranch_execnz .LBB62_28
	s_branch .LBB62_29
.LBB62_37:                              ;   in Loop: Header=BB62_10 Depth=1
	v_lshl_add_u64 v[98:99], v[60:61], 2, v[72:73]
	v_lshl_add_u64 v[98:99], v[98:99], 0, v[54:55]
	global_load_dwordx4 v[98:101], v[98:99], off offset:192
	s_waitcnt vmcnt(0)
	ds_write_b128 v90, v[98:101]
	s_or_b64 exec, exec, s[38:39]
	s_and_saveexec_b64 s[38:39], s[12:13]
	s_cbranch_execz .LBB62_31
.LBB62_38:                              ;   in Loop: Header=BB62_10 Depth=1
	v_lshl_add_u64 v[98:99], v[62:63], 2, v[72:73]
	v_mov_b32_e32 v69, v55
	v_lshl_add_u64 v[68:69], v[98:99], 0, v[68:69]
	global_load_dwordx4 v[98:101], v[68:69], off offset:128
	s_waitcnt vmcnt(0)
	ds_write_b128 v91, v[98:101]
	s_or_b64 exec, exec, s[38:39]
	s_and_saveexec_b64 s[38:39], s[14:15]
	s_cbranch_execnz .LBB62_32
	s_branch .LBB62_33
.LBB62_39:
	v_mov_b32_e32 v80, 0xfeffffff
	v_mov_b32_e32 v79, 0
	;; [unrolled: 1-line block ×3, first 2 shown]
.LBB62_40:
	s_cmp_gt_i32 s42, s43
	s_cbranch_scc1 .LBB62_42
; %bb.41:
	v_mbcnt_hi_u32_b32 v61, -1, v77
	v_and_b32_e32 v0, 0x60, v61
	v_add_u32_e32 v62, 32, v0
	v_xor_b32_e32 v63, 16, v61
	v_xor_b32_e32 v64, 8, v61
	v_xor_b32_e32 v66, 4, v61
	v_xor_b32_e32 v67, 2, v61
	v_xor_b32_e32 v68, 1, v61
	v_mov_b32_e32 v48, v80
	s_cbranch_execz .LBB62_43
	s_branch .LBB62_73
.LBB62_42:
                                        ; implicit-def: $vgpr61
                                        ; implicit-def: $vgpr62
                                        ; implicit-def: $vgpr63
                                        ; implicit-def: $vgpr64
                                        ; implicit-def: $vgpr66
                                        ; implicit-def: $vgpr67
                                        ; implicit-def: $vgpr68
	v_mov_b32_e32 v48, v80
.LBB62_43:
	s_mul_hi_i32 s5, s43, s45
	s_mul_i32 s4, s43, s45
	s_lshl_b64 s[4:5], s[4:5], 2
	v_mul_lo_u32 v0, s45, v83
	s_sub_i32 s36, s42, s43
	v_lshl_add_u64 v[2:3], v[44:45], 0, s[4:5]
	v_ashrrev_i32_e32 v1, 31, v0
	v_cmp_gt_u32_e64 s[8:9], 32, v83
	s_mov_b64 s[14:15], src_private_base
	v_or_b32_e32 v11, 0x60, v78
	v_cmp_gt_i32_e64 s[6:7], s36, v83
	v_lshl_add_u64 v[4:5], v[0:1], 2, v[2:3]
	s_and_saveexec_b64 s[4:5], s[8:9]
	s_cbranch_execz .LBB62_45
; %bb.44:
	v_mov_b32_e32 v6, 0
	v_mov_b32_e32 v7, v6
	;; [unrolled: 1-line block ×3, first 2 shown]
	s_mov_b64 s[10:11], 0x60
	scratch_store_dword off, v6, off
	scratch_store_dwordx3 off, v[6:8], off offset:4
	v_lshl_add_u64 v[0:1], v[4:5], 0, s[10:11]
	s_nop 0
	v_mov_b32_e32 v6, s15
	v_cndmask_b32_e64 v1, v6, v1, s[6:7]
	v_mov_b32_e32 v6, 0
	v_cndmask_b32_e64 v0, v6, v0, s[6:7]
	flat_load_dwordx4 v[6:9], v[0:1]
	s_waitcnt vmcnt(0) lgkmcnt(0)
	ds_write_b128 v11, v[6:9]
.LBB62_45:
	s_or_b64 exec, exec, s[4:5]
	v_lshl_add_u32 v58, v74, 4, v82
	v_and_b32_e32 v10, 4, v75
	v_lshlrev_b32_e32 v0, 7, v58
	v_lshlrev_b32_e32 v44, 2, v10
	v_or3_b32 v12, v0, v44, 64
	v_mul_lo_u32 v0, s45, v58
	v_ashrrev_i32_e32 v1, 31, v0
	v_cmp_gt_u32_e64 s[10:11], 32, v58
	v_cmp_gt_i32_e32 vcc, s36, v58
	v_lshl_add_u64 v[6:7], v[0:1], 2, v[2:3]
	s_and_saveexec_b64 s[4:5], s[10:11]
	s_cbranch_execz .LBB62_47
; %bb.46:
	v_mov_b32_e32 v14, 0
	v_mov_b32_e32 v45, v14
	v_lshl_add_u64 v[0:1], v[6:7], 0, v[44:45]
	v_lshl_add_u64 v[0:1], v[0:1], 0, 64
	v_mov_b32_e32 v8, s15
	v_mov_b32_e32 v15, v14
	;; [unrolled: 1-line block ×3, first 2 shown]
	v_cndmask_b32_e32 v1, v8, v1, vcc
	v_mov_b32_e32 v8, 0
	scratch_store_dword off, v14, off
	scratch_store_dwordx3 off, v[14:16], off offset:4
	v_cndmask_b32_e32 v0, v8, v0, vcc
	flat_load_dwordx4 v[14:17], v[0:1]
	s_waitcnt vmcnt(0) lgkmcnt(0)
	ds_write_b128 v12, v[14:17]
.LBB62_47:
	s_or_b64 exec, exec, s[4:5]
	v_lshl_add_u32 v60, v74, 3, v81
	v_and_b32_e32 v1, 12, v75
	v_mul_lo_u32 v8, s45, v60
	v_lshlrev_b32_e32 v46, 2, v1
	v_ashrrev_i32_e32 v9, 31, v8
	v_cmp_gt_u32_e64 s[12:13], 32, v60
	s_mov_b64 s[16:17], src_private_base
	v_mov_b32_e32 v0, 0
	v_lshl_or_b32 v13, v60, 7, v46
	v_cmp_gt_i32_e64 s[4:5], s36, v60
	v_lshl_add_u64 v[8:9], v[8:9], 2, v[2:3]
	s_and_saveexec_b64 s[22:23], s[12:13]
	s_cbranch_execz .LBB62_49
; %bb.48:
	v_mov_b32_e32 v1, v0
	v_mov_b32_e32 v2, v0
	;; [unrolled: 1-line block ×3, first 2 shown]
	scratch_store_dwordx3 off, v[0:2], off offset:4
	scratch_store_dword off, v0, off
	s_nop 0
	v_lshl_add_u64 v[2:3], v[8:9], 0, v[46:47]
	v_mov_b32_e32 v1, s17
	v_cndmask_b32_e64 v3, v1, v3, s[4:5]
	v_mov_b32_e32 v1, 0
	v_cndmask_b32_e64 v2, v1, v2, s[4:5]
	flat_load_dwordx4 v[14:17], v[2:3]
	s_waitcnt vmcnt(0) lgkmcnt(0)
	ds_write_b128 v13, v[14:17]
.LBB62_49:
	s_or_b64 exec, exec, s[22:23]
	v_mul_u32_u24_e32 v1, 0xe0, v74
	s_waitcnt lgkmcnt(0)
	s_barrier
	ds_read_b128 v[14:17], v78
	ds_read_b128 v[18:21], v1 offset:4160
	s_waitcnt lgkmcnt(0)
	;;#ASMSTART
	v_dot2_f32_f16 v0, v14, v18, v0
	;;#ASMEND
	s_nop 0
	;;#ASMSTART
	v_dot2_f32_f16 v0, v15, v19, v0
	;;#ASMEND
	s_movk_i32 s14, 0xe0
	;;#ASMSTART
	v_dot2_f32_f16 v0, v16, v20, v0
	;;#ASMEND
	s_nop 0
	;;#ASMSTART
	v_dot2_f32_f16 v0, v17, v21, v0
	;;#ASMEND
	ds_read_b128 v[14:17], v78 offset:16
	ds_read_b128 v[18:21], v1 offset:4176
	s_waitcnt lgkmcnt(0)
	;;#ASMSTART
	v_dot2_f32_f16 v0, v14, v18, v0
	;;#ASMEND
	s_nop 0
	;;#ASMSTART
	v_dot2_f32_f16 v0, v15, v19, v0
	;;#ASMEND
	s_nop 0
	;;#ASMSTART
	v_dot2_f32_f16 v0, v16, v20, v0
	;;#ASMEND
	s_nop 0
	;;#ASMSTART
	v_dot2_f32_f16 v0, v17, v21, v0
	;;#ASMEND
	ds_read_b128 v[14:17], v78 offset:32
	ds_read_b128 v[18:21], v1 offset:4192
	s_waitcnt lgkmcnt(0)
	;;#ASMSTART
	v_dot2_f32_f16 v0, v14, v18, v0
	;;#ASMEND
	s_nop 0
	;;#ASMSTART
	v_dot2_f32_f16 v0, v15, v19, v0
	;;#ASMEND
	s_nop 0
	;; [unrolled: 18-line block ×6, first 2 shown]
	;;#ASMSTART
	v_dot2_f32_f16 v0, v16, v20, v0
	;;#ASMEND
	s_nop 0
	;;#ASMSTART
	v_dot2_f32_f16 v0, v17, v21, v0
	;;#ASMEND
	s_barrier
	s_and_saveexec_b64 s[22:23], s[8:9]
	s_cbranch_execnz .LBB62_56
; %bb.50:
	s_or_b64 exec, exec, s[22:23]
	v_mov_b32_e32 v1, 0x1040
	s_and_saveexec_b64 s[6:7], s[10:11]
	s_cbranch_execnz .LBB62_57
.LBB62_51:
	s_or_b64 exec, exec, s[6:7]
	v_mad_u32_u24 v1, v74, s14, v1
	s_and_saveexec_b64 s[6:7], s[12:13]
	s_cbranch_execz .LBB62_53
.LBB62_52:
	v_mov_b32_e32 v2, 0
	v_mov_b32_e32 v3, v2
	;; [unrolled: 1-line block ×4, first 2 shown]
	scratch_store_dword off, v2, off
	scratch_store_dwordx3 off, v[2:4], off offset:4
	s_mov_b64 s[8:9], 0x70
	s_nop 0
	v_lshl_add_u64 v[2:3], v[8:9], 0, v[46:47]
	v_lshl_add_u64 v[2:3], v[2:3], 0, s[8:9]
	v_mov_b32_e32 v4, s17
	v_cndmask_b32_e64 v3, v4, v3, s[4:5]
	v_mov_b32_e32 v4, 0
	v_cndmask_b32_e64 v2, v4, v2, s[4:5]
	flat_load_dwordx4 v[2:5], v[2:3]
	s_waitcnt vmcnt(0) lgkmcnt(0)
	ds_write_b128 v13, v[2:5]
.LBB62_53:
	s_or_b64 exec, exec, s[6:7]
	s_waitcnt lgkmcnt(0)
	s_barrier
	ds_read_b128 v[2:5], v78
	ds_read_b128 v[6:9], v1 offset:112
	v_cmp_gt_i32_e64 s[6:7], s36, v40
	s_waitcnt lgkmcnt(0)
	;;#ASMSTART
	v_dot2_f32_f16 v0, v2, v6, v0
	;;#ASMEND
	s_nop 0
	;;#ASMSTART
	v_dot2_f32_f16 v0, v3, v7, v0
	;;#ASMEND
	s_nop 0
	;;#ASMSTART
	v_dot2_f32_f16 v0, v4, v8, v0
	;;#ASMEND
	s_nop 0
	;;#ASMSTART
	v_dot2_f32_f16 v0, v5, v9, v0
	;;#ASMEND
	ds_read_b128 v[2:5], v78 offset:16
	ds_read_b128 v[6:9], v1 offset:128
	s_waitcnt lgkmcnt(0)
	;;#ASMSTART
	v_dot2_f32_f16 v0, v2, v6, v0
	;;#ASMEND
	s_nop 0
	;;#ASMSTART
	v_dot2_f32_f16 v0, v3, v7, v0
	;;#ASMEND
	s_nop 0
	;;#ASMSTART
	v_dot2_f32_f16 v0, v4, v8, v0
	;;#ASMEND
	s_nop 0
	;;#ASMSTART
	v_dot2_f32_f16 v0, v5, v9, v0
	;;#ASMEND
	ds_read_b128 v[2:5], v78 offset:32
	ds_read_b128 v[6:9], v1 offset:144
	;; [unrolled: 18-line block ×6, first 2 shown]
	s_waitcnt lgkmcnt(0)
	;;#ASMSTART
	v_dot2_f32_f16 v0, v2, v6, v0
	;;#ASMEND
	s_nop 0
	;;#ASMSTART
	v_dot2_f32_f16 v0, v3, v7, v0
	;;#ASMEND
	v_mov_b32_e32 v1, v80
	;;#ASMSTART
	v_dot2_f32_f16 v0, v4, v8, v0
	;;#ASMEND
	s_nop 0
	;;#ASMSTART
	v_dot2_f32_f16 v0, v5, v9, v0
	;;#ASMEND
	s_and_saveexec_b64 s[8:9], s[6:7]
	s_cbranch_execz .LBB62_60
; %bb.54:
	s_cmp_eq_u64 s[40:41], 0
	s_cbranch_scc1 .LBB62_58
; %bb.55:
	v_mul_hi_u32 v1, s28, v41
	v_add_u32_e32 v1, v41, v1
	v_lshrrev_b32_e32 v1, s29, v1
	v_mul_lo_u32 v1, v1, s30
	v_sub_u32_e32 v1, v41, v1
	v_mul_lo_u32 v1, v1, s44
	v_add3_u32 v2, v1, v40, s43
	v_ashrrev_i32_e32 v3, 31, v2
	v_lshl_add_u64 v[2:3], v[2:3], 1, s[40:41]
	flat_load_ushort v1, v[2:3]
	s_waitcnt vmcnt(0) lgkmcnt(0)
	v_cvt_f32_f16_e32 v1, v1
	v_mul_f32_e32 v1, v53, v1
	s_branch .LBB62_59
.LBB62_56:
	s_mov_b64 s[8:9], 0xd0
	v_mov_b32_e32 v14, 0
	v_lshl_add_u64 v[2:3], v[4:5], 0, s[8:9]
	v_mov_b32_e32 v1, s15
	v_mov_b32_e32 v15, v14
	;; [unrolled: 1-line block ×3, first 2 shown]
	v_cndmask_b32_e64 v3, v1, v3, s[6:7]
	v_mov_b32_e32 v1, 0
	scratch_store_dword off, v14, off
	scratch_store_dwordx3 off, v[14:16], off offset:4
	v_cndmask_b32_e64 v2, v1, v2, s[6:7]
	flat_load_dwordx4 v[2:5], v[2:3]
	s_waitcnt vmcnt(0) lgkmcnt(0)
	ds_write_b128 v11, v[2:5]
	s_or_b64 exec, exec, s[22:23]
	v_mov_b32_e32 v1, 0x1040
	s_and_saveexec_b64 s[6:7], s[10:11]
	s_cbranch_execz .LBB62_51
.LBB62_57:
	v_mov_b32_e32 v2, 0
	v_mov_b32_e32 v3, v2
	;; [unrolled: 1-line block ×4, first 2 shown]
	scratch_store_dword off, v2, off
	scratch_store_dwordx3 off, v[2:4], off offset:4
	s_mov_b64 s[8:9], 0xb0
	s_nop 0
	v_lshl_add_u64 v[2:3], v[6:7], 0, v[44:45]
	v_lshl_add_u64 v[2:3], v[2:3], 0, s[8:9]
	v_mov_b32_e32 v4, s15
	v_cndmask_b32_e32 v3, v4, v3, vcc
	v_mov_b32_e32 v4, 0
	v_cndmask_b32_e32 v2, v4, v2, vcc
	flat_load_dwordx4 v[2:5], v[2:3]
	s_waitcnt vmcnt(0) lgkmcnt(0)
	ds_write_b128 v12, v[2:5]
	s_or_b64 exec, exec, s[6:7]
	v_mad_u32_u24 v1, v74, s14, v1
	s_and_saveexec_b64 s[6:7], s[12:13]
	s_cbranch_execnz .LBB62_52
	s_branch .LBB62_53
.LBB62_58:
	v_mov_b32_e32 v1, 0
.LBB62_59:
	v_add_f32_e32 v0, v0, v1
	v_add_f32_e32 v1, 0x40051340, v0
	v_max_f32_e32 v2, v80, v80
	v_max_f32_e32 v1, v2, v1
.LBB62_60:
	s_or_b64 exec, exec, s[8:9]
	v_mbcnt_hi_u32_b32 v61, -1, v77
	v_and_b32_e32 v2, 0x60, v61
	v_add_u32_e32 v62, 32, v2
	v_xor_b32_e32 v63, 16, v61
	v_cmp_lt_i32_e64 s[6:7], v63, v62
	v_xor_b32_e32 v64, 8, v61
	v_xor_b32_e32 v66, 4, v61
	v_cndmask_b32_e64 v2, v61, v63, s[6:7]
	v_lshlrev_b32_e32 v2, 2, v2
	ds_bpermute_b32 v2, v2, v1
	v_max_f32_e32 v1, v1, v1
	v_cmp_lt_i32_e64 s[6:7], v64, v62
	v_xor_b32_e32 v67, 2, v61
	v_xor_b32_e32 v68, 1, v61
	s_waitcnt lgkmcnt(0)
	v_max_f32_e32 v2, v2, v2
	v_max_f32_e32 v1, v1, v2
	v_cndmask_b32_e64 v2, v61, v64, s[6:7]
	v_lshlrev_b32_e32 v2, 2, v2
	ds_bpermute_b32 v2, v2, v1
	v_cmp_lt_i32_e64 s[6:7], v66, v62
	s_waitcnt lgkmcnt(0)
	s_barrier
	v_max_f32_e32 v2, v2, v2
	v_max_f32_e32 v1, v1, v2
	v_cndmask_b32_e64 v2, v61, v66, s[6:7]
	v_lshlrev_b32_e32 v2, 2, v2
	ds_bpermute_b32 v2, v2, v1
	v_cmp_lt_i32_e64 s[6:7], v67, v62
	s_mul_hi_i32 s9, s43, s2
	s_mul_i32 s8, s43, s2
	v_mul_lo_u32 v50, s2, v58
	s_waitcnt lgkmcnt(0)
	v_max_f32_e32 v2, v2, v2
	v_max_f32_e32 v1, v1, v2
	v_cndmask_b32_e64 v2, v61, v67, s[6:7]
	v_lshlrev_b32_e32 v2, 2, v2
	ds_bpermute_b32 v2, v2, v1
	v_cmp_lt_i32_e64 s[6:7], v68, v62
	s_lshl_b64 s[8:9], s[8:9], 2
	s_mov_b64 s[12:13], src_private_base
	v_ashrrev_i32_e32 v51, 31, v50
	s_waitcnt lgkmcnt(0)
	v_max_f32_e32 v2, v2, v2
	v_max_f32_e32 v1, v1, v2
	v_cndmask_b32_e64 v2, v61, v68, s[6:7]
	v_lshlrev_b32_e32 v2, 2, v2
	ds_bpermute_b32 v2, v2, v1
	s_mov_b32 s6, 0x3fb8aa3b
	v_lshl_add_u64 v[4:5], v[42:43], 0, s[8:9]
	s_waitcnt lgkmcnt(0)
	v_max_f32_e32 v2, v2, v2
	v_max_f32_e32 v48, v1, v2
	v_sub_f32_e32 v0, v0, v48
	v_mul_f32_e32 v1, 0x3fb8aa3b, v0
	v_fma_f32 v2, v0, s6, -v1
	v_rndne_f32_e32 v3, v1
	v_fmamk_f32 v2, v0, 0x32a5705f, v2
	v_sub_f32_e32 v1, v1, v3
	v_add_f32_e32 v1, v1, v2
	v_exp_f32_e32 v1, v1
	v_cvt_i32_f32_e32 v2, v3
	s_mov_b32 s6, 0xc2ce8ed0
	v_cmp_ngt_f32_e64 s[6:7], s6, v0
	v_ldexp_f32 v1, v1, v2
	s_nop 0
	v_cndmask_b32_e64 v1, 0, v1, s[6:7]
	s_mov_b32 s6, 0x42b17218
	v_mov_b32_e32 v2, 0x7f800000
	v_cmp_nlt_f32_e64 s[6:7], s6, v0
	s_nop 1
	v_cndmask_b32_e64 v0, v2, v1, s[6:7]
	v_cmp_gt_u32_e64 s[6:7], s36, v40
	v_mov_b32_e32 v1, 0x1740
	v_lshl_add_u32 v70, v74, 6, v1
	v_cndmask_b32_e64 v69, 0, v0, s[6:7]
	v_cvt_f16_f32_e32 v0, v69
	v_lshl_add_u32 v1, v40, 1, v70
	v_cmp_gt_u32_e64 s[6:7], 16, v58
	ds_write_b16 v1, v0
	v_mul_u32_u24_e32 v0, 0xe0, v58
	v_lshl_or_b32 v0, v10, 2, v0
	v_add_u32_e32 v71, 0xc0, v0
	s_and_saveexec_b64 s[8:9], s[6:7]
	s_cbranch_execz .LBB62_62
; %bb.61:
	v_mov_b32_e32 v0, 0
	v_mov_b32_e32 v1, v0
	;; [unrolled: 1-line block ×3, first 2 shown]
	scratch_store_dwordx3 off, v[0:2], off offset:4
	v_mov_b32_e32 v45, v0
	scratch_store_dword off, v0, off
	v_lshl_add_u64 v[2:3], v[50:51], 2, v[4:5]
	v_lshl_add_u64 v[0:1], v[2:3], 0, v[44:45]
	s_mov_b64 s[10:11], 0xc0
	v_lshl_add_u64 v[0:1], v[0:1], 0, s[10:11]
	v_mov_b32_e32 v2, s13
	v_cndmask_b32_e32 v1, v2, v1, vcc
	v_mov_b32_e32 v2, 0
	v_cndmask_b32_e32 v0, v2, v0, vcc
	flat_load_dwordx4 v[0:3], v[0:1]
	s_waitcnt vmcnt(0) lgkmcnt(0)
	ds_write_b128 v71, v[0:3]
.LBB62_62:
	s_or_b64 exec, exec, s[8:9]
	v_mul_u32_u24_e32 v0, 0xe0, v60
	s_movk_i32 s8, 0x80
	v_mul_lo_u32 v52, s2, v60
	v_cmp_gt_u32_e32 vcc, 16, v60
	v_add3_u32 v72, v0, v46, s8
	v_ashrrev_i32_e32 v53, 31, v52
	s_and_saveexec_b64 s[8:9], vcc
	s_cbranch_execz .LBB62_64
; %bb.63:
	v_mov_b32_e32 v0, 0
	v_mov_b32_e32 v1, v0
	;; [unrolled: 1-line block ×3, first 2 shown]
	scratch_store_dwordx3 off, v[0:2], off offset:4
	v_mov_b32_e32 v47, v0
	scratch_store_dword off, v0, off
	v_lshl_add_u64 v[2:3], v[52:53], 2, v[4:5]
	v_lshl_add_u64 v[0:1], v[2:3], 0, v[46:47]
	s_mov_b64 s[10:11], 0x80
	v_lshl_add_u64 v[0:1], v[0:1], 0, s[10:11]
	v_mov_b32_e32 v2, s13
	v_cndmask_b32_e64 v1, v2, v1, s[4:5]
	v_mov_b32_e32 v2, 0
	v_cndmask_b32_e64 v0, v2, v0, s[4:5]
	flat_load_dwordx4 v[0:3], v[0:1]
	s_waitcnt vmcnt(0) lgkmcnt(0)
	ds_write_b128 v72, v[0:3]
.LBB62_64:
	s_or_b64 exec, exec, s[8:9]
	v_lshl_add_u32 v73, v74, 2, v76
	v_and_b32_e32 v1, 28, v75
	v_lshlrev_b32_e32 v54, 2, v1
	s_movk_i32 s8, 0xe0
	v_mul_lo_u32 v56, s2, v73
	v_cmp_gt_u32_e64 s[4:5], 16, v73
	s_mov_b64 s[14:15], src_private_base
	v_mov_b32_e32 v0, 0
	v_mad_u32_u24 v74, v73, s8, v54
	v_ashrrev_i32_e32 v57, 31, v56
	s_and_saveexec_b64 s[10:11], s[4:5]
	s_cbranch_execz .LBB62_66
; %bb.65:
	v_mov_b32_e32 v1, v0
	v_mov_b32_e32 v2, v0
	scratch_store_dwordx3 off, v[0:2], off offset:4
	v_mov_b32_e32 v55, v0
	scratch_store_dword off, v0, off
	v_lshl_add_u64 v[2:3], v[56:57], 2, v[4:5]
	v_lshl_add_u64 v[0:1], v[2:3], 0, v[54:55]
	v_mov_b32_e32 v2, s15
	v_cmp_gt_i32_e64 s[8:9], s36, v73
	s_nop 1
	v_cndmask_b32_e64 v1, v2, v1, s[8:9]
	v_mov_b32_e32 v2, 0
	v_cndmask_b32_e64 v0, v2, v0, s[8:9]
	flat_load_dwordx4 v[0:3], v[0:1]
	s_waitcnt vmcnt(0) lgkmcnt(0)
	ds_write_b128 v74, v[0:3]
.LBB62_66:
	s_or_b64 exec, exec, s[10:11]
	v_sub_f32_e32 v0, v80, v48
	s_mov_b32 s8, 0x3fb8aa3b
	v_mul_f32_e32 v1, 0x3fb8aa3b, v0
	v_fma_f32 v2, v0, s8, -v1
	v_rndne_f32_e32 v3, v1
	v_fmamk_f32 v2, v0, 0x32a5705f, v2
	v_sub_f32_e32 v1, v1, v3
	v_add_f32_e32 v1, v1, v2
	v_exp_f32_e32 v1, v1
	v_cvt_i32_f32_e32 v2, v3
	s_mov_b32 s8, 0xc2ce8ed0
	v_cmp_ngt_f32_e64 s[10:11], s8, v0
	s_mov_b32 s8, 0x42b17218
	v_ldexp_f32 v47, v1, v2
	v_cmp_nlt_f32_e64 s[8:9], s8, v0
	s_waitcnt lgkmcnt(0)
	s_barrier
	ds_read2_b64 v[28:31], v49 offset1:28
	ds_read_b128 v[8:11], v70
	ds_read_b128 v[0:3], v70 offset:16
	ds_read2_b64 v[36:39], v49 offset0:56 offset1:84
	ds_read2_b64 v[32:35], v49 offset0:112 offset1:140
	;; [unrolled: 1-line block ×4, first 2 shown]
	v_add_u32_e32 v4, 0x800, v49
	ds_read2_b64 v[20:23], v4 offset0:24 offset1:52
	ds_read2_b64 v[12:15], v4 offset0:80 offset1:108
	;; [unrolled: 1-line block ×3, first 2 shown]
	s_or_b32 s12, s43, 16
	s_mul_hi_i32 s17, s12, s2
	s_mul_i32 s16, s12, s2
	s_lshl_b64 s[16:17], s[16:17], 2
	v_lshl_add_u64 v[42:43], v[42:43], 0, s[16:17]
	s_add_i32 s36, s36, -16
	s_waitcnt lgkmcnt(0)
	s_barrier
	s_and_saveexec_b64 s[16:17], s[6:7]
	s_cbranch_execz .LBB62_68
; %bb.67:
	v_mov_b32_e32 v76, 0
	v_lshl_add_u64 v[50:51], v[50:51], 2, v[42:43]
	v_mov_b32_e32 v45, v76
	v_lshl_add_u64 v[44:45], v[50:51], 0, v[44:45]
	s_mov_b64 s[6:7], 0xc0
	v_lshl_add_u64 v[44:45], v[44:45], 0, s[6:7]
	v_mov_b32_e32 v50, s13
	v_cmp_gt_i32_e64 s[6:7], s36, v58
	v_mov_b32_e32 v77, v76
	v_mov_b32_e32 v78, v76
	v_cndmask_b32_e64 v45, v50, v45, s[6:7]
	v_mov_b32_e32 v50, 0
	scratch_store_dword off, v76, off
	scratch_store_dwordx3 off, v[76:78], off offset:4
	v_cndmask_b32_e64 v44, v50, v44, s[6:7]
	flat_load_dwordx4 v[80:83], v[44:45]
	s_waitcnt vmcnt(0) lgkmcnt(0)
	ds_write_b128 v71, v[80:83]
.LBB62_68:
	s_or_b64 exec, exec, s[16:17]
	v_cndmask_b32_e64 v44, 0, v47, s[10:11]
	v_mov_b32_e32 v45, 0x7f800000
	s_and_saveexec_b64 s[6:7], vcc
	s_cbranch_execz .LBB62_70
; %bb.69:
	v_mov_b32_e32 v76, 0
	v_lshl_add_u64 v[50:51], v[52:53], 2, v[42:43]
	v_mov_b32_e32 v47, v76
	v_lshl_add_u64 v[46:47], v[50:51], 0, v[46:47]
	s_mov_b64 s[10:11], 0x80
	v_lshl_add_u64 v[46:47], v[46:47], 0, s[10:11]
	v_mov_b32_e32 v50, s13
	v_cmp_gt_i32_e32 vcc, s36, v60
	v_mov_b32_e32 v77, v76
	v_mov_b32_e32 v78, v76
	v_cndmask_b32_e32 v47, v50, v47, vcc
	v_mov_b32_e32 v50, 0
	scratch_store_dword off, v76, off
	scratch_store_dwordx3 off, v[76:78], off offset:4
	v_cndmask_b32_e32 v46, v50, v46, vcc
	flat_load_dwordx4 v[50:53], v[46:47]
	s_waitcnt vmcnt(0) lgkmcnt(0)
	ds_write_b128 v72, v[50:53]
.LBB62_70:
	s_or_b64 exec, exec, s[6:7]
	v_cndmask_b32_e64 v44, v45, v44, s[8:9]
	s_and_saveexec_b64 s[6:7], s[4:5]
	s_cbranch_execz .LBB62_72
; %bb.71:
	v_mov_b32_e32 v50, 0
	v_lshl_add_u64 v[42:43], v[56:57], 2, v[42:43]
	v_mov_b32_e32 v55, v50
	v_lshl_add_u64 v[42:43], v[42:43], 0, v[54:55]
	v_mov_b32_e32 v45, s15
	v_cmp_gt_i32_e32 vcc, s36, v73
	v_mov_b32_e32 v51, v50
	v_mov_b32_e32 v52, v50
	v_cndmask_b32_e32 v43, v45, v43, vcc
	v_mov_b32_e32 v45, 0
	scratch_store_dword off, v50, off
	scratch_store_dwordx3 off, v[50:52], off offset:4
	v_cndmask_b32_e32 v42, v45, v42, vcc
	flat_load_dwordx4 v[50:53], v[42:43]
	s_waitcnt vmcnt(0) lgkmcnt(0)
	ds_write_b128 v74, v[50:53]
.LBB62_72:
	s_or_b64 exec, exec, s[6:7]
	v_cvt_f16_f32_e32 v42, v44
	v_pk_mul_f16 v28, v28, v8 op_sel_hi:[1,0]
	v_pk_mul_f16 v29, v29, v8 op_sel_hi:[1,0]
	s_waitcnt lgkmcnt(0)
	v_pk_fma_f16 v28, v65, v42, v28 op_sel_hi:[1,0,1]
	v_pk_fma_f16 v29, v59, v42, v29 op_sel_hi:[1,0,1]
	v_pk_fma_f16 v28, v30, v8, v28 op_sel:[0,1,0]
	v_pk_fma_f16 v8, v31, v8, v29 op_sel:[0,1,0]
	v_pk_fma_f16 v28, v36, v9, v28 op_sel_hi:[1,0,1]
	v_pk_fma_f16 v8, v37, v9, v8 op_sel_hi:[1,0,1]
	v_pk_fma_f16 v28, v38, v9, v28 op_sel:[0,1,0]
	v_pk_fma_f16 v8, v39, v9, v8 op_sel:[0,1,0]
	;; [unrolled: 4-line block ×7, first 2 shown]
	s_barrier
	ds_read2_b64 v[8:11], v49 offset1:28
	ds_read_b128 v[12:15], v70 offset:32
	v_pk_fma_f16 v1, v4, v3, v1 op_sel_hi:[1,0,1]
	v_pk_fma_f16 v0, v5, v3, v0 op_sel_hi:[1,0,1]
	v_pk_fma_f16 v16, v6, v3, v1 op_sel:[0,1,0]
	v_pk_fma_f16 v17, v7, v3, v0 op_sel:[0,1,0]
	ds_read_b128 v[0:3], v70 offset:48
	ds_read2_b64 v[4:7], v49 offset0:56 offset1:84
	s_waitcnt lgkmcnt(2)
	v_pk_fma_f16 v8, v8, v12, v16 op_sel_hi:[1,0,1]
	v_pk_fma_f16 v9, v9, v12, v17 op_sel_hi:[1,0,1]
	v_pk_fma_f16 v8, v10, v12, v8 op_sel:[0,1,0]
	v_pk_fma_f16 v12, v11, v12, v9 op_sel:[0,1,0]
	s_waitcnt lgkmcnt(0)
	v_pk_fma_f16 v4, v4, v13, v8 op_sel_hi:[1,0,1]
	ds_read2_b64 v[8:11], v49 offset0:112 offset1:140
	v_pk_fma_f16 v5, v5, v13, v12 op_sel_hi:[1,0,1]
	v_pk_fma_f16 v12, v6, v13, v4 op_sel:[0,1,0]
	v_pk_fma_f16 v13, v7, v13, v5 op_sel:[0,1,0]
	ds_read2_b64 v[4:7], v49 offset0:168 offset1:196
	s_waitcnt lgkmcnt(1)
	v_pk_fma_f16 v8, v8, v14, v12 op_sel_hi:[1,0,1]
	v_pk_fma_f16 v9, v9, v14, v13 op_sel_hi:[1,0,1]
	v_pk_fma_f16 v8, v10, v14, v8 op_sel:[0,1,0]
	v_pk_fma_f16 v9, v11, v14, v9 op_sel:[0,1,0]
	s_waitcnt lgkmcnt(0)
	v_pk_fma_f16 v4, v4, v15, v8 op_sel_hi:[1,0,1]
	v_pk_fma_f16 v5, v5, v15, v9 op_sel_hi:[1,0,1]
	ds_read2_b64 v[8:11], v49 offset0:224 offset1:252
	v_add_u32_e32 v14, 0x800, v49
	v_pk_fma_f16 v12, v6, v15, v4 op_sel:[0,1,0]
	v_pk_fma_f16 v13, v7, v15, v5 op_sel:[0,1,0]
	ds_read2_b64 v[4:7], v14 offset0:24 offset1:52
	s_waitcnt lgkmcnt(1)
	v_pk_fma_f16 v8, v8, v0, v12 op_sel_hi:[1,0,1]
	v_pk_fma_f16 v9, v9, v0, v13 op_sel_hi:[1,0,1]
	v_pk_fma_f16 v8, v10, v0, v8 op_sel:[0,1,0]
	v_pk_fma_f16 v0, v11, v0, v9 op_sel:[0,1,0]
	s_waitcnt lgkmcnt(0)
	v_pk_fma_f16 v4, v4, v1, v8 op_sel_hi:[1,0,1]
	ds_read2_b64 v[8:11], v14 offset0:80 offset1:108
	v_pk_fma_f16 v0, v5, v1, v0 op_sel_hi:[1,0,1]
	v_pk_fma_f16 v12, v6, v1, v4 op_sel:[0,1,0]
	v_pk_fma_f16 v0, v7, v1, v0 op_sel:[0,1,0]
	ds_read2_b64 v[4:7], v14 offset0:136 offset1:164
	s_waitcnt lgkmcnt(1)
	v_pk_fma_f16 v1, v8, v2, v12 op_sel_hi:[1,0,1]
	v_pk_fma_f16 v0, v9, v2, v0 op_sel_hi:[1,0,1]
	v_pk_fma_f16 v1, v10, v2, v1 op_sel:[0,1,0]
	v_pk_fma_f16 v0, v11, v2, v0 op_sel:[0,1,0]
	v_fmac_f32_e32 v69, v79, v44
	s_waitcnt lgkmcnt(0)
	v_pk_fma_f16 v1, v4, v3, v1 op_sel_hi:[1,0,1]
	v_pk_fma_f16 v0, v5, v3, v0 op_sel_hi:[1,0,1]
	v_pk_fma_f16 v65, v6, v3, v1 op_sel:[0,1,0]
	v_pk_fma_f16 v59, v7, v3, v0 op_sel:[0,1,0]
	v_mov_b32_e32 v79, v69
	s_barrier
.LBB62_73:
	v_cmp_lt_i32_e32 vcc, v63, v62
	s_cmp_eq_u64 s[20:21], 0
	s_cselect_b64 s[4:5], -1, 0
	v_cndmask_b32_e32 v0, v61, v63, vcc
	v_lshlrev_b32_e32 v0, 2, v0
	ds_bpermute_b32 v0, v0, v79
	v_cmp_lt_i32_e32 vcc, v64, v62
	s_cmp_lg_u32 s3, 0
	s_cselect_b64 s[6:7], -1, 0
	v_cndmask_b32_e32 v1, v61, v64, vcc
	v_lshlrev_b32_e32 v1, 2, v1
	s_waitcnt lgkmcnt(0)
	v_add_f32_e32 v0, v79, v0
	ds_bpermute_b32 v1, v1, v0
	v_cmp_lt_i32_e32 vcc, v66, v62
	s_or_b64 s[4:5], s[6:7], s[4:5]
	s_waitcnt lgkmcnt(0)
	v_add_f32_e32 v0, v0, v1
	v_cndmask_b32_e32 v2, v61, v66, vcc
	v_lshlrev_b32_e32 v2, 2, v2
	ds_bpermute_b32 v1, v2, v0
	v_cmp_lt_i32_e32 vcc, v67, v62
	s_waitcnt lgkmcnt(0)
	v_add_f32_e32 v0, v0, v1
	v_cndmask_b32_e32 v2, v61, v67, vcc
	v_lshlrev_b32_e32 v2, 2, v2
	ds_bpermute_b32 v1, v2, v0
	v_cmp_lt_i32_e32 vcc, v68, v62
	s_waitcnt lgkmcnt(0)
	v_add_f32_e32 v0, v0, v1
	v_cndmask_b32_e32 v2, v61, v68, vcc
	v_lshlrev_b32_e32 v2, 2, v2
	ds_bpermute_b32 v1, v2, v0
	s_and_b64 vcc, exec, s[4:5]
	s_waitcnt lgkmcnt(0)
	v_add_f32_e32 v49, v0, v1
	s_cbranch_vccnz .LBB62_76
; %bb.74:
	s_lshl_b64 s[4:5], s[34:35], 2
	s_add_u32 s4, s20, s4
	s_addc_u32 s5, s21, s5
	v_mov_b32_e32 v0, 0
	global_load_dword v1, v0, s[4:5]
	v_max_f32_e32 v0, v48, v48
	s_mov_b32 s2, 0x3fb8aa3b
	s_mov_b32 s4, 0xc2ce8ed0
	s_waitcnt vmcnt(0)
	v_max_f32_e32 v2, v1, v1
	v_max_f32_e32 v0, v0, v2
	v_sub_f32_e32 v2, v48, v0
	v_sub_f32_e32 v1, v1, v0
	v_mul_f32_e32 v3, 0x3fb8aa3b, v2
	v_mul_f32_e32 v4, 0x3fb8aa3b, v1
	v_fma_f32 v5, v2, s2, -v3
	v_rndne_f32_e32 v6, v3
	v_fma_f32 v7, v1, s2, -v4
	v_rndne_f32_e32 v8, v4
	v_fmac_f32_e32 v5, 0x32a5705f, v2
	v_sub_f32_e32 v3, v3, v6
	v_fmac_f32_e32 v7, 0x32a5705f, v1
	v_sub_f32_e32 v4, v4, v8
	v_add_f32_e32 v3, v3, v5
	v_cvt_i32_f32_e32 v6, v6
	v_add_f32_e32 v4, v4, v7
	v_exp_f32_e32 v3, v3
	v_cvt_i32_f32_e32 v8, v8
	v_exp_f32_e32 v4, v4
	v_cmp_ngt_f32_e32 vcc, s4, v2
	v_ldexp_f32 v3, v3, v6
	s_mov_b32 s2, 0x42b17218
	v_ldexp_f32 v4, v4, v8
	v_cndmask_b32_e32 v3, 0, v3, vcc
	v_cmp_ngt_f32_e32 vcc, s4, v1
	v_mov_b32_e32 v5, 0x7f800000
	s_nop 0
	v_cndmask_b32_e32 v4, 0, v4, vcc
	v_cmp_nlt_f32_e32 vcc, s2, v2
	s_nop 1
	v_cndmask_b32_e32 v2, v5, v3, vcc
	v_cvt_f16_f32_e32 v3, v2
	v_cmp_nlt_f32_e32 vcc, s2, v1
	v_pk_mul_f16 v65, v3, v65 op_sel_hi:[0,1]
	s_nop 0
	v_cndmask_b32_e32 v1, v5, v4, vcc
	v_fmac_f32_e32 v1, v49, v2
	v_pk_mul_f16 v59, v3, v59 op_sel_hi:[0,1]
	v_mov_b64_e32 v[48:49], v[0:1]
	v_cmp_gt_i32_e32 vcc, s30, v41
	s_and_saveexec_b64 s[4:5], vcc
	s_cbranch_execnz .LBB62_77
.LBB62_75:
	s_endpgm
.LBB62_76:
	v_mov_b32_e32 v1, v49
	v_cmp_gt_i32_e32 vcc, s30, v41
	s_and_saveexec_b64 s[4:5], vcc
	s_cbranch_execz .LBB62_75
.LBB62_77:
	s_load_dword s2, s[0:1], 0xd4
	s_mul_i32 s33, s33, s30
	v_add_u32_e32 v0, s33, v41
	v_mul_lo_u32 v0, v0, s31
	v_add_u32_e32 v0, s34, v0
	s_waitcnt lgkmcnt(0)
	s_cmp_lg_u32 s2, 1
	v_mul_lo_u32 v0, s2, v0
	s_cselect_b64 s[0:1], -1, 0
	v_add_u32_e32 v0, s3, v0
	s_and_saveexec_b64 s[2:3], s[18:19]
	s_cbranch_execz .LBB62_79
; %bb.78:
	v_div_scale_f32 v4, s[4:5], v1, v1, 1.0
	v_rcp_f32_e32 v5, v4
	v_cvt_f32_f16_sdwa v9, v65 dst_sel:DWORD dst_unused:UNUSED_PAD src0_sel:WORD_1
	v_cvt_f32_f16_sdwa v11, v59 dst_sel:DWORD dst_unused:UNUSED_PAD src0_sel:WORD_1
	v_cvt_f32_f16_e32 v10, v59
	v_fma_f32 v6, -v4, v5, 1.0
	v_fmac_f32_e32 v5, v6, v5
	v_div_scale_f32 v6, vcc, 1.0, v1, 1.0
	v_mul_f32_e32 v7, v6, v5
	v_fma_f32 v8, -v4, v7, v6
	v_fmac_f32_e32 v7, v8, v5
	v_fma_f32 v4, -v4, v7, v6
	v_div_fmas_f32 v4, v4, v5, v7
	v_cvt_f32_f16_e32 v8, v65
	v_div_fixup_f32 v1, v4, v1, 1.0
	s_movk_i32 s4, 0x70
	v_cndmask_b32_e64 v4, v1, 1.0, s[0:1]
	v_mul_lo_u32 v1, v0, s4
	v_mov_b32_e32 v2, s24
	v_mov_b32_e32 v3, s25
	v_lshl_add_u32 v6, v40, 2, v1
	v_mov_b32_e32 v7, 0
	v_lshl_add_u64 v[6:7], v[6:7], 2, v[2:3]
	v_pk_mul_f32 v[2:3], v[4:5], v[8:9] op_sel_hi:[0,1]
	v_pk_mul_f32 v[4:5], v[4:5], v[10:11] op_sel_hi:[0,1]
	global_store_dwordx4 v[6:7], v[2:5], off
.LBB62_79:
	s_or_b64 exec, exec, s[2:3]
	v_cmp_eq_u32_e32 vcc, 0, v40
	s_and_b64 s[0:1], vcc, s[0:1]
	s_and_b64 exec, exec, s[0:1]
	s_cbranch_execz .LBB62_75
; %bb.80:
	v_mov_b32_e32 v2, s26
	v_mov_b32_e32 v3, s27
	v_ashrrev_i32_e32 v1, 31, v0
	v_lshl_add_u64 v[0:1], v[0:1], 3, v[2:3]
	global_store_dwordx2 v[0:1], v[48:49], off
	s_endpgm
	.section	.rodata,"a",@progbits
	.p2align	6, 0x0
	.amdhsa_kernel _ZL15flash_attn_tileILi112ELi112ELi8ELi1ELb0EEvPKcS1_S1_S1_S1_PKiPfP15HIP_vector_typeIfLj2EEffffjfiS5_IjLj3EEiiiiiiiiiiiliiliiiiil
		.amdhsa_group_segment_fixed_size 6464
		.amdhsa_private_segment_fixed_size 32
		.amdhsa_kernarg_size 464
		.amdhsa_user_sgpr_count 2
		.amdhsa_user_sgpr_dispatch_ptr 0
		.amdhsa_user_sgpr_queue_ptr 0
		.amdhsa_user_sgpr_kernarg_segment_ptr 1
		.amdhsa_user_sgpr_dispatch_id 0
		.amdhsa_user_sgpr_kernarg_preload_length 0
		.amdhsa_user_sgpr_kernarg_preload_offset 0
		.amdhsa_user_sgpr_private_segment_size 0
		.amdhsa_uses_dynamic_stack 0
		.amdhsa_enable_private_segment 1
		.amdhsa_system_sgpr_workgroup_id_x 1
		.amdhsa_system_sgpr_workgroup_id_y 1
		.amdhsa_system_sgpr_workgroup_id_z 1
		.amdhsa_system_sgpr_workgroup_info 0
		.amdhsa_system_vgpr_workitem_id 1
		.amdhsa_next_free_vgpr 102
		.amdhsa_next_free_sgpr 50
		.amdhsa_accum_offset 104
		.amdhsa_reserve_vcc 1
		.amdhsa_float_round_mode_32 0
		.amdhsa_float_round_mode_16_64 0
		.amdhsa_float_denorm_mode_32 3
		.amdhsa_float_denorm_mode_16_64 3
		.amdhsa_dx10_clamp 1
		.amdhsa_ieee_mode 1
		.amdhsa_fp16_overflow 0
		.amdhsa_tg_split 0
		.amdhsa_exception_fp_ieee_invalid_op 0
		.amdhsa_exception_fp_denorm_src 0
		.amdhsa_exception_fp_ieee_div_zero 0
		.amdhsa_exception_fp_ieee_overflow 0
		.amdhsa_exception_fp_ieee_underflow 0
		.amdhsa_exception_fp_ieee_inexact 0
		.amdhsa_exception_int_div_zero 0
	.end_amdhsa_kernel
	.section	.text._ZL15flash_attn_tileILi112ELi112ELi8ELi1ELb0EEvPKcS1_S1_S1_S1_PKiPfP15HIP_vector_typeIfLj2EEffffjfiS5_IjLj3EEiiiiiiiiiiiliiliiiiil,"axG",@progbits,_ZL15flash_attn_tileILi112ELi112ELi8ELi1ELb0EEvPKcS1_S1_S1_S1_PKiPfP15HIP_vector_typeIfLj2EEffffjfiS5_IjLj3EEiiiiiiiiiiiliiliiiiil,comdat
.Lfunc_end62:
	.size	_ZL15flash_attn_tileILi112ELi112ELi8ELi1ELb0EEvPKcS1_S1_S1_S1_PKiPfP15HIP_vector_typeIfLj2EEffffjfiS5_IjLj3EEiiiiiiiiiiiliiliiiiil, .Lfunc_end62-_ZL15flash_attn_tileILi112ELi112ELi8ELi1ELb0EEvPKcS1_S1_S1_S1_PKiPfP15HIP_vector_typeIfLj2EEffffjfiS5_IjLj3EEiiiiiiiiiiiliiliiiiil
                                        ; -- End function
	.section	.AMDGPU.csdata,"",@progbits
; Kernel info:
; codeLenInByte = 10512
; NumSgprs: 56
; NumVgprs: 102
; NumAgprs: 0
; TotalNumVgprs: 102
; ScratchSize: 32
; MemoryBound: 0
; FloatMode: 240
; IeeeMode: 1
; LDSByteSize: 6464 bytes/workgroup (compile time only)
; SGPRBlocks: 6
; VGPRBlocks: 12
; NumSGPRsForWavesPerEU: 56
; NumVGPRsForWavesPerEU: 102
; AccumOffset: 104
; Occupancy: 4
; WaveLimiterHint : 1
; COMPUTE_PGM_RSRC2:SCRATCH_EN: 1
; COMPUTE_PGM_RSRC2:USER_SGPR: 2
; COMPUTE_PGM_RSRC2:TRAP_HANDLER: 0
; COMPUTE_PGM_RSRC2:TGID_X_EN: 1
; COMPUTE_PGM_RSRC2:TGID_Y_EN: 1
; COMPUTE_PGM_RSRC2:TGID_Z_EN: 1
; COMPUTE_PGM_RSRC2:TIDIG_COMP_CNT: 1
; COMPUTE_PGM_RSRC3_GFX90A:ACCUM_OFFSET: 25
; COMPUTE_PGM_RSRC3_GFX90A:TG_SPLIT: 0
	.section	.text._ZL33flash_attn_stream_k_fixup_uniformILi112ELi8ELi1EEvPfPK15HIP_vector_typeIfLj2EEiiiiiiS1_IjLj3EES5_S5_,"axG",@progbits,_ZL33flash_attn_stream_k_fixup_uniformILi112ELi8ELi1EEvPfPK15HIP_vector_typeIfLj2EEiiiiiiS1_IjLj3EES5_S5_,comdat
	.globl	_ZL33flash_attn_stream_k_fixup_uniformILi112ELi8ELi1EEvPfPK15HIP_vector_typeIfLj2EEiiiiiiS1_IjLj3EES5_S5_ ; -- Begin function _ZL33flash_attn_stream_k_fixup_uniformILi112ELi8ELi1EEvPfPK15HIP_vector_typeIfLj2EEiiiiiiS1_IjLj3EES5_S5_
	.p2align	8
	.type	_ZL33flash_attn_stream_k_fixup_uniformILi112ELi8ELi1EEvPfPK15HIP_vector_typeIfLj2EEiiiiiiS1_IjLj3EES5_S5_,@function
_ZL33flash_attn_stream_k_fixup_uniformILi112ELi8ELi1EEvPfPK15HIP_vector_typeIfLj2EEiiiiiiS1_IjLj3EES5_S5_: ; @_ZL33flash_attn_stream_k_fixup_uniformILi112ELi8ELi1EEvPfPK15HIP_vector_typeIfLj2EEiiiiiiS1_IjLj3EES5_S5_
; %bb.0:
	s_load_dwordx8 s[8:15], s[0:1], 0x1c
	s_load_dwordx2 s[6:7], s[0:1], 0x10
	s_load_dwordx4 s[16:19], s[0:1], 0x3c
	s_waitcnt lgkmcnt(0)
	s_mul_hi_u32 s5, s11, s2
	s_add_i32 s5, s2, s5
	s_lshr_b32 s5, s5, s12
	s_mul_i32 s11, s5, s13
	s_sub_i32 s12, s2, s11
	s_mul_hi_u32 s11, s12, s14
	s_add_i32 s11, s12, s11
	s_lshr_b32 s11, s11, s15
	s_mul_i32 s13, s11, s16
	s_sub_i32 s12, s12, s13
	;; [unrolled: 5-line block ×3, first 2 shown]
	s_lshl_b32 s12, s17, 3
	s_add_i32 s12, s12, s3
	s_cmp_lt_i32 s12, s6
	s_cselect_b64 s[12:13], -1, 0
	s_add_i32 s16, s16, s4
	s_cmp_lt_i32 s16, s9
	s_cselect_b64 s[14:15], -1, 0
	s_and_b64 s[12:13], s[12:13], s[14:15]
	s_andn2_b64 vcc, exec, s[12:13]
	s_cbranch_vccnz .LBB63_6
; %bb.1:
	s_load_dwordx4 s[12:15], s[0:1], 0x0
	s_mul_i32 s0, s5, s6
	s_mul_i32 s11, s11, s9
	s_add_i32 s0, s0, s3
	s_mul_i32 s0, s0, s7
	s_add_i32 s5, s16, s11
	;; [unrolled: 2-line block ×3, first 2 shown]
	s_mulk_i32 s1, 0x380
	s_mulk_i32 s0, 0x70
	s_add_i32 s0, s0, s1
	v_add_u32_e32 v4, s0, v0
	s_waitcnt lgkmcnt(0)
	v_mov_b32_e32 v2, s12
	v_mov_b32_e32 v3, s13
	v_ashrrev_i32_e32 v5, 31, v4
	v_lshl_add_u64 v[2:3], v[4:5], 2, v[2:3]
	global_load_dword v7, v[2:3], off
	s_mul_i32 s6, s2, s10
	s_add_i32 s7, s6, s10
	s_add_i32 s3, s3, s4
	s_lshl_b32 s0, s7, 3
	s_add_i32 s0, s3, s0
	s_add_i32 s0, s0, -8
	s_ashr_i32 s1, s0, 31
	s_lshl_b64 s[0:1], s[0:1], 3
	s_add_u32 s0, s14, s0
	s_addc_u32 s1, s15, s1
	s_load_dword s9, s[0:1], 0x4
	s_add_i32 s4, s7, -2
	s_cmp_lt_i32 s4, s6
	s_cbranch_scc1 .LBB63_4
; %bb.2:
	s_lshl_b32 s4, s8, 5
	s_ashr_i32 s5, s4, 31
	s_lshl_b64 s[4:5], s[4:5], 2
	s_add_u32 s4, s14, s4
	s_addc_u32 s5, s15, s5
	s_load_dword s0, s[0:1], 0x0
	s_add_i32 s2, s2, 1
	s_mul_i32 s10, s10, s2
	s_mul_i32 s1, s3, 0x70
	s_lshl_b32 s2, s10, 3
	s_mulk_i32 s10, 0x380
	s_add_i32 s2, s3, s2
	s_lshl_b32 s3, s8, 3
	s_add_i32 s1, s1, s10
	s_add_i32 s2, s2, s3
	v_add_u32_e32 v0, s1, v0
	s_add_i32 s7, s7, -1
	s_add_i32 s2, s2, -16
	v_add_u32_e32 v0, 0xfffff900, v0
	s_waitcnt lgkmcnt(0)
	v_mov_b32_e32 v6, s9
	v_mov_b32_e32 v5, s0
	s_mov_b32 s8, 0x3fb8aa3b
	s_mov_b32 s9, 0xc2ce8ed0
	;; [unrolled: 1-line block ×3, first 2 shown]
	v_mov_b32_e32 v4, 0x7f800000
	s_mov_b32 s11, 0xc1a00000
.LBB63_3:                               ; =>This Inner Loop Header: Depth=1
	v_ashrrev_i32_e32 v1, 31, v0
	v_lshl_add_u64 v[8:9], v[0:1], 2, s[4:5]
	global_load_dword v1, v[8:9], off
	s_ashr_i32 s3, s2, 31
	s_lshl_b64 s[0:1], s[2:3], 3
	s_add_u32 s0, s14, s0
	s_addc_u32 s1, s15, s1
	s_load_dwordx2 s[12:13], s[0:1], 0x0
	s_waitcnt vmcnt(1)
	v_mov_b32_e32 v8, v7
	v_max_f32_e32 v7, v5, v5
	v_mov_b32_e32 v9, v6
	s_add_i32 s7, s7, -1
	s_waitcnt lgkmcnt(0)
	v_max_f32_e64 v6, s12, s12
	v_max_f32_e32 v6, v7, v6
	v_sub_f32_e32 v10, s12, v6
	v_sub_f32_e32 v7, v5, v6
	v_mul_f32_e32 v11, 0x3fb8aa3b, v10
	v_mov_b32_e32 v5, v6
	v_mul_f32_e32 v6, 0x3fb8aa3b, v7
	v_fma_f32 v14, v10, s8, -v11
	v_rndne_f32_e32 v15, v11
	v_fma_f32 v12, v7, s8, -v6
	v_rndne_f32_e32 v13, v6
	v_fmac_f32_e32 v14, 0x32a5705f, v10
	v_sub_f32_e32 v11, v11, v15
	v_fmac_f32_e32 v12, 0x32a5705f, v7
	v_sub_f32_e32 v6, v6, v13
	v_add_f32_e32 v11, v11, v14
	v_cvt_i32_f32_e32 v15, v15
	v_add_f32_e32 v6, v6, v12
	v_exp_f32_e32 v11, v11
	v_cvt_i32_f32_e32 v13, v13
	v_exp_f32_e32 v6, v6
	v_cmp_ngt_f32_e32 vcc, s9, v10
	v_ldexp_f32 v11, v11, v15
	v_cmp_ngt_f32_e64 s[0:1], s9, v7
	v_ldexp_f32 v6, v6, v13
	v_cndmask_b32_e32 v11, 0, v11, vcc
	v_cmp_nlt_f32_e32 vcc, s10, v10
	v_cndmask_b32_e64 v6, 0, v6, s[0:1]
	v_cmp_nlt_f32_e64 s[0:1], s10, v7
	v_cndmask_b32_e32 v11, v4, v11, vcc
	v_cmp_le_f32_e32 vcc, s11, v10
	v_cndmask_b32_e64 v6, v4, v6, s[0:1]
	v_cmp_le_f32_e64 s[0:1], s11, v7
	v_cndmask_b32_e32 v7, 0, v11, vcc
	s_add_i32 s2, s2, -8
	v_cndmask_b32_e64 v10, 0, v6, s[0:1]
	v_mul_f32_e32 v6, s13, v7
	v_add_u32_e32 v0, 0xfffffc80, v0
	s_cmp_le_i32 s7, s6
	v_fmac_f32_e32 v6, v9, v10
	s_waitcnt vmcnt(0)
	v_mul_f32_e32 v7, v1, v7
	v_fmac_f32_e32 v7, v8, v10
	s_cbranch_scc0 .LBB63_3
	s_branch .LBB63_5
.LBB63_4:
	s_waitcnt lgkmcnt(0)
	v_mov_b32_e32 v6, s9
.LBB63_5:
	s_waitcnt vmcnt(0)
	v_div_scale_f32 v0, s[0:1], v6, v6, v7
	v_rcp_f32_e32 v1, v0
	v_div_scale_f32 v4, vcc, v7, v6, v7
	v_fma_f32 v5, -v0, v1, 1.0
	v_fmac_f32_e32 v1, v5, v1
	v_mul_f32_e32 v5, v4, v1
	v_fma_f32 v8, -v0, v5, v4
	v_fmac_f32_e32 v5, v8, v1
	v_fma_f32 v0, -v0, v5, v4
	v_div_fmas_f32 v0, v0, v1, v5
	v_div_fixup_f32 v0, v0, v6, v7
	global_store_dword v[2:3], v0, off
.LBB63_6:
	s_endpgm
	.section	.rodata,"a",@progbits
	.p2align	6, 0x0
	.amdhsa_kernel _ZL33flash_attn_stream_k_fixup_uniformILi112ELi8ELi1EEvPfPK15HIP_vector_typeIfLj2EEiiiiiiS1_IjLj3EES5_S5_
		.amdhsa_group_segment_fixed_size 0
		.amdhsa_private_segment_fixed_size 0
		.amdhsa_kernarg_size 76
		.amdhsa_user_sgpr_count 2
		.amdhsa_user_sgpr_dispatch_ptr 0
		.amdhsa_user_sgpr_queue_ptr 0
		.amdhsa_user_sgpr_kernarg_segment_ptr 1
		.amdhsa_user_sgpr_dispatch_id 0
		.amdhsa_user_sgpr_kernarg_preload_length 0
		.amdhsa_user_sgpr_kernarg_preload_offset 0
		.amdhsa_user_sgpr_private_segment_size 0
		.amdhsa_uses_dynamic_stack 0
		.amdhsa_enable_private_segment 0
		.amdhsa_system_sgpr_workgroup_id_x 1
		.amdhsa_system_sgpr_workgroup_id_y 1
		.amdhsa_system_sgpr_workgroup_id_z 1
		.amdhsa_system_sgpr_workgroup_info 0
		.amdhsa_system_vgpr_workitem_id 0
		.amdhsa_next_free_vgpr 16
		.amdhsa_next_free_sgpr 20
		.amdhsa_accum_offset 16
		.amdhsa_reserve_vcc 1
		.amdhsa_float_round_mode_32 0
		.amdhsa_float_round_mode_16_64 0
		.amdhsa_float_denorm_mode_32 3
		.amdhsa_float_denorm_mode_16_64 3
		.amdhsa_dx10_clamp 1
		.amdhsa_ieee_mode 1
		.amdhsa_fp16_overflow 0
		.amdhsa_tg_split 0
		.amdhsa_exception_fp_ieee_invalid_op 0
		.amdhsa_exception_fp_denorm_src 0
		.amdhsa_exception_fp_ieee_div_zero 0
		.amdhsa_exception_fp_ieee_overflow 0
		.amdhsa_exception_fp_ieee_underflow 0
		.amdhsa_exception_fp_ieee_inexact 0
		.amdhsa_exception_int_div_zero 0
	.end_amdhsa_kernel
	.section	.text._ZL33flash_attn_stream_k_fixup_uniformILi112ELi8ELi1EEvPfPK15HIP_vector_typeIfLj2EEiiiiiiS1_IjLj3EES5_S5_,"axG",@progbits,_ZL33flash_attn_stream_k_fixup_uniformILi112ELi8ELi1EEvPfPK15HIP_vector_typeIfLj2EEiiiiiiS1_IjLj3EES5_S5_,comdat
.Lfunc_end63:
	.size	_ZL33flash_attn_stream_k_fixup_uniformILi112ELi8ELi1EEvPfPK15HIP_vector_typeIfLj2EEiiiiiiS1_IjLj3EES5_S5_, .Lfunc_end63-_ZL33flash_attn_stream_k_fixup_uniformILi112ELi8ELi1EEvPfPK15HIP_vector_typeIfLj2EEiiiiiiS1_IjLj3EES5_S5_
                                        ; -- End function
	.section	.AMDGPU.csdata,"",@progbits
; Kernel info:
; codeLenInByte = 820
; NumSgprs: 26
; NumVgprs: 16
; NumAgprs: 0
; TotalNumVgprs: 16
; ScratchSize: 0
; MemoryBound: 0
; FloatMode: 240
; IeeeMode: 1
; LDSByteSize: 0 bytes/workgroup (compile time only)
; SGPRBlocks: 3
; VGPRBlocks: 1
; NumSGPRsForWavesPerEU: 26
; NumVGPRsForWavesPerEU: 16
; AccumOffset: 16
; Occupancy: 8
; WaveLimiterHint : 0
; COMPUTE_PGM_RSRC2:SCRATCH_EN: 0
; COMPUTE_PGM_RSRC2:USER_SGPR: 2
; COMPUTE_PGM_RSRC2:TRAP_HANDLER: 0
; COMPUTE_PGM_RSRC2:TGID_X_EN: 1
; COMPUTE_PGM_RSRC2:TGID_Y_EN: 1
; COMPUTE_PGM_RSRC2:TGID_Z_EN: 1
; COMPUTE_PGM_RSRC2:TIDIG_COMP_CNT: 0
; COMPUTE_PGM_RSRC3_GFX90A:ACCUM_OFFSET: 3
; COMPUTE_PGM_RSRC3_GFX90A:TG_SPLIT: 0
	.section	.text._ZL33flash_attn_stream_k_fixup_generalILi112ELi8ELi1EEvPfPK15HIP_vector_typeIfLj2EEiiiiS1_IjLj3EES5_S5_S5_,"axG",@progbits,_ZL33flash_attn_stream_k_fixup_generalILi112ELi8ELi1EEvPfPK15HIP_vector_typeIfLj2EEiiiiS1_IjLj3EES5_S5_S5_,comdat
	.globl	_ZL33flash_attn_stream_k_fixup_generalILi112ELi8ELi1EEvPfPK15HIP_vector_typeIfLj2EEiiiiS1_IjLj3EES5_S5_S5_ ; -- Begin function _ZL33flash_attn_stream_k_fixup_generalILi112ELi8ELi1EEvPfPK15HIP_vector_typeIfLj2EEiiiiS1_IjLj3EES5_S5_S5_
	.p2align	8
	.type	_ZL33flash_attn_stream_k_fixup_generalILi112ELi8ELi1EEvPfPK15HIP_vector_typeIfLj2EEiiiiS1_IjLj3EES5_S5_S5_,@function
_ZL33flash_attn_stream_k_fixup_generalILi112ELi8ELi1EEvPfPK15HIP_vector_typeIfLj2EEiiiiS1_IjLj3EES5_S5_S5_: ; @_ZL33flash_attn_stream_k_fixup_generalILi112ELi8ELi1EEvPfPK15HIP_vector_typeIfLj2EEiiiiS1_IjLj3EES5_S5_S5_
; %bb.0:
	s_load_dwordx4 s[12:15], s[0:1], 0x10
	s_load_dword s22, s[0:1], 0x50
	s_mov_b32 s8, 0
	s_waitcnt lgkmcnt(0)
	s_mul_hi_i32 s9, s15, s2
	s_cmp_lg_u64 s[8:9], 0
	s_mul_i32 s5, s15, s2
	s_cbranch_scc0 .LBB64_21
; %bb.1:
	v_cvt_f32_u32_e32 v1, s22
	v_cvt_f32_ubyte0_e32 v2, 0
	s_sub_u32 s8, 0, s22
	s_subb_u32 s10, 0, 0
	v_fmamk_f32 v1, v2, 0x4f800000, v1
	v_rcp_f32_e32 v1, v1
	s_nop 0
	v_mul_f32_e32 v1, 0x5f7ffffc, v1
	v_mul_f32_e32 v2, 0x2f800000, v1
	v_trunc_f32_e32 v2, v2
	v_fmamk_f32 v1, v2, 0xcf800000, v1
	v_cvt_u32_f32_e32 v2, v2
	v_cvt_u32_f32_e32 v1, v1
	v_readfirstlane_b32 s11, v2
	v_readfirstlane_b32 s16, v1
	s_mul_i32 s17, s8, s11
	s_mul_hi_u32 s19, s8, s16
	s_mul_i32 s18, s10, s16
	s_add_i32 s17, s19, s17
	s_add_i32 s17, s17, s18
	s_mul_i32 s20, s8, s16
	s_mul_hi_u32 s18, s16, s17
	s_mul_i32 s19, s16, s17
	s_mul_hi_u32 s16, s16, s20
	s_add_u32 s16, s16, s19
	s_addc_u32 s18, 0, s18
	s_mul_hi_u32 s21, s11, s20
	s_mul_i32 s20, s11, s20
	s_add_u32 s16, s16, s20
	s_mul_hi_u32 s19, s11, s17
	s_addc_u32 s16, s18, s21
	s_addc_u32 s18, s19, 0
	s_mul_i32 s17, s11, s17
	s_add_u32 s16, s16, s17
	s_addc_u32 s17, 0, s18
	v_add_co_u32_e32 v1, vcc, s16, v1
	s_cmp_lg_u64 vcc, 0
	s_addc_u32 s11, s11, s17
	v_readfirstlane_b32 s17, v1
	s_mul_i32 s16, s8, s11
	s_mul_hi_u32 s18, s8, s17
	s_add_i32 s16, s18, s16
	s_mul_i32 s10, s10, s17
	s_add_i32 s16, s16, s10
	s_mul_i32 s8, s8, s17
	s_mul_hi_u32 s18, s11, s8
	s_mul_i32 s19, s11, s8
	s_mul_i32 s21, s17, s16
	s_mul_hi_u32 s8, s17, s8
	s_mul_hi_u32 s20, s17, s16
	s_add_u32 s8, s8, s21
	s_addc_u32 s17, 0, s20
	s_add_u32 s8, s8, s19
	s_mul_hi_u32 s10, s11, s16
	s_addc_u32 s8, s17, s18
	s_addc_u32 s10, s10, 0
	s_mul_i32 s16, s11, s16
	s_add_u32 s8, s8, s16
	s_addc_u32 s10, 0, s10
	v_add_co_u32_e32 v1, vcc, s8, v1
	s_cmp_lg_u64 vcc, 0
	s_addc_u32 s16, s11, s10
	s_ashr_i32 s10, s9, 31
	s_add_u32 s8, s5, s10
	s_mov_b32 s11, s10
	s_addc_u32 s9, s9, s10
	s_xor_b64 s[8:9], s[8:9], s[10:11]
	v_readfirstlane_b32 s19, v1
	s_mul_i32 s18, s8, s16
	s_mul_hi_u32 s20, s8, s19
	s_mul_hi_u32 s17, s8, s16
	s_add_u32 s18, s20, s18
	s_addc_u32 s17, 0, s17
	s_mul_hi_u32 s21, s9, s19
	s_mul_i32 s19, s9, s19
	s_add_u32 s18, s18, s19
	s_mul_hi_u32 s20, s9, s16
	s_addc_u32 s17, s17, s21
	s_addc_u32 s18, s20, 0
	s_mul_i32 s16, s9, s16
	s_add_u32 s16, s17, s16
	s_addc_u32 s17, 0, s18
	s_add_u32 s18, s16, 1
	s_addc_u32 s19, s17, 0
	s_add_u32 s20, s16, 2
	s_mul_i32 s23, s22, s17
	s_mul_hi_u32 s24, s22, s16
	s_addc_u32 s21, s17, 0
	s_add_i32 s24, s24, s23
	s_mul_i32 s23, s22, s16
	v_mov_b32_e32 v1, s23
	v_sub_co_u32_e32 v1, vcc, s8, v1
	s_cmp_lg_u64 vcc, 0
	s_subb_u32 s8, s9, s24
	v_subrev_co_u32_e32 v2, vcc, s22, v1
	s_cmp_lg_u64 vcc, 0
	s_subb_u32 s9, s8, 0
	v_readfirstlane_b32 s23, v2
	s_cmp_ge_u32 s23, s22
	s_cselect_b32 s23, -1, 0
	s_cmp_eq_u32 s9, 0
	s_cselect_b32 s9, s23, -1
	s_cmp_lg_u32 s9, 0
	s_cselect_b32 s9, s21, s19
	v_readfirstlane_b32 s19, v1
	s_cselect_b32 s18, s20, s18
	s_cmp_ge_u32 s19, s22
	s_cselect_b32 s19, -1, 0
	s_cmp_eq_u32 s8, 0
	s_cselect_b32 s8, s19, -1
	s_cmp_lg_u32 s8, 0
	s_cselect_b32 s9, s9, s17
	s_cselect_b32 s8, s18, s16
	s_xor_b64 s[8:9], s[8:9], s[10:11]
	s_sub_u32 s20, s8, s10
	s_load_dwordx4 s[16:19], s[0:1], 0x44
	s_cbranch_execnz .LBB64_3
.LBB64_2:
	v_cvt_f32_u32_e32 v1, s22
	s_sub_i32 s6, 0, s22
	v_rcp_iflag_f32_e32 v1, v1
	s_nop 0
	v_mul_f32_e32 v1, 0x4f7ffffe, v1
	v_cvt_u32_f32_e32 v1, v1
	s_nop 0
	v_readfirstlane_b32 s7, v1
	s_mul_i32 s6, s6, s7
	s_mul_hi_u32 s6, s7, s6
	s_add_i32 s7, s7, s6
	s_mul_hi_u32 s6, s5, s7
	s_mul_i32 s8, s6, s22
	s_sub_i32 s5, s5, s8
	s_add_i32 s7, s6, 1
	s_sub_i32 s8, s5, s22
	s_cmp_ge_u32 s5, s22
	s_cselect_b32 s6, s7, s6
	s_cselect_b32 s5, s8, s5
	s_add_i32 s7, s6, 1
	s_cmp_ge_u32 s5, s22
	s_cselect_b32 s20, s7, s6
.LBB64_3:
	s_add_i32 s5, s2, 1
	s_mul_hi_i32 s9, s15, s5
	s_mov_b32 s8, 0
	s_cmp_lg_u64 s[8:9], 0
	s_mul_i32 s5, s15, s5
	s_cbranch_scc0 .LBB64_22
; %bb.4:
	v_cvt_f32_u32_e32 v1, s22
	v_cvt_f32_ubyte0_e32 v2, 0
	s_sub_u32 s8, 0, s22
	s_subb_u32 s10, 0, 0
	v_fmamk_f32 v1, v2, 0x4f800000, v1
	v_rcp_f32_e32 v1, v1
	s_nop 0
	v_mul_f32_e32 v1, 0x5f7ffffc, v1
	v_mul_f32_e32 v2, 0x2f800000, v1
	v_trunc_f32_e32 v2, v2
	v_fmamk_f32 v1, v2, 0xcf800000, v1
	v_cvt_u32_f32_e32 v2, v2
	v_cvt_u32_f32_e32 v1, v1
	v_readfirstlane_b32 s11, v2
	s_waitcnt lgkmcnt(0)
	v_readfirstlane_b32 s19, v1
	s_mul_i32 s21, s8, s11
	s_mul_hi_u32 s24, s8, s19
	s_mul_i32 s23, s10, s19
	s_add_i32 s21, s24, s21
	s_add_i32 s21, s21, s23
	s_mul_i32 s25, s8, s19
	s_mul_hi_u32 s23, s19, s21
	s_mul_i32 s24, s19, s21
	s_mul_hi_u32 s19, s19, s25
	s_add_u32 s19, s19, s24
	s_addc_u32 s23, 0, s23
	s_mul_hi_u32 s26, s11, s25
	s_mul_i32 s25, s11, s25
	s_add_u32 s19, s19, s25
	s_mul_hi_u32 s24, s11, s21
	s_addc_u32 s19, s23, s26
	s_addc_u32 s23, s24, 0
	s_mul_i32 s21, s11, s21
	s_add_u32 s19, s19, s21
	s_addc_u32 s21, 0, s23
	v_add_co_u32_e32 v1, vcc, s19, v1
	s_cmp_lg_u64 vcc, 0
	s_addc_u32 s11, s11, s21
	v_readfirstlane_b32 s21, v1
	s_mul_i32 s19, s8, s11
	s_mul_hi_u32 s23, s8, s21
	s_add_i32 s19, s23, s19
	s_mul_i32 s10, s10, s21
	s_add_i32 s19, s19, s10
	s_mul_i32 s8, s8, s21
	s_mul_hi_u32 s23, s11, s8
	s_mul_i32 s24, s11, s8
	s_mul_i32 s26, s21, s19
	s_mul_hi_u32 s8, s21, s8
	s_mul_hi_u32 s25, s21, s19
	s_add_u32 s8, s8, s26
	s_addc_u32 s21, 0, s25
	s_add_u32 s8, s8, s24
	s_mul_hi_u32 s10, s11, s19
	s_addc_u32 s8, s21, s23
	s_addc_u32 s10, s10, 0
	s_mul_i32 s19, s11, s19
	s_add_u32 s8, s8, s19
	s_addc_u32 s10, 0, s10
	v_add_co_u32_e32 v1, vcc, s8, v1
	s_cmp_lg_u64 vcc, 0
	s_addc_u32 s19, s11, s10
	s_ashr_i32 s10, s9, 31
	s_add_u32 s8, s5, s10
	s_mov_b32 s11, s10
	s_addc_u32 s9, s9, s10
	s_xor_b64 s[8:9], s[8:9], s[10:11]
	v_readfirstlane_b32 s23, v1
	s_mul_i32 s21, s8, s19
	s_mul_hi_u32 s24, s8, s23
	s_mul_hi_u32 s11, s8, s19
	s_add_u32 s21, s24, s21
	s_addc_u32 s11, 0, s11
	s_mul_hi_u32 s25, s9, s23
	s_mul_i32 s23, s9, s23
	s_add_u32 s21, s21, s23
	s_mul_hi_u32 s24, s9, s19
	s_addc_u32 s11, s11, s25
	s_addc_u32 s21, s24, 0
	s_mul_i32 s19, s9, s19
	s_add_u32 s11, s11, s19
	s_addc_u32 s19, 0, s21
	s_mul_i32 s19, s22, s19
	s_mul_hi_u32 s24, s22, s11
	s_add_i32 s24, s24, s19
	s_mul_i32 s19, s22, s11
	v_mov_b32_e32 v1, s19
	s_add_u32 s21, s11, 1
	s_add_u32 s23, s11, 2
	v_sub_co_u32_e32 v1, vcc, s8, v1
	s_cmp_lg_u64 vcc, 0
	s_subb_u32 s8, s9, s24
	v_subrev_co_u32_e32 v2, vcc, s22, v1
	s_cmp_lg_u64 vcc, 0
	s_subb_u32 s9, s8, 0
	v_cmp_le_u32_e32 vcc, s22, v2
	s_cmp_eq_u32 s9, 0
	v_mov_b32_e32 v3, s21
	v_cndmask_b32_e64 v2, 0, -1, vcc
	s_cselect_b64 vcc, -1, 0
	v_cndmask_b32_e32 v2, -1, v2, vcc
	v_mov_b32_e32 v4, s23
	v_cmp_ne_u32_e32 vcc, 0, v2
	s_cmp_eq_u32 s8, 0
	s_nop 0
	v_cndmask_b32_e32 v2, v3, v4, vcc
	v_cmp_le_u32_e32 vcc, s22, v1
	v_mov_b32_e32 v3, s11
	s_nop 0
	v_cndmask_b32_e64 v1, 0, -1, vcc
	s_cselect_b64 vcc, -1, 0
	v_cndmask_b32_e32 v1, -1, v1, vcc
	v_cmp_ne_u32_e32 vcc, 0, v1
	s_nop 1
	v_cndmask_b32_e32 v1, v3, v2, vcc
	v_xor_b32_e32 v1, s10, v1
	v_subrev_co_u32_e32 v2, vcc, s10, v1
	s_cbranch_execnz .LBB64_6
.LBB64_5:
	v_cvt_f32_u32_e32 v1, s22
	s_sub_i32 s6, 0, s22
	s_mov_b32 s7, 0
	v_rcp_iflag_f32_e32 v1, v1
	s_nop 0
	v_mul_f32_e32 v1, 0x4f7ffffe, v1
	v_cvt_u32_f32_e32 v1, v1
	s_nop 0
	v_readfirstlane_b32 s8, v1
	s_mul_i32 s6, s6, s8
	s_mul_hi_u32 s6, s8, s6
	s_add_i32 s8, s8, s6
	s_mul_hi_u32 s6, s5, s8
	s_mul_i32 s9, s6, s22
	s_sub_i32 s5, s5, s9
	s_add_i32 s8, s6, 1
	s_sub_i32 s9, s5, s22
	s_cmp_ge_u32 s5, s22
	s_cselect_b32 s6, s8, s6
	s_cselect_b32 s5, s9, s5
	s_add_i32 s8, s6, 1
	s_cmp_ge_u32 s5, s22
	s_cselect_b32 s6, s8, s6
	v_mov_b64_e32 v[2:3], s[6:7]
.LBB64_6:
	s_waitcnt lgkmcnt(0)
	s_mul_hi_u32 s5, s20, s16
	s_add_i32 s5, s5, s20
	v_mul_hi_u32 v1, v2, s16
	s_lshr_b32 s19, s5, s17
	v_add_u32_e32 v1, v1, v2
	s_mul_i32 s5, s19, s18
	v_lshrrev_b32_e32 v1, s17, v1
	s_cmp_eq_u32 s5, s20
	v_cmp_eq_u32_e64 s[6:7], s19, v1
	v_mul_lo_u32 v1, v1, s18
	v_cmp_eq_u32_e32 vcc, s20, v2
	s_cselect_b64 s[10:11], -1, 0
	v_cmp_ne_u32_e64 s[8:9], v1, v2
	s_and_b64 s[6:7], s[6:7], s[8:9]
	s_or_b64 s[8:9], vcc, s[10:11]
	s_or_b64 s[6:7], s[8:9], s[6:7]
	s_and_b64 vcc, exec, s[6:7]
	s_cbranch_vccnz .LBB64_24
; %bb.7:
	s_load_dwordx8 s[24:31], s[0:1], 0x20
	s_load_dword s5, s[0:1], 0x40
	s_waitcnt lgkmcnt(0)
	s_mul_hi_u32 s6, s20, s24
	s_add_i32 s6, s6, s20
	s_lshr_b32 s7, s6, s25
	s_mul_i32 s6, s7, s26
	s_sub_i32 s6, s20, s6
	s_mul_hi_u32 s8, s6, s27
	s_add_i32 s8, s6, s8
	s_lshr_b32 s23, s8, s28
	s_mul_i32 s8, s23, s29
	s_sub_i32 s6, s6, s8
	;; [unrolled: 5-line block ×3, first 2 shown]
	s_mul_hi_u32 s6, s5, s16
	s_add_i32 s5, s5, s6
	s_lshr_b32 s24, s5, s17
	s_lshl_b32 s5, s24, 3
	s_add_i32 s5, s5, s3
	s_cmp_lt_i32 s5, s12
	s_cselect_b64 s[8:9], -1, 0
	s_add_i32 s25, s25, s4
	s_cmp_lt_i32 s25, s14
	s_cselect_b64 s[10:11], -1, 0
	s_and_b64 s[8:9], s[8:9], s[10:11]
	s_andn2_b64 vcc, exec, s[8:9]
	s_mov_b32 s6, 0
	s_cbranch_vccnz .LBB64_24
; %bb.8:
	s_load_dwordx4 s[8:11], s[0:1], 0x0
	s_lshl_b32 s0, s22, 5
	s_mov_b32 s1, s6
	s_add_i32 s21, s3, s4
	s_lshl_b64 s[0:1], s[0:1], 2
	s_waitcnt lgkmcnt(0)
	s_add_u32 s4, s10, s0
	s_mul_i32 s0, s7, s12
	s_addc_u32 s5, s11, s1
	s_mul_i32 s23, s23, s14
	s_add_i32 s0, s0, s3
	s_mul_i32 s0, s0, s13
	s_add_i32 s3, s25, s23
	;; [unrolled: 2-line block ×3, first 2 shown]
	s_mulk_i32 s1, 0x380
	s_mulk_i32 s0, 0x70
	s_add_i32 s1, s1, s0
	v_add_u32_e32 v4, s1, v0
	v_mov_b32_e32 v2, s8
	v_mov_b32_e32 v3, s9
	v_ashrrev_i32_e32 v5, 31, v4
	v_lshl_add_u64 v[2:3], v[4:5], 2, v[2:3]
	global_load_dword v5, v[2:3], off
	s_lshl_b32 s0, s2, 3
	s_add_i32 s0, s0, s21
	s_ashr_i32 s1, s0, 31
	s_lshl_b64 s[0:1], s[0:1], 3
	s_add_u32 s0, s10, s0
	s_addc_u32 s1, s11, s1
	s_add_i32 s12, s2, -1
	s_mul_i32 s2, s21, 0x70
	v_add_u32_e32 v4, s2, v0
	v_cvt_f32_u32_e32 v0, s22
	v_cvt_f32_ubyte0_e32 v1, 0
	s_load_dwordx2 s[0:1], s[0:1], 0x0
	v_mov_b32_e32 v8, s20
	v_fmac_f32_e32 v0, 0x4f800000, v1
	v_rcp_f32_e32 v0, v0
	v_cvt_f32_u32_e32 v1, s22
	s_waitcnt lgkmcnt(0)
	v_mov_b32_e32 v6, s1
	v_mov_b32_e32 v7, s0
	v_mul_f32_e32 v0, 0x5f7ffffc, v0
	v_rcp_iflag_f32_e32 v1, v1
	v_mul_f32_e32 v9, 0x2f800000, v0
	v_trunc_f32_e32 v10, v9
	v_fmac_f32_e32 v0, 0xcf800000, v10
	v_cvt_u32_f32_e32 v9, v0
	v_mul_f32_e32 v0, 0x4f7ffffe, v1
	v_cvt_u32_f32_e32 v10, v10
	v_cvt_u32_f32_e32 v11, v0
	s_mov_b32 s8, 0x3fb8aa3b
	s_mov_b32 s9, 0xc2ce8ed0
	;; [unrolled: 1-line block ×4, first 2 shown]
	v_mov_b32_e32 v12, 0x7f800000
	s_mul_hi_i32 s7, s12, s15
	s_cmp_lg_u64 s[6:7], 0
	s_mul_i32 s2, s12, s15
	s_cbranch_scc0 .LBB64_15
.LBB64_9:
	s_sub_u32 s0, 0, s22
	v_readfirstlane_b32 s3, v9
	v_readfirstlane_b32 s24, v10
	s_subb_u32 s1, 0, 0
	s_mul_hi_u32 s23, s0, s3
	s_mul_i32 s25, s0, s24
	s_mul_i32 s20, s1, s3
	s_add_i32 s23, s23, s25
	s_add_i32 s23, s23, s20
	s_mul_i32 s26, s0, s3
	s_mul_hi_u32 s20, s3, s23
	s_mul_i32 s25, s3, s23
	s_mul_hi_u32 s3, s3, s26
	s_add_u32 s3, s3, s25
	s_addc_u32 s20, 0, s20
	s_mul_hi_u32 s27, s24, s26
	s_mul_i32 s26, s24, s26
	s_add_u32 s3, s3, s26
	s_mul_hi_u32 s25, s24, s23
	s_addc_u32 s3, s20, s27
	s_addc_u32 s20, s25, 0
	s_mul_i32 s23, s24, s23
	s_add_u32 s3, s3, s23
	s_addc_u32 s20, 0, s20
	v_add_co_u32_e32 v0, vcc, s3, v9
	s_cmp_lg_u64 vcc, 0
	s_addc_u32 s3, s24, s20
	v_readfirstlane_b32 s23, v0
	s_mul_i32 s20, s0, s3
	s_mul_hi_u32 s24, s0, s23
	s_add_i32 s20, s24, s20
	s_mul_i32 s1, s1, s23
	s_add_i32 s20, s20, s1
	s_mul_i32 s0, s0, s23
	s_mul_hi_u32 s24, s3, s0
	s_mul_i32 s25, s3, s0
	s_mul_i32 s27, s23, s20
	s_mul_hi_u32 s0, s23, s0
	s_mul_hi_u32 s26, s23, s20
	s_add_u32 s0, s0, s27
	s_addc_u32 s23, 0, s26
	s_add_u32 s0, s0, s25
	s_mul_hi_u32 s1, s3, s20
	s_addc_u32 s0, s23, s24
	s_addc_u32 s1, s1, 0
	s_mul_i32 s20, s3, s20
	s_add_u32 s0, s0, s20
	s_addc_u32 s1, 0, s1
	v_add_co_u32_e32 v0, vcc, s0, v0
	s_cmp_lg_u64 vcc, 0
	s_addc_u32 s3, s3, s1
	s_ashr_i32 s0, s7, 31
	s_add_u32 s24, s2, s0
	s_mov_b32 s1, s0
	s_addc_u32 s25, s7, s0
	s_xor_b64 s[24:25], s[24:25], s[0:1]
	v_readfirstlane_b32 s20, v0
	s_mul_i32 s7, s24, s3
	s_mul_hi_u32 s23, s24, s20
	s_mul_hi_u32 s1, s24, s3
	s_add_u32 s7, s23, s7
	s_addc_u32 s1, 0, s1
	s_mul_hi_u32 s26, s25, s20
	s_mul_i32 s20, s25, s20
	s_add_u32 s7, s7, s20
	s_mul_hi_u32 s23, s25, s3
	s_addc_u32 s1, s1, s26
	s_addc_u32 s7, s23, 0
	s_mul_i32 s3, s25, s3
	s_add_u32 s1, s1, s3
	s_addc_u32 s3, 0, s7
	s_mul_i32 s3, s22, s3
	s_mul_hi_u32 s23, s22, s1
	s_add_i32 s23, s23, s3
	s_mul_i32 s3, s22, s1
	v_mov_b32_e32 v0, s3
	s_add_u32 s7, s1, 1
	s_add_u32 s20, s1, 2
	v_sub_co_u32_e32 v0, vcc, s24, v0
	s_cmp_lg_u64 vcc, 0
	s_subb_u32 s3, s25, s23
	v_subrev_co_u32_e32 v1, vcc, s22, v0
	s_cmp_lg_u64 vcc, 0
	s_subb_u32 s23, s3, 0
	v_cmp_le_u32_e32 vcc, s22, v1
	s_cmp_eq_u32 s23, 0
	v_mov_b32_e32 v13, s7
	v_cndmask_b32_e64 v1, 0, -1, vcc
	s_cselect_b64 vcc, -1, 0
	v_cndmask_b32_e32 v1, -1, v1, vcc
	v_mov_b32_e32 v14, s20
	v_cmp_ne_u32_e32 vcc, 0, v1
	s_cmp_eq_u32 s3, 0
	s_nop 0
	v_cndmask_b32_e32 v1, v13, v14, vcc
	v_cmp_le_u32_e32 vcc, s22, v0
	v_mov_b32_e32 v13, s1
	s_nop 0
	v_cndmask_b32_e64 v0, 0, -1, vcc
	s_cselect_b64 vcc, -1, 0
	v_cndmask_b32_e32 v0, -1, v0, vcc
	v_cmp_ne_u32_e32 vcc, 0, v0
	s_nop 1
	v_cndmask_b32_e32 v0, v13, v1, vcc
	v_xor_b32_e32 v0, s0, v0
	v_subrev_co_u32_e32 v0, vcc, s0, v0
	s_cbranch_execnz .LBB64_11
.LBB64_10:
	s_sub_i32 s0, 0, s22
	v_mul_lo_u32 v0, s0, v11
	v_mul_hi_u32 v0, v11, v0
	v_add_u32_e32 v0, v11, v0
	v_mul_hi_u32 v0, s2, v0
	v_mul_lo_u32 v13, v0, s22
	v_sub_u32_e32 v13, s2, v13
	v_add_u32_e32 v1, 1, v0
	v_subrev_u32_e32 v14, s22, v13
	v_cmp_le_u32_e32 vcc, s22, v13
	s_nop 1
	v_cndmask_b32_e32 v13, v13, v14, vcc
	v_cndmask_b32_e32 v0, v0, v1, vcc
	v_add_u32_e32 v1, 1, v0
	v_cmp_le_u32_e32 vcc, s22, v13
	s_nop 1
	v_cndmask_b32_e32 v0, v0, v1, vcc
.LBB64_11:
	v_cmp_ne_u32_e32 vcc, v8, v0
	s_cbranch_vccz .LBB64_14
; %bb.12:
	s_add_i32 s0, s12, s22
	s_lshl_b32 s0, s0, 3
	v_mul_hi_u32 v1, v0, s16
	s_add_i32 s0, s0, s21
	s_mov_b32 s1, s6
	v_add_u32_e32 v1, v1, v0
	s_lshl_b64 s[0:1], s[0:1], 3
	v_lshrrev_b32_e32 v1, s17, v1
	s_add_u32 s2, s10, s0
	v_mul_lo_u32 v13, v1, s18
	s_addc_u32 s3, s11, s1
	v_cmp_eq_u32_e32 vcc, v13, v0
	v_cmp_gt_u32_e64 s[0:1], s19, v1
	s_or_b64 s[0:1], s[0:1], vcc
	s_and_b64 vcc, exec, s[0:1]
	s_cbranch_vccnz .LBB64_16
; %bb.13:
	s_add_i32 s7, s12, -1
	s_mov_b64 s[0:1], 0
	s_branch .LBB64_17
.LBB64_14:
                                        ; implicit-def: $sgpr0_sgpr1
                                        ; implicit-def: $vgpr14
                                        ; implicit-def: $vgpr1
                                        ; implicit-def: $vgpr13
                                        ; implicit-def: $sgpr7
                                        ; implicit-def: $vgpr0
	s_branch .LBB64_18
.LBB64_15:
                                        ; implicit-def: $vgpr0_vgpr1
	s_branch .LBB64_10
.LBB64_16:
	s_mov_b64 s[0:1], -1
	s_mov_b32 s7, s12
	v_mov_b32_e32 v0, v8
.LBB64_17:
	s_mul_i32 s20, s12, 0x380
	v_add_u32_e32 v14, s20, v4
	v_ashrrev_i32_e32 v15, 31, v14
	v_lshl_add_u64 v[14:15], v[14:15], 2, s[4:5]
	global_load_dword v14, v[14:15], off
	s_load_dwordx2 s[2:3], s[2:3], 0x0
	v_max_f32_e32 v1, v7, v7
	s_waitcnt lgkmcnt(0)
	v_max_f32_e64 v13, s2, s2
	v_max_f32_e32 v1, v1, v13
	v_sub_f32_e32 v13, v7, v1
	v_sub_f32_e32 v15, s2, v1
	v_mul_f32_e32 v16, 0x3fb8aa3b, v13
	v_mul_f32_e32 v17, 0x3fb8aa3b, v15
	v_fma_f32 v18, v13, s8, -v16
	v_rndne_f32_e32 v19, v16
	v_fma_f32 v20, v15, s8, -v17
	v_rndne_f32_e32 v21, v17
	v_fmac_f32_e32 v18, 0x32a5705f, v13
	v_sub_f32_e32 v16, v16, v19
	v_fmac_f32_e32 v20, 0x32a5705f, v15
	v_sub_f32_e32 v17, v17, v21
	v_add_f32_e32 v16, v16, v18
	v_cvt_i32_f32_e32 v19, v19
	v_add_f32_e32 v17, v17, v20
	v_exp_f32_e32 v16, v16
	v_cvt_i32_f32_e32 v21, v21
	v_exp_f32_e32 v17, v17
	v_cmp_ngt_f32_e32 vcc, s9, v13
	v_ldexp_f32 v16, v16, v19
	v_ldexp_f32 v17, v17, v21
	v_cndmask_b32_e32 v16, 0, v16, vcc
	v_cmp_ngt_f32_e32 vcc, s9, v15
	s_nop 1
	v_cndmask_b32_e32 v17, 0, v17, vcc
	v_cmp_nlt_f32_e32 vcc, s13, v13
	s_nop 1
	v_cndmask_b32_e32 v16, v12, v16, vcc
	v_cmp_nlt_f32_e32 vcc, s13, v15
	s_nop 1
	v_cndmask_b32_e32 v17, v12, v17, vcc
	v_cmp_le_f32_e32 vcc, s14, v13
	s_nop 1
	v_cndmask_b32_e32 v16, 0, v16, vcc
	v_cmp_le_f32_e32 vcc, s14, v15
	s_nop 1
	v_cndmask_b32_e32 v15, 0, v17, vcc
	v_mul_f32_e32 v13, s3, v15
	v_fmac_f32_e32 v13, v6, v16
	s_waitcnt vmcnt(0)
	v_mul_f32_e32 v14, v14, v15
	v_fmac_f32_e32 v14, v5, v16
	s_cbranch_execnz .LBB64_19
.LBB64_18:
	s_add_i32 s7, s12, -1
	s_mov_b64 s[0:1], 0
	v_mov_b32_e32 v0, v8
	v_mov_b32_e32 v13, v6
	;; [unrolled: 1-line block ×3, first 2 shown]
	s_waitcnt vmcnt(0)
	v_mov_b32_e32 v14, v5
.LBB64_19:
	s_andn2_b64 vcc, exec, s[0:1]
	s_cbranch_vccz .LBB64_23
; %bb.20:
	v_mov_b32_e32 v8, v0
	s_mov_b32 s12, s7
	v_mov_b32_e32 v6, v13
	v_mov_b32_e32 v7, v1
	s_waitcnt vmcnt(0)
	v_mov_b32_e32 v5, v14
	s_mul_hi_i32 s7, s12, s15
	s_cmp_lg_u64 s[6:7], 0
	s_mul_i32 s2, s12, s15
	s_cbranch_scc1 .LBB64_9
	s_branch .LBB64_15
.LBB64_21:
                                        ; implicit-def: $sgpr20_sgpr21
	s_load_dwordx4 s[16:19], s[0:1], 0x44
	s_branch .LBB64_2
.LBB64_22:
                                        ; implicit-def: $vgpr2_vgpr3
	s_branch .LBB64_5
.LBB64_23:
	v_div_scale_f32 v0, s[0:1], v13, v13, v14
	v_rcp_f32_e32 v1, v0
	v_div_scale_f32 v4, vcc, v14, v13, v14
	s_waitcnt vmcnt(0)
	v_fma_f32 v5, -v0, v1, 1.0
	v_fmac_f32_e32 v1, v5, v1
	v_mul_f32_e32 v5, v4, v1
	v_fma_f32 v6, -v0, v5, v4
	v_fmac_f32_e32 v5, v6, v1
	v_fma_f32 v0, -v0, v5, v4
	v_div_fmas_f32 v0, v0, v1, v5
	v_div_fixup_f32 v0, v0, v13, v14
	global_store_dword v[2:3], v0, off
.LBB64_24:
	s_endpgm
	.section	.rodata,"a",@progbits
	.p2align	6, 0x0
	.amdhsa_kernel _ZL33flash_attn_stream_k_fixup_generalILi112ELi8ELi1EEvPfPK15HIP_vector_typeIfLj2EEiiiiS1_IjLj3EES5_S5_S5_
		.amdhsa_group_segment_fixed_size 0
		.amdhsa_private_segment_fixed_size 0
		.amdhsa_kernarg_size 336
		.amdhsa_user_sgpr_count 2
		.amdhsa_user_sgpr_dispatch_ptr 0
		.amdhsa_user_sgpr_queue_ptr 0
		.amdhsa_user_sgpr_kernarg_segment_ptr 1
		.amdhsa_user_sgpr_dispatch_id 0
		.amdhsa_user_sgpr_kernarg_preload_length 0
		.amdhsa_user_sgpr_kernarg_preload_offset 0
		.amdhsa_user_sgpr_private_segment_size 0
		.amdhsa_uses_dynamic_stack 0
		.amdhsa_enable_private_segment 0
		.amdhsa_system_sgpr_workgroup_id_x 1
		.amdhsa_system_sgpr_workgroup_id_y 1
		.amdhsa_system_sgpr_workgroup_id_z 1
		.amdhsa_system_sgpr_workgroup_info 0
		.amdhsa_system_vgpr_workitem_id 0
		.amdhsa_next_free_vgpr 22
		.amdhsa_next_free_sgpr 32
		.amdhsa_accum_offset 24
		.amdhsa_reserve_vcc 1
		.amdhsa_float_round_mode_32 0
		.amdhsa_float_round_mode_16_64 0
		.amdhsa_float_denorm_mode_32 3
		.amdhsa_float_denorm_mode_16_64 3
		.amdhsa_dx10_clamp 1
		.amdhsa_ieee_mode 1
		.amdhsa_fp16_overflow 0
		.amdhsa_tg_split 0
		.amdhsa_exception_fp_ieee_invalid_op 0
		.amdhsa_exception_fp_denorm_src 0
		.amdhsa_exception_fp_ieee_div_zero 0
		.amdhsa_exception_fp_ieee_overflow 0
		.amdhsa_exception_fp_ieee_underflow 0
		.amdhsa_exception_fp_ieee_inexact 0
		.amdhsa_exception_int_div_zero 0
	.end_amdhsa_kernel
	.section	.text._ZL33flash_attn_stream_k_fixup_generalILi112ELi8ELi1EEvPfPK15HIP_vector_typeIfLj2EEiiiiS1_IjLj3EES5_S5_S5_,"axG",@progbits,_ZL33flash_attn_stream_k_fixup_generalILi112ELi8ELi1EEvPfPK15HIP_vector_typeIfLj2EEiiiiS1_IjLj3EES5_S5_S5_,comdat
.Lfunc_end64:
	.size	_ZL33flash_attn_stream_k_fixup_generalILi112ELi8ELi1EEvPfPK15HIP_vector_typeIfLj2EEiiiiS1_IjLj3EES5_S5_S5_, .Lfunc_end64-_ZL33flash_attn_stream_k_fixup_generalILi112ELi8ELi1EEvPfPK15HIP_vector_typeIfLj2EEiiiiS1_IjLj3EES5_S5_S5_
                                        ; -- End function
	.section	.AMDGPU.csdata,"",@progbits
; Kernel info:
; codeLenInByte = 2860
; NumSgprs: 38
; NumVgprs: 22
; NumAgprs: 0
; TotalNumVgprs: 22
; ScratchSize: 0
; MemoryBound: 0
; FloatMode: 240
; IeeeMode: 1
; LDSByteSize: 0 bytes/workgroup (compile time only)
; SGPRBlocks: 4
; VGPRBlocks: 2
; NumSGPRsForWavesPerEU: 38
; NumVGPRsForWavesPerEU: 22
; AccumOffset: 24
; Occupancy: 8
; WaveLimiterHint : 0
; COMPUTE_PGM_RSRC2:SCRATCH_EN: 0
; COMPUTE_PGM_RSRC2:USER_SGPR: 2
; COMPUTE_PGM_RSRC2:TRAP_HANDLER: 0
; COMPUTE_PGM_RSRC2:TGID_X_EN: 1
; COMPUTE_PGM_RSRC2:TGID_Y_EN: 1
; COMPUTE_PGM_RSRC2:TGID_Z_EN: 1
; COMPUTE_PGM_RSRC2:TIDIG_COMP_CNT: 0
; COMPUTE_PGM_RSRC3_GFX90A:ACCUM_OFFSET: 5
; COMPUTE_PGM_RSRC3_GFX90A:TG_SPLIT: 0
	.section	.text._ZL15flash_attn_tileILi112ELi112ELi4ELi1ELb0EEvPKcS1_S1_S1_S1_PKiPfP15HIP_vector_typeIfLj2EEffffjfiS5_IjLj3EEiiiiiiiiiiiliiliiiiil,"axG",@progbits,_ZL15flash_attn_tileILi112ELi112ELi4ELi1ELb0EEvPKcS1_S1_S1_S1_PKiPfP15HIP_vector_typeIfLj2EEffffjfiS5_IjLj3EEiiiiiiiiiiiliiliiiiil,comdat
	.globl	_ZL15flash_attn_tileILi112ELi112ELi4ELi1ELb0EEvPKcS1_S1_S1_S1_PKiPfP15HIP_vector_typeIfLj2EEffffjfiS5_IjLj3EEiiiiiiiiiiiliiliiiiil ; -- Begin function _ZL15flash_attn_tileILi112ELi112ELi4ELi1ELb0EEvPKcS1_S1_S1_S1_PKiPfP15HIP_vector_typeIfLj2EEffffjfiS5_IjLj3EEiiiiiiiiiiiliiliiiiil
	.p2align	8
	.type	_ZL15flash_attn_tileILi112ELi112ELi4ELi1ELb0EEvPKcS1_S1_S1_S1_PKiPfP15HIP_vector_typeIfLj2EEffffjfiS5_IjLj3EEiiiiiiiiiiiliiliiiiil,@function
_ZL15flash_attn_tileILi112ELi112ELi4ELi1ELb0EEvPKcS1_S1_S1_S1_PKiPfP15HIP_vector_typeIfLj2EEffffjfiS5_IjLj3EEiiiiiiiiiiiliiliiiiil: ; @_ZL15flash_attn_tileILi112ELi112ELi4ELi1ELb0EEvPKcS1_S1_S1_S1_PKiPfP15HIP_vector_typeIfLj2EEffffjfiS5_IjLj3EEiiiiiiiiiiiliiliiiiil
; %bb.0:
	s_load_dwordx4 s[36:39], s[0:1], 0x5c
	s_load_dwordx2 s[42:43], s[0:1], 0x80
	s_load_dwordx16 s[16:31], s[0:1], 0x0
	s_load_dwordx2 s[10:11], s[0:1], 0xb8
	s_mov_b64 s[40:41], 0
	s_waitcnt lgkmcnt(0)
	v_cvt_f32_u32_e32 v1, s39
	s_sub_i32 s5, 0, s39
	v_rcp_iflag_f32_e32 v1, v1
	s_nop 0
	v_mul_f32_e32 v1, 0x4f7ffffe, v1
	v_cvt_u32_f32_e32 v1, v1
	s_nop 0
	v_readfirstlane_b32 s6, v1
	s_mul_i32 s5, s5, s6
	s_mul_hi_u32 s5, s6, s5
	s_add_i32 s6, s6, s5
	s_mul_hi_u32 s5, s4, s6
	s_mul_i32 s6, s5, s39
	s_sub_i32 s6, s4, s6
	s_add_i32 s7, s5, 1
	s_sub_i32 s8, s6, s39
	s_cmp_ge_u32 s6, s39
	s_cselect_b32 s5, s7, s5
	s_cselect_b32 s6, s8, s6
	s_add_i32 s7, s5, 1
	s_cmp_ge_u32 s6, s39
	s_cselect_b32 s33, s7, s5
	s_abs_i32 s5, s43
	v_cvt_f32_u32_e32 v1, s5
	s_sub_i32 s8, 0, s5
	s_abs_i32 s7, s39
	s_xor_b32 s6, s39, s43
	v_rcp_iflag_f32_e32 v1, v1
	s_ashr_i32 s6, s6, 31
	v_mul_f32_e32 v1, 0x4f7ffffe, v1
	v_cvt_u32_f32_e32 v1, v1
	v_mul_lo_u32 v2, s8, v1
	v_mul_hi_u32 v2, v1, v2
	v_add_u32_e32 v1, v1, v2
	v_mul_hi_u32 v1, s7, v1
	v_mul_lo_u32 v2, v1, s5
	v_sub_u32_e32 v2, s7, v2
	v_add_u32_e32 v3, 1, v1
	v_subrev_u32_e32 v4, s5, v2
	v_cmp_le_u32_e32 vcc, s5, v2
	s_nop 1
	v_cndmask_b32_e32 v1, v1, v3, vcc
	v_cndmask_b32_e32 v2, v2, v4, vcc
	v_add_u32_e32 v3, 1, v1
	v_cmp_le_u32_e32 vcc, s5, v2
	s_mul_i32 s5, s33, s39
	s_sub_i32 s34, s4, s5
	v_cndmask_b32_e32 v1, v1, v3, vcc
	v_xor_b32_e32 v1, s6, v1
	v_subrev_u32_e32 v2, s6, v1
	v_sub_u32_e32 v1, 0, v2
	v_max_i32_e32 v1, v2, v1
	v_cvt_f32_u32_e32 v3, v1
	v_sub_u32_e32 v4, 0, v1
	s_cmp_eq_u64 s[22:23], 0
	v_rcp_iflag_f32_e32 v3, v3
	s_nop 0
	v_mul_f32_e32 v3, 0x4f7ffffe, v3
	v_cvt_u32_f32_e32 v3, v3
	v_mul_lo_u32 v4, v4, v3
	v_mul_hi_u32 v4, v3, v4
	s_cbranch_scc1 .LBB65_2
; %bb.1:
	s_abs_i32 s6, s10
	v_cvt_f32_u32_e32 v5, s6
	s_sub_i32 s9, 0, s6
	s_abs_i32 s8, s33
	s_ashr_i32 s7, s33, 31
	v_rcp_iflag_f32_e32 v5, v5
	s_load_dwordx2 s[4:5], s[0:1], 0xc8
	v_mul_f32_e32 v5, 0x4f7ffffe, v5
	v_cvt_u32_f32_e32 v5, v5
	s_nop 0
	v_readfirstlane_b32 s10, v5
	s_mul_i32 s9, s9, s10
	s_mul_hi_u32 s9, s10, s9
	s_add_i32 s10, s10, s9
	s_mul_hi_u32 s9, s8, s10
	s_mul_i32 s9, s9, s6
	s_sub_i32 s8, s8, s9
	s_sub_i32 s9, s8, s6
	s_cmp_ge_u32 s8, s6
	s_cselect_b32 s8, s9, s8
	s_sub_i32 s9, s8, s6
	s_cmp_ge_u32 s8, s6
	s_cselect_b32 s6, s9, s8
	s_xor_b32 s6, s6, s7
	s_sub_i32 s6, s6, s7
	s_ashr_i32 s7, s6, 31
	s_waitcnt lgkmcnt(0)
	s_mul_i32 s5, s6, s5
	s_mul_hi_u32 s8, s6, s4
	s_add_i32 s5, s8, s5
	s_mul_i32 s7, s7, s4
	s_add_i32 s5, s5, s7
	s_mul_i32 s6, s6, s4
	s_add_u32 s40, s22, s6
	s_addc_u32 s41, s23, s5
.LBB65_2:
	s_load_dwordx4 s[12:15], s[0:1], 0x40
	s_load_dword s4, s[0:1], 0x50
	s_abs_i32 s10, s34
	v_add_u32_e32 v3, v3, v4
	v_mov_b32_e32 v76, 1.0
	s_waitcnt lgkmcnt(0)
	v_cmp_le_f32_e64 s[6:7], s13, 0
	s_and_b64 vcc, exec, s[6:7]
	s_cbranch_vccnz .LBB65_4
; %bb.3:
	s_sub_i32 s5, s34, s4
	s_lshl_b32 s5, s5, 1
	s_add_i32 s6, s34, 1
	s_or_b32 s7, s5, 1
	s_cmp_lt_u32 s34, s4
	s_cselect_b64 vcc, -1, 0
	s_and_b64 s[4:5], vcc, exec
	v_mov_b32_e32 v4, s15
	v_mov_b32_e32 v5, s14
	s_cselect_b32 s4, s6, s7
	v_cndmask_b32_e32 v20, v4, v5, vcc
	v_cvt_f32_i32_e32 v4, s4
	v_cmp_neq_f32_e32 vcc, 1.0, v20
	s_mov_b32 s4, 0x3f2aaaab
	s_movk_i32 s6, 0x204
	v_cndmask_b32_e32 v21, 1.0, v4, vcc
	v_cmp_eq_f32_e32 vcc, 0, v21
	s_mov_b32 s8, 0x42b17218
	s_mov_b32 s7, 0x7f800000
	v_cndmask_b32_e64 v22, |v20|, 1.0, vcc
	v_frexp_mant_f32_e32 v4, v22
	v_cmp_gt_f32_e64 s[4:5], s4, v4
	s_brev_b32 s14, -2
	s_nop 0
	v_cndmask_b32_e64 v5, 1.0, 2.0, s[4:5]
	v_mul_f32_e32 v4, v4, v5
	v_add_f32_e32 v7, 1.0, v4
	v_rcp_f32_e32 v12, v7
	v_add_f32_e32 v5, -1.0, v7
	v_sub_f32_e32 v9, v4, v5
	v_add_f32_e32 v5, -1.0, v4
	v_mul_f32_e32 v13, v5, v12
	v_mul_f32_e32 v6, v7, v13
	v_fma_f32 v8, v13, v7, -v6
	v_fmac_f32_e32 v8, v13, v9
	v_add_f32_e32 v4, v6, v8
	v_sub_f32_e32 v7, v5, v4
	v_pk_add_f32 v[10:11], v[4:5], v[6:7] neg_lo:[0,1] neg_hi:[0,1]
	v_mov_b32_e32 v9, v4
	v_pk_add_f32 v[4:5], v[10:11], v[8:9] neg_lo:[0,1] neg_hi:[0,1]
	v_mov_b32_e32 v8, 0x3e91f4c4
	v_add_f32_e32 v4, v4, v5
	v_add_f32_e32 v4, v7, v4
	v_mul_f32_e32 v5, v12, v4
	v_add_f32_e32 v4, v13, v5
	v_sub_f32_e32 v6, v4, v13
	v_sub_f32_e32 v14, v5, v6
	v_mul_f32_e32 v5, v4, v4
	v_fma_f32 v7, v4, v4, -v5
	v_add_f32_e32 v6, v14, v14
	v_fmac_f32_e32 v7, v4, v6
	v_add_f32_e32 v6, v5, v7
	v_fmac_f32_e32 v8, 0x3e76c4e1, v6
	v_fmaak_f32 v8, v6, v8, 0x3ecccdef
	v_sub_f32_e32 v5, v6, v5
	v_sub_f32_e32 v15, v7, v5
	v_mul_f32_e32 v5, v6, v8
	v_fma_f32 v7, v6, v8, -v5
	v_fmac_f32_e32 v7, v15, v8
	v_add_f32_e32 v8, v5, v7
	v_add_f32_e32 v9, 0x3f2aaaaa, v8
	v_sub_f32_e32 v5, v8, v5
	v_sub_f32_e32 v5, v7, v5
	v_add_f32_e32 v7, 0xbf2aaaaa, v9
	v_add_f32_e32 v5, 0x31739010, v5
	v_sub_f32_e32 v7, v8, v7
	v_pk_mul_f32 v[10:11], v[4:5], v[6:7]
	v_pk_add_f32 v[12:13], v[4:5], v[6:7]
	v_fma_f32 v8, v6, v4, -v10
	v_fmac_f32_e32 v8, v6, v14
	v_mov_b32_e32 v11, v13
	v_fmac_f32_e32 v8, v15, v4
	v_pk_add_f32 v[6:7], v[10:11], v[8:9]
	v_ldexp_f32 v16, v14, 1
	v_sub_f32_e32 v5, v6, v10
	v_sub_f32_e32 v5, v8, v5
	;; [unrolled: 1-line block ×3, first 2 shown]
	v_add_f32_e32 v11, v13, v8
	v_mov_b32_e32 v8, v7
	v_pk_mul_f32 v[8:9], v[6:7], v[8:9]
	v_cvt_f64_f32_e32 v[12:13], v22
	v_frexp_exp_i32_f64_e32 v9, v[12:13]
	v_subbrev_co_u32_e64 v9, s[4:5], 0, v9, s[4:5]
	v_cvt_f32_i32_e32 v9, v9
	v_fma_f32 v10, v6, v7, -v8
	v_fmac_f32_e32 v10, v6, v11
	s_mov_b32 s4, 0x3f317218
	v_mul_f32_e32 v6, 0x3f317218, v9
	v_fmac_f32_e32 v10, v5, v7
	v_fma_f32 v5, v9, s4, -v6
	v_fmamk_f32 v12, v9, 0xb102e308, v5
	v_ldexp_f32 v13, v4, 1
	v_add_f32_e32 v7, v8, v10
	v_pk_add_f32 v[4:5], v[6:7], v[12:13]
	v_mov_b32_e32 v14, v7
	v_mov_b32_e32 v15, v5
	v_mov_b32_e32 v9, v13
	v_pk_add_f32 v[8:9], v[14:15], v[8:9] neg_lo:[0,1] neg_hi:[0,1]
	v_mov_b32_e32 v11, v7
	v_pk_add_f32 v[8:9], v[10:11], v[8:9] neg_lo:[0,1] neg_hi:[0,1]
	v_mov_b32_e32 v13, v4
	v_add_f32_e32 v7, v16, v8
	v_add_f32_e32 v7, v7, v9
	v_pk_add_f32 v[8:9], v[4:5], v[6:7] neg_lo:[0,1] neg_hi:[0,1]
	v_pk_add_f32 v[10:11], v[4:5], v[6:7]
	v_mov_b32_e32 v14, v8
	v_mov_b32_e32 v15, v11
	v_pk_add_f32 v[14:15], v[12:13], v[14:15]
	v_pk_add_f32 v[8:9], v[12:13], v[8:9] neg_lo:[0,1] neg_hi:[0,1]
	v_mov_b32_e32 v6, v15
	v_pk_add_f32 v[16:17], v[6:7], v[4:5] neg_lo:[0,1] neg_hi:[0,1]
	v_mov_b32_e32 v14, v11
	v_mov_b32_e32 v17, v16
	;; [unrolled: 1-line block ×4, first 2 shown]
	v_pk_add_f32 v[18:19], v[10:11], v[16:17] neg_lo:[0,1] neg_hi:[0,1]
	v_pk_add_f32 v[4:5], v[14:15], v[4:5] neg_lo:[0,1] neg_hi:[0,1]
	v_mov_b32_e32 v12, v7
	v_pk_add_f32 v[4:5], v[12:13], v[4:5] neg_lo:[0,1] neg_hi:[0,1]
	v_mov_b32_e32 v18, v8
	v_pk_add_f32 v[10:11], v[18:19], v[4:5]
	v_mov_b32_e32 v9, v15
	v_mov_b32_e32 v12, v11
	v_pk_add_f32 v[12:13], v[10:11], v[12:13]
	s_nop 0
	v_pk_add_f32 v[6:7], v[6:7], v[12:13]
	v_mov_b32_e32 v5, v12
	v_mov_b32_e32 v11, v6
	v_pk_add_f32 v[14:15], v[10:11], v[8:9] neg_lo:[0,1] neg_hi:[0,1]
	s_nop 0
	v_sub_f32_e32 v7, v10, v14
	v_pk_add_f32 v[4:5], v[4:5], v[14:15] neg_lo:[0,1] neg_hi:[0,1]
	v_sub_f32_e32 v7, v8, v7
	v_add_f32_e32 v4, v4, v7
	v_add_f32_e32 v4, v4, v5
	;; [unrolled: 1-line block ×3, first 2 shown]
	v_sub_f32_e32 v6, v5, v6
	v_sub_f32_e32 v4, v4, v6
	v_mul_f32_e32 v6, v21, v5
	v_fma_f32 v5, v21, v5, -v6
	v_fmac_f32_e32 v5, v21, v4
	v_add_f32_e32 v4, v6, v5
	v_cmp_class_f32_e64 s[4:5], v6, s6
	v_sub_f32_e32 v7, v4, v6
	v_sub_f32_e32 v5, v5, v7
	v_cndmask_b32_e64 v4, v4, v6, s[4:5]
	v_mov_b32_e32 v6, 0x37000000
	v_cmp_eq_f32_e64 s[4:5], s8, v4
	s_nop 1
	v_cndmask_b32_e64 v6, 0, v6, s[4:5]
	v_sub_f32_e32 v7, v4, v6
	s_mov_b32 s4, 0x3fb8aa3b
	v_mul_f32_e32 v8, 0x3fb8aa3b, v7
	v_fma_f32 v9, v7, s4, -v8
	v_rndne_f32_e32 v10, v8
	v_fmamk_f32 v9, v7, 0x32a5705f, v9
	v_sub_f32_e32 v8, v8, v10
	v_add_f32_e32 v8, v8, v9
	v_exp_f32_e32 v8, v8
	v_cvt_i32_f32_e32 v9, v10
	v_cmp_neq_f32_e64 s[4:5], |v4|, s7
	s_nop 1
	v_cndmask_b32_e64 v4, 0, v5, s[4:5]
	s_mov_b32 s4, 0xc2ce8ed0
	v_ldexp_f32 v5, v8, v9
	v_cmp_ngt_f32_e64 s[4:5], s4, v7
	v_add_f32_e32 v4, v6, v4
	v_mov_b32_e32 v6, 0x7f800000
	v_cndmask_b32_e64 v5, 0, v5, s[4:5]
	v_cmp_nlt_f32_e64 s[4:5], s8, v7
	v_trunc_f32_e32 v7, v21
	v_mov_b32_e32 v8, 0x7fc00000
	v_cndmask_b32_e64 v5, v6, v5, s[4:5]
	v_fma_f32 v4, v5, v4, v5
	v_cmp_class_f32_e64 s[4:5], v5, s6
	v_cmp_gt_f32_e64 s[8:9], 0, v21
	s_nop 0
	v_cndmask_b32_e64 v4, v4, v5, s[4:5]
	v_cndmask_b32_e64 v5, v20, 1.0, vcc
	v_cmp_eq_f32_e32 vcc, v7, v21
	v_mul_f32_e32 v7, 0.5, v21
	v_trunc_f32_e32 v9, v7
	v_cmp_neq_f32_e64 s[4:5], v9, v7
	s_and_b64 s[4:5], vcc, s[4:5]
	s_nop 0
	v_cndmask_b32_e64 v7, 1.0, v5, s[4:5]
	v_bfi_b32 v4, s14, v4, v7
	v_cndmask_b32_e32 v7, v8, v4, vcc
	v_cmp_gt_f32_e32 vcc, 0, v5
	s_nop 1
	v_cndmask_b32_e32 v4, v4, v7, vcc
	v_cmp_eq_f32_e32 vcc, s7, v22
	v_cmp_eq_f32_e64 s[6:7], 0, v5
	s_xor_b64 s[8:9], s[8:9], s[6:7]
	v_cndmask_b32_e64 v6, v6, 0, s[8:9]
	v_cndmask_b32_e64 v7, 0, v5, s[4:5]
	v_bfi_b32 v6, s14, v6, v7
	s_or_b64 vcc, vcc, s[6:7]
	v_cndmask_b32_e32 v4, v4, v6, vcc
	v_cmp_o_f32_e32 vcc, v5, v5
	s_nop 1
	v_cndmask_b32_e32 v76, v8, v4, vcc
.LBB65_4:
	s_lshl_b32 s4, s2, 2
	v_bfe_u32 v73, v0, 10, 10
	v_and_b32_e32 v44, 0x3ff, v0
	v_mul_hi_u32 v3, s10, v3
	v_cmp_gt_u32_e64 s[14:15], 28, v44
	v_add_u32_e32 v45, s4, v73
	s_and_saveexec_b64 s[4:5], s[14:15]
	s_cbranch_execz .LBB65_6
; %bb.5:
	s_load_dwordx4 s[44:47], s[0:1], 0x70
	v_mul_hi_u32 v0, s36, v45
	v_add_u32_e32 v0, v45, v0
	v_lshrrev_b32_e32 v0, s37, v0
	v_mul_lo_u32 v0, v0, s38
	s_waitcnt lgkmcnt(0)
	s_mul_i32 s6, s33, s46
	s_ashr_i32 s8, s6, 31
	s_mul_i32 s7, s34, s45
	s_add_u32 s6, s16, s6
	s_addc_u32 s8, s17, s8
	s_ashr_i32 s9, s7, 31
	s_add_u32 s6, s6, s7
	s_addc_u32 s7, s8, s9
	v_sub_u32_e32 v6, v45, v0
	s_ashr_i32 s16, s44, 31
	v_mov_b32_e32 v0, s44
	v_alignbit_b32 v0, s16, v0, 2
	v_mad_u64_u32 v[4:5], s[8:9], v0, v6, 0
	v_mov_b32_e32 v0, v5
	s_lshr_b32 s8, s16, 2
	v_mad_u64_u32 v[6:7], s[8:9], s8, v6, v[0:1]
	v_mov_b32_e32 v5, v6
	v_lshl_add_u64 v[4:5], v[4:5], 2, s[6:7]
	v_lshlrev_b32_e32 v6, 4, v44
	v_mov_b32_e32 v7, 0
	v_lshl_add_u64 v[4:5], v[4:5], 0, v[6:7]
	global_load_dwordx4 v[4:7], v[4:5], off
	v_mul_u32_u24_e32 v0, 56, v73
	s_waitcnt vmcnt(0)
	v_pk_mul_f32 v[4:5], v[4:5], s[12:13] op_sel_hi:[1,0]
	v_pk_mul_f32 v[6:7], v[6:7], s[12:13] op_sel_hi:[1,0]
	v_cvt_f16_f32_e32 v8, v5
	v_cvt_f16_f32_e32 v5, v7
	;; [unrolled: 1-line block ×4, first 2 shown]
	v_lshlrev_b32_e32 v7, 1, v44
	v_add_lshl_u32 v0, v0, v7, 2
	v_pack_b32_f16 v5, v6, v5
	v_pack_b32_f16 v4, v4, v8
	ds_write_b64 v0, v[4:5] offset:4160
.LBB65_6:
	s_or_b64 exec, exec, s[4:5]
	s_ashr_i32 s35, s34, 31
	v_ashrrev_i32_e32 v0, 31, v2
	s_cmp_eq_u64 s[26:27], 0
	s_waitcnt lgkmcnt(0)
	s_barrier
	s_cbranch_scc1 .LBB65_8
; %bb.7:
	s_load_dword s4, s[0:1], 0xd0
	s_mov_b32 s5, 0
	s_waitcnt lgkmcnt(0)
	s_mul_i32 s4, s4, s33
	s_add_i32 s4, s4, s2
	s_lshl_b64 s[4:5], s[4:5], 2
	s_add_u32 s4, s26, s4
	s_addc_u32 s5, s27, s5
	s_load_dword s42, s[4:5], 0x0
.LBB65_8:
	v_mul_lo_u32 v2, v3, v1
	s_load_dwordx2 s[8:9], s[0:1], 0x8c
	s_load_dwordx4 s[4:7], s[0:1], 0x98
	s_load_dwordx2 s[12:13], s[0:1], 0xa8
	v_sub_u32_e32 v2, s10, v2
	v_add_u32_e32 v4, 1, v3
	v_sub_u32_e32 v5, v2, v1
	v_cmp_ge_u32_e32 vcc, v2, v1
	s_waitcnt lgkmcnt(0)
	s_ashr_i32 s26, s8, 2
	s_ashr_i32 s2, s6, 2
	v_cndmask_b32_e32 v3, v3, v4, vcc
	v_cndmask_b32_e32 v2, v2, v5, vcc
	v_add_u32_e32 v4, 1, v3
	v_cmp_ge_u32_e32 vcc, v2, v1
	s_ashr_i32 s6, s33, 31
	s_mul_i32 s5, s33, s5
	s_mul_hi_u32 s8, s33, s4
	v_xor_b32_e32 v0, s35, v0
	v_cndmask_b32_e32 v1, v3, v4, vcc
	s_add_i32 s5, s8, s5
	s_mul_i32 s8, s6, s4
	v_xor_b32_e32 v1, v1, v0
	s_ashr_i32 s23, s11, 1
	s_add_i32 s5, s5, s8
	s_mul_i32 s4, s33, s4
	v_sub_u32_e32 v2, v1, v0
	s_add_u32 s4, s18, s4
	v_mul_lo_u32 v0, v2, s9
	s_addc_u32 s5, s19, s5
	v_ashrrev_i32_e32 v1, 31, v0
	v_lshl_add_u64 v[40:41], s[4:5], 0, v[0:1]
	s_mul_i32 s4, s33, s13
	s_mul_hi_u32 s5, s33, s12
	s_add_i32 s4, s5, s4
	s_mul_i32 s6, s6, s12
	s_add_i32 s5, s4, s6
	s_mul_i32 s4, s33, s12
	s_add_u32 s4, s20, s4
	v_mul_lo_u32 v0, v2, s7
	s_addc_u32 s5, s21, s5
	v_ashrrev_i32_e32 v1, 31, v0
	s_lshl_b32 s22, s3, 5
	s_sub_i32 s27, s42, 32
	v_lshl_add_u64 v[46:47], s[4:5], 0, v[0:1]
	s_cmp_ge_i32 s22, s27
	v_mov_b32_e32 v71, 0
	v_lshl_add_u32 v82, v73, 5, v44
	v_lshrrev_b32_e32 v81, 1, v44
	v_lshlrev_b32_e32 v74, 2, v44
	v_lshrrev_b32_e32 v53, 2, v44
	v_lshlrev_b32_e32 v79, 7, v44
	;; [unrolled: 2-line block ×3, first 2 shown]
	v_mbcnt_lo_u32_b32 v77, -1, 0
	s_cbranch_scc1 .LBB65_31
; %bb.9:
	v_lshl_add_u32 v1, v73, 4, v81
	s_movk_i32 s12, 0xe0
	v_mov_b32_e32 v4, 0x1040
	v_and_b32_e32 v52, 4, v74
	v_mad_u32_u24 v84, v73, s12, v4
	v_lshlrev_b32_e32 v4, 7, v1
	v_lshlrev_b32_e32 v5, 2, v52
	v_or3_b32 v86, v4, v5, 64
	v_mul_hi_u32 v4, s36, v45
	v_add_u32_e32 v4, v45, v4
	v_lshrrev_b32_e32 v4, s37, v4
	v_mul_lo_u32 v4, v4, s38
	v_and_b32_e32 v0, 12, v74
	v_sub_u32_e32 v4, v45, v4
	v_lshl_add_u32 v2, v73, 3, v53
	v_lshlrev_b32_e32 v3, 2, v0
	v_mad_u64_u32 v[56:57], s[8:9], v4, s23, v[44:45]
	v_mov_b32_e32 v4, 0x13c0
	v_cmp_gt_u32_e64 s[6:7], 32, v1
	v_lshl_or_b32 v83, v2, 7, v3
	v_mul_lo_u32 v48, s26, v2
	v_mul_lo_u32 v54, s26, v1
	s_cmp_lg_u64 s[40:41], 0
	v_lshl_add_u32 v57, v73, 6, v4
	v_cmp_gt_u32_e64 s[8:9], 16, v1
	v_cmp_gt_u32_e64 s[10:11], 16, v2
	v_lshl_add_u32 v4, v73, 2, v75
	v_mul_u32_u24_e32 v6, 0xe0, v1
	v_mul_lo_u32 v60, s2, v1
	v_mul_u32_u24_e32 v1, 0xe0, v2
	s_movk_i32 s13, 0x80
	v_mul_lo_u32 v62, s2, v2
	v_and_b32_e32 v2, 28, v74
	v_mov_b32_e32 v43, 0
	v_mul_lo_u32 v50, s26, v82
	s_cselect_b64 s[16:17], -1, 0
	v_mul_lo_u32 v58, s2, v4
	v_or_b32_e32 v5, v6, v5
	v_add3_u32 v89, v1, v3, s13
	v_lshlrev_b32_e32 v1, 2, v2
	s_add_u32 s18, s0, 0xd0
	v_cmp_gt_u32_e64 s[4:5], 32, v82
	v_ashrrev_i32_e32 v49, 31, v48
	v_or_b32_e32 v85, 0x60, v79
	v_ashrrev_i32_e32 v51, 31, v50
	v_ashrrev_i32_e32 v55, 31, v54
	v_lshl_add_u32 v87, v44, 1, v57
	v_ashrrev_i32_e32 v59, 31, v58
	v_add_u32_e32 v88, 0xc0, v5
	v_ashrrev_i32_e32 v61, 31, v60
	v_ashrrev_i32_e32 v63, 31, v62
	v_mad_u32_u24 v90, v4, s12, v1
	s_addc_u32 s19, s1, 0
	v_mov_b32_e32 v6, 0xfeffffff
	v_lshlrev_b32_e32 v42, 2, v0
	v_mbcnt_hi_u32_b32 v91, -1, v77
	s_mov_b32 s43, 0x3fb8aa3b
	s_mov_b32 s44, 0xc2ce8ed0
	;; [unrolled: 1-line block ×3, first 2 shown]
	v_lshlrev_b32_e32 v64, 2, v2
	v_mov_b32_e32 v92, 0x7f800000
	v_mov_b32_e32 v72, v43
	v_mov_b32_e32 v71, v43
	v_mov_b32_e32 v93, v43
.LBB65_10:                              ; =>This Inner Loop Header: Depth=1
	s_mul_hi_i32 s13, s22, s26
	s_mul_i32 s12, s22, s26
	s_lshl_b64 s[12:13], s[12:13], 2
	v_lshl_add_u64 v[4:5], v[40:41], 0, s[12:13]
	v_lshl_add_u64 v[2:3], v[50:51], 2, v[4:5]
	s_and_saveexec_b64 s[12:13], s[4:5]
	s_cbranch_execz .LBB65_12
; %bb.11:                               ;   in Loop: Header=BB65_10 Depth=1
	global_load_dwordx4 v[8:11], v[2:3], off offset:96
	s_waitcnt vmcnt(0)
	ds_write_b128 v85, v[8:11]
.LBB65_12:                              ;   in Loop: Header=BB65_10 Depth=1
	s_or_b64 exec, exec, s[12:13]
	v_lshl_add_u64 v[0:1], v[54:55], 2, v[4:5]
	v_lshlrev_b32_e32 v66, 2, v52
	s_and_saveexec_b64 s[12:13], s[6:7]
	s_cbranch_execz .LBB65_14
; %bb.13:                               ;   in Loop: Header=BB65_10 Depth=1
	v_mov_b32_e32 v67, v43
	v_lshl_add_u64 v[8:9], v[0:1], 0, v[66:67]
	global_load_dwordx4 v[8:11], v[8:9], off offset:64
	s_waitcnt vmcnt(0)
	ds_write_b128 v86, v[8:11]
.LBB65_14:                              ;   in Loop: Header=BB65_10 Depth=1
	s_or_b64 exec, exec, s[12:13]
	v_lshl_add_u64 v[4:5], v[48:49], 2, v[4:5]
	v_lshl_add_u64 v[4:5], v[4:5], 0, v[42:43]
	global_load_dwordx4 v[8:11], v[4:5], off
	v_mov_b32_e32 v7, v43
	s_waitcnt vmcnt(0)
	ds_write_b128 v83, v[8:11]
	s_waitcnt lgkmcnt(0)
	s_barrier
	ds_read_b128 v[8:11], v79
	ds_read_b128 v[12:15], v84
	s_waitcnt lgkmcnt(0)
	;;#ASMSTART
	v_dot2_f32_f16 v7, v8, v12, v7
	;;#ASMEND
	s_nop 0
	;;#ASMSTART
	v_dot2_f32_f16 v7, v9, v13, v7
	;;#ASMEND
	s_nop 0
	;;#ASMSTART
	v_dot2_f32_f16 v7, v10, v14, v7
	;;#ASMEND
	s_nop 0
	;;#ASMSTART
	v_dot2_f32_f16 v7, v11, v15, v7
	;;#ASMEND
	ds_read_b128 v[8:11], v79 offset:16
	ds_read_b128 v[12:15], v84 offset:16
	s_waitcnt lgkmcnt(0)
	;;#ASMSTART
	v_dot2_f32_f16 v7, v8, v12, v7
	;;#ASMEND
	s_nop 0
	;;#ASMSTART
	v_dot2_f32_f16 v7, v9, v13, v7
	;;#ASMEND
	s_nop 0
	;;#ASMSTART
	v_dot2_f32_f16 v7, v10, v14, v7
	;;#ASMEND
	s_nop 0
	;;#ASMSTART
	v_dot2_f32_f16 v7, v11, v15, v7
	;;#ASMEND
	ds_read_b128 v[8:11], v79 offset:32
	ds_read_b128 v[12:15], v84 offset:32
	;; [unrolled: 18-line block ×6, first 2 shown]
	s_waitcnt lgkmcnt(0)
	;;#ASMSTART
	v_dot2_f32_f16 v7, v8, v12, v7
	;;#ASMEND
	s_nop 0
	;;#ASMSTART
	v_dot2_f32_f16 v7, v9, v13, v7
	;;#ASMEND
	s_nop 0
	;; [unrolled: 4-line block ×3, first 2 shown]
	;;#ASMSTART
	v_dot2_f32_f16 v7, v11, v15, v7
	;;#ASMEND
	s_barrier
	s_and_saveexec_b64 s[12:13], s[4:5]
	s_cbranch_execz .LBB65_16
; %bb.15:                               ;   in Loop: Header=BB65_10 Depth=1
	global_load_dwordx4 v[8:11], v[2:3], off offset:208
	s_waitcnt vmcnt(0)
	ds_write_b128 v85, v[8:11]
.LBB65_16:                              ;   in Loop: Header=BB65_10 Depth=1
	s_or_b64 exec, exec, s[12:13]
	s_and_saveexec_b64 s[12:13], s[6:7]
	s_cbranch_execz .LBB65_18
; %bb.17:                               ;   in Loop: Header=BB65_10 Depth=1
	v_mov_b32_e32 v67, v43
	v_lshl_add_u64 v[0:1], v[0:1], 0, v[66:67]
	global_load_dwordx4 v[0:3], v[0:1], off offset:176
	s_waitcnt vmcnt(0)
	ds_write_b128 v86, v[0:3]
.LBB65_18:                              ;   in Loop: Header=BB65_10 Depth=1
	s_or_b64 exec, exec, s[12:13]
	global_load_dwordx4 v[0:3], v[4:5], off offset:112
	s_andn2_b64 vcc, exec, s[16:17]
	s_waitcnt vmcnt(0)
	ds_write_b128 v83, v[0:3]
	s_waitcnt lgkmcnt(0)
	s_barrier
	ds_read_b128 v[0:3], v79
	ds_read_b128 v[8:11], v84 offset:112
	s_waitcnt lgkmcnt(0)
	;;#ASMSTART
	v_dot2_f32_f16 v7, v0, v8, v7
	;;#ASMEND
	s_nop 0
	;;#ASMSTART
	v_dot2_f32_f16 v7, v1, v9, v7
	;;#ASMEND
	s_nop 0
	;;#ASMSTART
	v_dot2_f32_f16 v7, v2, v10, v7
	;;#ASMEND
	s_nop 0
	;;#ASMSTART
	v_dot2_f32_f16 v7, v3, v11, v7
	;;#ASMEND
	ds_read_b128 v[0:3], v79 offset:16
	ds_read_b128 v[8:11], v84 offset:128
	s_waitcnt lgkmcnt(0)
	;;#ASMSTART
	v_dot2_f32_f16 v7, v0, v8, v7
	;;#ASMEND
	s_nop 0
	;;#ASMSTART
	v_dot2_f32_f16 v7, v1, v9, v7
	;;#ASMEND
	s_nop 0
	;;#ASMSTART
	v_dot2_f32_f16 v7, v2, v10, v7
	;;#ASMEND
	s_nop 0
	;;#ASMSTART
	v_dot2_f32_f16 v7, v3, v11, v7
	;;#ASMEND
	ds_read_b128 v[0:3], v79 offset:32
	;; [unrolled: 18-line block ×6, first 2 shown]
	ds_read_b128 v[8:11], v84 offset:208
	s_waitcnt lgkmcnt(0)
	;;#ASMSTART
	v_dot2_f32_f16 v7, v0, v8, v7
	;;#ASMEND
	s_nop 0
	;;#ASMSTART
	v_dot2_f32_f16 v7, v1, v9, v7
	;;#ASMEND
	s_nop 0
	;; [unrolled: 4-line block ×3, first 2 shown]
	;;#ASMSTART
	v_dot2_f32_f16 v7, v3, v11, v7
	;;#ASMEND
	s_cbranch_vccnz .LBB65_20
; %bb.19:                               ;   in Loop: Header=BB65_10 Depth=1
	v_add_u32_e32 v0, s22, v56
	v_ashrrev_i32_e32 v1, 31, v0
	v_lshl_add_u64 v[0:1], v[0:1], 1, s[40:41]
	flat_load_ushort v0, v[0:1]
	s_waitcnt vmcnt(0) lgkmcnt(0)
	v_cvt_f32_f16_e32 v0, v0
	v_mul_f32_e32 v0, v76, v0
	s_branch .LBB65_21
.LBB65_20:                              ;   in Loop: Header=BB65_10 Depth=1
	v_mov_b32_e32 v0, 0
.LBB65_21:                              ;   in Loop: Header=BB65_10 Depth=1
	v_add_f32_e32 v0, v7, v0
	v_add_f32_e32 v1, 0x40051340, v0
	v_max_f32_e32 v2, v6, v6
	v_max_f32_e32 v1, v2, v1
	v_and_b32_e32 v2, 0x60, v91
	v_add_u32_e32 v2, 32, v2
	v_xor_b32_e32 v3, 16, v91
	v_cmp_lt_i32_e32 vcc, v3, v2
	s_mul_hi_i32 s13, s22, s2
	s_mul_i32 s12, s22, s2
	v_cndmask_b32_e32 v3, v91, v3, vcc
	v_lshlrev_b32_e32 v3, 2, v3
	ds_bpermute_b32 v3, v3, v1
	s_lshl_b64 s[12:13], s[12:13], 2
	s_waitcnt lgkmcnt(0)
	s_barrier
	v_max_f32_e32 v3, v3, v3
	v_max_f32_e32 v1, v1, v3
	v_xor_b32_e32 v3, 8, v91
	v_cmp_lt_i32_e32 vcc, v3, v2
	s_nop 1
	v_cndmask_b32_e32 v3, v91, v3, vcc
	v_lshlrev_b32_e32 v3, 2, v3
	ds_bpermute_b32 v3, v3, v1
	s_waitcnt lgkmcnt(0)
	v_max_f32_e32 v3, v3, v3
	v_max_f32_e32 v1, v1, v3
	v_xor_b32_e32 v3, 4, v91
	v_cmp_lt_i32_e32 vcc, v3, v2
	s_nop 1
	v_cndmask_b32_e32 v3, v91, v3, vcc
	v_lshlrev_b32_e32 v3, 2, v3
	ds_bpermute_b32 v3, v3, v1
	s_waitcnt lgkmcnt(0)
	;; [unrolled: 9-line block ×4, first 2 shown]
	v_max_f32_e32 v2, v2, v2
	v_max_f32_e32 v80, v1, v2
	v_sub_f32_e32 v0, v0, v80
	v_mul_f32_e32 v1, 0x3fb8aa3b, v0
	v_fma_f32 v2, v0, s43, -v1
	v_rndne_f32_e32 v3, v1
	v_fmac_f32_e32 v2, 0x32a5705f, v0
	v_sub_f32_e32 v1, v1, v3
	v_add_f32_e32 v1, v1, v2
	v_exp_f32_e32 v1, v1
	v_cvt_i32_f32_e32 v2, v3
	v_cmp_ngt_f32_e32 vcc, s44, v0
	v_ldexp_f32 v1, v1, v2
	s_nop 0
	v_cndmask_b32_e32 v1, 0, v1, vcc
	v_cmp_nlt_f32_e32 vcc, s45, v0
	s_nop 1
	v_cndmask_b32_e32 v78, v92, v1, vcc
	v_cvt_f16_f32_e32 v0, v78
	ds_write_b16 v87, v0
	v_lshl_add_u64 v[0:1], v[46:47], 0, s[12:13]
	s_and_saveexec_b64 s[12:13], s[8:9]
	s_cbranch_execz .LBB65_23
; %bb.22:                               ;   in Loop: Header=BB65_10 Depth=1
	v_lshl_add_u64 v[2:3], v[60:61], 2, v[0:1]
	v_mov_b32_e32 v67, v43
	v_lshl_add_u64 v[2:3], v[2:3], 0, v[66:67]
	global_load_dwordx4 v[2:5], v[2:3], off offset:192
	s_waitcnt vmcnt(0)
	ds_write_b128 v88, v[2:5]
.LBB65_23:                              ;   in Loop: Header=BB65_10 Depth=1
	s_or_b64 exec, exec, s[12:13]
	s_and_saveexec_b64 s[12:13], s[10:11]
	s_cbranch_execz .LBB65_25
; %bb.24:                               ;   in Loop: Header=BB65_10 Depth=1
	v_lshl_add_u64 v[2:3], v[62:63], 2, v[0:1]
	v_lshl_add_u64 v[2:3], v[2:3], 0, v[42:43]
	global_load_dwordx4 v[2:5], v[2:3], off offset:128
	s_waitcnt vmcnt(0)
	ds_write_b128 v89, v[2:5]
.LBB65_25:                              ;   in Loop: Header=BB65_10 Depth=1
	s_or_b64 exec, exec, s[12:13]
	v_lshl_add_u64 v[0:1], v[58:59], 2, v[0:1]
	v_mov_b32_e32 v65, v43
	v_lshl_add_u64 v[0:1], v[0:1], 0, v[64:65]
	global_load_dwordx4 v[0:3], v[0:1], off
	v_sub_f32_e32 v95, v6, v80
	v_add_u32_e32 v94, 0x800, v70
	s_or_b32 s20, s22, 16
	s_mul_hi_i32 s21, s20, s2
	s_mul_i32 s20, s20, s2
	s_lshl_b64 s[20:21], s[20:21], 2
	v_cmp_ngt_f32_e32 vcc, s44, v95
	v_cmp_nlt_f32_e64 s[12:13], s45, v95
	v_lshl_add_u64 v[68:69], v[46:47], 0, s[20:21]
	s_waitcnt vmcnt(0)
	ds_write_b128 v90, v[0:3]
	s_waitcnt lgkmcnt(0)
	s_barrier
	ds_read2_b64 v[36:39], v70 offset1:28
	ds_read_b128 v[16:19], v57
	ds_read_b128 v[0:3], v57 offset:16
	ds_read2_b64 v[32:35], v70 offset0:56 offset1:84
	ds_read2_b64 v[28:31], v70 offset0:112 offset1:140
	;; [unrolled: 1-line block ×7, first 2 shown]
	s_waitcnt lgkmcnt(0)
	s_barrier
	s_and_saveexec_b64 s[20:21], s[8:9]
	s_cbranch_execz .LBB65_27
; %bb.26:                               ;   in Loop: Header=BB65_10 Depth=1
	v_lshl_add_u64 v[96:97], v[60:61], 2, v[68:69]
	v_mov_b32_e32 v67, v43
	v_lshl_add_u64 v[66:67], v[96:97], 0, v[66:67]
	global_load_dwordx4 v[96:99], v[66:67], off offset:192
	s_waitcnt vmcnt(0)
	ds_write_b128 v88, v[96:99]
.LBB65_27:                              ;   in Loop: Header=BB65_10 Depth=1
	s_or_b64 exec, exec, s[20:21]
	s_and_saveexec_b64 s[20:21], s[10:11]
	s_cbranch_execz .LBB65_29
; %bb.28:                               ;   in Loop: Header=BB65_10 Depth=1
	v_lshl_add_u64 v[66:67], v[62:63], 2, v[68:69]
	v_lshl_add_u64 v[66:67], v[66:67], 0, v[42:43]
	global_load_dwordx4 v[96:99], v[66:67], off offset:128
	s_waitcnt vmcnt(0)
	ds_write_b128 v89, v[96:99]
.LBB65_29:                              ;   in Loop: Header=BB65_10 Depth=1
	s_or_b64 exec, exec, s[20:21]
	v_lshl_add_u64 v[66:67], v[58:59], 2, v[68:69]
	v_mov_b32_e32 v65, v43
	v_lshl_add_u64 v[66:67], v[66:67], 0, v[64:65]
	global_load_dwordx4 v[66:69], v[66:67], off
	v_mul_f32_e32 v65, 0x3fb8aa3b, v95
	v_fma_f32 v96, v95, s43, -v65
	v_rndne_f32_e32 v97, v65
	v_fmac_f32_e32 v96, 0x32a5705f, v95
	v_sub_f32_e32 v65, v65, v97
	v_add_f32_e32 v65, v65, v96
	v_cvt_i32_f32_e32 v95, v97
	v_exp_f32_e32 v65, v65
	v_pk_mul_f16 v36, v36, v16 op_sel_hi:[1,0]
	v_pk_mul_f16 v37, v37, v16 op_sel_hi:[1,0]
	v_ldexp_f32 v65, v65, v95
	v_cndmask_b32_e32 v65, 0, v65, vcc
	v_cndmask_b32_e64 v65, v92, v65, s[12:13]
	v_cvt_f16_f32_e32 v95, v65
	v_fmac_f32_e32 v78, v93, v65
	v_pk_fma_f16 v36, v72, v95, v36 op_sel_hi:[1,0,1]
	v_pk_fma_f16 v37, v71, v95, v37 op_sel_hi:[1,0,1]
	v_pk_fma_f16 v36, v38, v16, v36 op_sel:[0,1,0]
	v_pk_fma_f16 v16, v39, v16, v37 op_sel:[0,1,0]
	v_pk_fma_f16 v32, v32, v17, v36 op_sel_hi:[1,0,1]
	v_pk_fma_f16 v16, v33, v17, v16 op_sel_hi:[1,0,1]
	v_pk_fma_f16 v32, v34, v17, v32 op_sel:[0,1,0]
	v_pk_fma_f16 v16, v35, v17, v16 op_sel:[0,1,0]
	;; [unrolled: 4-line block ×8, first 2 shown]
	s_waitcnt vmcnt(0)
	ds_write_b128 v90, v[66:69]
	s_waitcnt lgkmcnt(0)
	s_barrier
	ds_read2_b64 v[8:11], v70 offset1:28
	ds_read_b128 v[12:15], v57 offset:32
	ds_read_b128 v[16:19], v57 offset:48
	ds_read2_b64 v[20:23], v70 offset0:56 offset1:84
	ds_read2_b64 v[24:27], v70 offset0:112 offset1:140
	;; [unrolled: 1-line block ×7, first 2 shown]
	s_waitcnt lgkmcnt(8)
	v_pk_fma_f16 v1, v8, v12, v1 op_sel_hi:[1,0,1]
	v_pk_fma_f16 v0, v9, v12, v0 op_sel_hi:[1,0,1]
	v_pk_fma_f16 v1, v10, v12, v1 op_sel:[0,1,0]
	v_pk_fma_f16 v0, v11, v12, v0 op_sel:[0,1,0]
	s_waitcnt lgkmcnt(6)
	v_pk_fma_f16 v1, v20, v13, v1 op_sel_hi:[1,0,1]
	v_pk_fma_f16 v0, v21, v13, v0 op_sel_hi:[1,0,1]
	v_pk_fma_f16 v1, v22, v13, v1 op_sel:[0,1,0]
	v_pk_fma_f16 v0, v23, v13, v0 op_sel:[0,1,0]
	s_waitcnt lgkmcnt(5)
	v_pk_fma_f16 v1, v24, v14, v1 op_sel_hi:[1,0,1]
	v_pk_fma_f16 v0, v25, v14, v0 op_sel_hi:[1,0,1]
	v_pk_fma_f16 v1, v26, v14, v1 op_sel:[0,1,0]
	v_pk_fma_f16 v0, v27, v14, v0 op_sel:[0,1,0]
	s_waitcnt lgkmcnt(4)
	v_pk_fma_f16 v1, v28, v15, v1 op_sel_hi:[1,0,1]
	v_pk_fma_f16 v0, v29, v15, v0 op_sel_hi:[1,0,1]
	v_pk_fma_f16 v1, v30, v15, v1 op_sel:[0,1,0]
	v_pk_fma_f16 v0, v31, v15, v0 op_sel:[0,1,0]
	s_waitcnt lgkmcnt(0)
	s_barrier
	s_load_dword s12, s[18:19], 0x4
	v_pk_fma_f16 v1, v32, v16, v1 op_sel_hi:[1,0,1]
	v_pk_fma_f16 v0, v33, v16, v0 op_sel_hi:[1,0,1]
	v_pk_fma_f16 v1, v34, v16, v1 op_sel:[0,1,0]
	v_pk_fma_f16 v0, v35, v16, v0 op_sel:[0,1,0]
	v_pk_fma_f16 v1, v36, v17, v1 op_sel_hi:[1,0,1]
	v_pk_fma_f16 v0, v37, v17, v0 op_sel_hi:[1,0,1]
	v_pk_fma_f16 v1, v38, v17, v1 op_sel:[0,1,0]
	v_pk_fma_f16 v0, v39, v17, v0 op_sel:[0,1,0]
	v_pk_fma_f16 v1, v66, v18, v1 op_sel_hi:[1,0,1]
	v_pk_fma_f16 v0, v67, v18, v0 op_sel_hi:[1,0,1]
	s_waitcnt lgkmcnt(0)
	s_lshl_b32 s12, s12, 5
	v_pk_fma_f16 v1, v68, v18, v1 op_sel:[0,1,0]
	v_pk_fma_f16 v0, v69, v18, v0 op_sel:[0,1,0]
	s_add_i32 s22, s12, s22
	v_pk_fma_f16 v1, v94, v19, v1 op_sel_hi:[1,0,1]
	v_pk_fma_f16 v0, v95, v19, v0 op_sel_hi:[1,0,1]
	s_cmp_lt_i32 s22, s27
	v_pk_fma_f16 v72, v96, v19, v1 op_sel:[0,1,0]
	v_pk_fma_f16 v71, v97, v19, v0 op_sel:[0,1,0]
	s_cbranch_scc0 .LBB65_32
; %bb.30:                               ;   in Loop: Header=BB65_10 Depth=1
	v_mov_b32_e32 v6, v80
	v_mov_b32_e32 v93, v78
	s_branch .LBB65_10
.LBB65_31:
	v_mov_b32_e32 v80, 0xfeffffff
	v_mov_b32_e32 v78, 0
	;; [unrolled: 1-line block ×3, first 2 shown]
.LBB65_32:
	s_cmp_gt_i32 s42, s22
	s_cbranch_scc1 .LBB65_34
; %bb.33:
	v_mbcnt_hi_u32_b32 v62, -1, v77
	v_and_b32_e32 v0, 0x60, v62
	v_add_u32_e32 v63, 32, v0
	v_xor_b32_e32 v64, 16, v62
	v_xor_b32_e32 v65, 8, v62
	;; [unrolled: 1-line block ×5, first 2 shown]
	v_mov_b32_e32 v48, v80
	s_cbranch_execz .LBB65_35
	s_branch .LBB65_57
.LBB65_34:
                                        ; implicit-def: $vgpr62
                                        ; implicit-def: $vgpr63
                                        ; implicit-def: $vgpr64
                                        ; implicit-def: $vgpr65
                                        ; implicit-def: $vgpr66
                                        ; implicit-def: $vgpr67
                                        ; implicit-def: $vgpr68
	v_mov_b32_e32 v48, v80
.LBB65_35:
	s_mul_hi_i32 s5, s22, s26
	s_mul_i32 s4, s22, s26
	s_lshl_b64 s[4:5], s[4:5], 2
	v_mul_lo_u32 v0, s26, v82
	s_sub_i32 s20, s42, s22
	v_lshl_add_u64 v[8:9], v[40:41], 0, s[4:5]
	v_ashrrev_i32_e32 v1, 31, v0
	v_cmp_gt_u32_e64 s[8:9], 32, v82
	s_mov_b64 s[12:13], src_private_base
	v_or_b32_e32 v11, 0x60, v79
	v_cmp_gt_i32_e64 s[6:7], s20, v82
	v_lshl_add_u64 v[4:5], v[0:1], 2, v[8:9]
	s_and_saveexec_b64 s[4:5], s[8:9]
	s_cbranch_execz .LBB65_37
; %bb.36:
	v_mov_b32_e32 v0, 0
	v_mov_b32_e32 v1, v0
	;; [unrolled: 1-line block ×3, first 2 shown]
	s_mov_b64 s[10:11], 0x60
	scratch_store_dword off, v0, off
	scratch_store_dwordx3 off, v[0:2], off offset:4
	s_nop 1
	v_lshl_add_u64 v[0:1], v[4:5], 0, s[10:11]
	v_mov_b32_e32 v2, s13
	v_cndmask_b32_e64 v1, v2, v1, s[6:7]
	v_mov_b32_e32 v2, 0
	v_cndmask_b32_e64 v0, v2, v0, s[6:7]
	flat_load_dwordx4 v[0:3], v[0:1]
	s_waitcnt vmcnt(0) lgkmcnt(0)
	ds_write_b128 v11, v[0:3]
.LBB65_37:
	s_or_b64 exec, exec, s[4:5]
	v_lshl_add_u32 v43, v73, 4, v81
	v_and_b32_e32 v3, 4, v74
	v_lshlrev_b32_e32 v0, 7, v43
	v_lshlrev_b32_e32 v50, 2, v3
	v_or3_b32 v12, v0, v50, 64
	v_mul_lo_u32 v0, s26, v43
	v_ashrrev_i32_e32 v1, 31, v0
	v_cmp_gt_u32_e64 s[10:11], 32, v43
	v_cmp_gt_i32_e32 vcc, s20, v43
	v_lshl_add_u64 v[6:7], v[0:1], 2, v[8:9]
	s_and_saveexec_b64 s[4:5], s[10:11]
	s_cbranch_execz .LBB65_39
; %bb.38:
	v_mov_b32_e32 v0, 0
	v_mov_b32_e32 v1, v0
	;; [unrolled: 1-line block ×4, first 2 shown]
	scratch_store_dword off, v0, off
	scratch_store_dwordx3 off, v[0:2], off offset:4
	s_nop 1
	v_lshl_add_u64 v[0:1], v[6:7], 0, v[50:51]
	v_lshl_add_u64 v[0:1], v[0:1], 0, 64
	v_mov_b32_e32 v2, s13
	v_cndmask_b32_e32 v1, v2, v1, vcc
	v_mov_b32_e32 v2, 0
	v_cndmask_b32_e32 v0, v2, v0, vcc
	flat_load_dwordx4 v[14:17], v[0:1]
	s_waitcnt vmcnt(0) lgkmcnt(0)
	ds_write_b128 v12, v[14:17]
.LBB65_39:
	s_or_b64 exec, exec, s[4:5]
	v_lshl_add_u32 v49, v73, 3, v53
	v_mul_lo_u32 v16, s26, v49
	v_ashrrev_i32_e32 v17, 31, v16
	v_mov_b32_e32 v0, 0
	v_and_b32_e32 v10, 12, v74
	s_mov_b64 s[16:17], src_private_base
	v_lshl_add_u64 v[8:9], v[16:17], 2, v[8:9]
	v_lshlrev_b32_e32 v52, 2, v10
	v_mov_b32_e32 v53, v0
	v_mov_b32_e32 v14, 0
	;; [unrolled: 1-line block ×4, first 2 shown]
	v_lshl_add_u64 v[8:9], v[8:9], 0, v[52:53]
	v_mov_b32_e32 v10, s17
	v_cmp_gt_i32_e64 s[4:5], s20, v49
	scratch_store_dword off, v0, off
	scratch_store_dwordx3 off, v[0:2], off offset:4
	v_cndmask_b32_e64 v17, v10, v9, s[4:5]
	v_cndmask_b32_e64 v16, v14, v8, s[4:5]
	flat_load_dwordx4 v[16:19], v[16:17]
	v_lshl_or_b32 v13, v49, 7, v52
	v_mul_u32_u24_e32 v15, 0xe0, v73
	v_mov_b32_e32 v10, v0
	s_movk_i32 s12, 0xe0
	s_waitcnt vmcnt(0) lgkmcnt(0)
	ds_write_b128 v13, v[16:19]
	s_waitcnt lgkmcnt(0)
	s_barrier
	ds_read_b128 v[16:19], v79
	ds_read_b128 v[20:23], v15 offset:4160
	s_waitcnt lgkmcnt(0)
	;;#ASMSTART
	v_dot2_f32_f16 v10, v16, v20, v10
	;;#ASMEND
	s_nop 0
	;;#ASMSTART
	v_dot2_f32_f16 v10, v17, v21, v10
	;;#ASMEND
	s_nop 0
	;;#ASMSTART
	v_dot2_f32_f16 v10, v18, v22, v10
	;;#ASMEND
	s_nop 0
	;;#ASMSTART
	v_dot2_f32_f16 v10, v19, v23, v10
	;;#ASMEND
	ds_read_b128 v[16:19], v79 offset:16
	ds_read_b128 v[20:23], v15 offset:4176
	s_waitcnt lgkmcnt(0)
	;;#ASMSTART
	v_dot2_f32_f16 v10, v16, v20, v10
	;;#ASMEND
	s_nop 0
	;;#ASMSTART
	v_dot2_f32_f16 v10, v17, v21, v10
	;;#ASMEND
	s_nop 0
	;;#ASMSTART
	v_dot2_f32_f16 v10, v18, v22, v10
	;;#ASMEND
	s_nop 0
	;;#ASMSTART
	v_dot2_f32_f16 v10, v19, v23, v10
	;;#ASMEND
	ds_read_b128 v[16:19], v79 offset:32
	;; [unrolled: 18-line block ×6, first 2 shown]
	ds_read_b128 v[20:23], v15 offset:4256
	s_waitcnt lgkmcnt(0)
	;;#ASMSTART
	v_dot2_f32_f16 v10, v16, v20, v10
	;;#ASMEND
	s_nop 0
	;;#ASMSTART
	v_dot2_f32_f16 v10, v17, v21, v10
	;;#ASMEND
	v_mov_b32_e32 v15, 0x1040
	;;#ASMSTART
	v_dot2_f32_f16 v10, v18, v22, v10
	;;#ASMEND
	s_nop 0
	;;#ASMSTART
	v_dot2_f32_f16 v10, v19, v23, v10
	;;#ASMEND
	s_barrier
	s_and_saveexec_b64 s[18:19], s[8:9]
	s_cbranch_execz .LBB65_41
; %bb.40:
	s_mov_b64 s[8:9], 0xd0
	scratch_store_dword off, v0, off
	scratch_store_dwordx3 off, v[0:2], off offset:4
	s_nop 1
	v_lshl_add_u64 v[0:1], v[4:5], 0, s[8:9]
	v_mov_b32_e32 v2, s13
	v_cndmask_b32_e64 v1, v2, v1, s[6:7]
	v_cndmask_b32_e64 v0, v14, v0, s[6:7]
	flat_load_dwordx4 v[16:19], v[0:1]
	s_waitcnt vmcnt(0) lgkmcnt(0)
	ds_write_b128 v11, v[16:19]
.LBB65_41:
	s_or_b64 exec, exec, s[18:19]
	v_mad_u32_u24 v0, v73, s12, v15
	s_and_saveexec_b64 s[6:7], s[10:11]
	s_cbranch_execz .LBB65_43
; %bb.42:
	v_mov_b32_e32 v14, 0
	v_mov_b32_e32 v51, v14
	v_lshl_add_u64 v[4:5], v[6:7], 0, v[50:51]
	s_mov_b64 s[8:9], 0xb0
	v_lshl_add_u64 v[4:5], v[4:5], 0, s[8:9]
	v_mov_b32_e32 v1, s13
	v_mov_b32_e32 v15, v14
	;; [unrolled: 1-line block ×3, first 2 shown]
	v_cndmask_b32_e32 v5, v1, v5, vcc
	v_mov_b32_e32 v1, 0
	scratch_store_dword off, v14, off
	scratch_store_dwordx3 off, v[14:16], off offset:4
	v_cndmask_b32_e32 v4, v1, v4, vcc
	flat_load_dwordx4 v[4:7], v[4:5]
	s_waitcnt vmcnt(0) lgkmcnt(0)
	ds_write_b128 v12, v[4:7]
.LBB65_43:
	s_or_b64 exec, exec, s[6:7]
	v_mov_b32_e32 v4, 0
	v_mov_b32_e32 v5, v4
	;; [unrolled: 1-line block ×3, first 2 shown]
	s_mov_b64 s[6:7], 0x70
	scratch_store_dword off, v4, off
	scratch_store_dwordx3 off, v[4:6], off offset:4
	v_mov_b32_e32 v1, s17
	s_nop 0
	v_lshl_add_u64 v[4:5], v[8:9], 0, s[6:7]
	v_cndmask_b32_e64 v5, v1, v5, s[4:5]
	v_mov_b32_e32 v1, 0
	v_cndmask_b32_e64 v4, v1, v4, s[4:5]
	flat_load_dwordx4 v[4:7], v[4:5]
	v_cmp_gt_i32_e64 s[6:7], s20, v44
	s_waitcnt vmcnt(0) lgkmcnt(0)
	ds_write_b128 v13, v[4:7]
	s_waitcnt lgkmcnt(0)
	s_barrier
	ds_read_b128 v[4:7], v79
	ds_read_b128 v[12:15], v0 offset:112
	s_waitcnt lgkmcnt(0)
	;;#ASMSTART
	v_dot2_f32_f16 v10, v4, v12, v10
	;;#ASMEND
	s_nop 0
	;;#ASMSTART
	v_dot2_f32_f16 v10, v5, v13, v10
	;;#ASMEND
	s_nop 0
	;;#ASMSTART
	v_dot2_f32_f16 v10, v6, v14, v10
	;;#ASMEND
	s_nop 0
	;;#ASMSTART
	v_dot2_f32_f16 v10, v7, v15, v10
	;;#ASMEND
	ds_read_b128 v[4:7], v79 offset:16
	ds_read_b128 v[12:15], v0 offset:128
	s_waitcnt lgkmcnt(0)
	;;#ASMSTART
	v_dot2_f32_f16 v10, v4, v12, v10
	;;#ASMEND
	s_nop 0
	;;#ASMSTART
	v_dot2_f32_f16 v10, v5, v13, v10
	;;#ASMEND
	s_nop 0
	;;#ASMSTART
	v_dot2_f32_f16 v10, v6, v14, v10
	;;#ASMEND
	s_nop 0
	;;#ASMSTART
	v_dot2_f32_f16 v10, v7, v15, v10
	;;#ASMEND
	ds_read_b128 v[4:7], v79 offset:32
	;; [unrolled: 18-line block ×6, first 2 shown]
	ds_read_b128 v[12:15], v0 offset:208
	s_waitcnt lgkmcnt(0)
	;;#ASMSTART
	v_dot2_f32_f16 v10, v4, v12, v10
	;;#ASMEND
	s_nop 0
	;;#ASMSTART
	v_dot2_f32_f16 v10, v5, v13, v10
	;;#ASMEND
	v_mov_b32_e32 v0, v80
	;;#ASMSTART
	v_dot2_f32_f16 v10, v6, v14, v10
	;;#ASMEND
	s_nop 0
	;;#ASMSTART
	v_dot2_f32_f16 v10, v7, v15, v10
	;;#ASMEND
	s_and_saveexec_b64 s[8:9], s[6:7]
	s_cbranch_execz .LBB65_48
; %bb.44:
	s_cmp_eq_u64 s[40:41], 0
	s_cbranch_scc1 .LBB65_46
; %bb.45:
	v_mul_hi_u32 v0, s36, v45
	v_add_u32_e32 v0, v45, v0
	v_lshrrev_b32_e32 v0, s37, v0
	v_mul_lo_u32 v0, v0, s38
	v_sub_u32_e32 v0, v45, v0
	v_mul_lo_u32 v0, v0, s23
	v_add3_u32 v0, v0, v44, s22
	v_ashrrev_i32_e32 v1, 31, v0
	v_lshl_add_u64 v[0:1], v[0:1], 1, s[40:41]
	flat_load_ushort v0, v[0:1]
	s_waitcnt vmcnt(0) lgkmcnt(0)
	v_cvt_f32_f16_e32 v0, v0
	v_mul_f32_e32 v0, v76, v0
	s_branch .LBB65_47
.LBB65_46:
	v_mov_b32_e32 v0, 0
.LBB65_47:
	v_add_f32_e32 v10, v10, v0
	v_add_f32_e32 v0, 0x40051340, v10
	v_max_f32_e32 v1, v80, v80
	v_max_f32_e32 v0, v1, v0
.LBB65_48:
	s_or_b64 exec, exec, s[8:9]
	v_mbcnt_hi_u32_b32 v62, -1, v77
	v_and_b32_e32 v1, 0x60, v62
	v_add_u32_e32 v63, 32, v1
	v_xor_b32_e32 v64, 16, v62
	v_cmp_lt_i32_e64 s[6:7], v64, v63
	v_xor_b32_e32 v65, 8, v62
	v_xor_b32_e32 v66, 4, v62
	v_cndmask_b32_e64 v1, v62, v64, s[6:7]
	v_lshlrev_b32_e32 v1, 2, v1
	ds_bpermute_b32 v1, v1, v0
	v_max_f32_e32 v0, v0, v0
	v_cmp_lt_i32_e64 s[6:7], v65, v63
	v_xor_b32_e32 v67, 2, v62
	v_xor_b32_e32 v68, 1, v62
	s_waitcnt lgkmcnt(0)
	v_max_f32_e32 v1, v1, v1
	v_max_f32_e32 v0, v0, v1
	v_cndmask_b32_e64 v1, v62, v65, s[6:7]
	v_lshlrev_b32_e32 v1, 2, v1
	ds_bpermute_b32 v1, v1, v0
	v_cmp_lt_i32_e64 s[6:7], v66, v63
	s_waitcnt lgkmcnt(0)
	s_barrier
	v_max_f32_e32 v1, v1, v1
	v_max_f32_e32 v0, v0, v1
	v_cndmask_b32_e64 v1, v62, v66, s[6:7]
	v_lshlrev_b32_e32 v1, 2, v1
	ds_bpermute_b32 v1, v1, v0
	v_cmp_lt_i32_e64 s[6:7], v67, v63
	s_mul_hi_i32 s9, s22, s2
	s_mul_i32 s8, s22, s2
	v_mul_lo_u32 v54, s2, v43
	s_waitcnt lgkmcnt(0)
	v_max_f32_e32 v1, v1, v1
	v_max_f32_e32 v0, v0, v1
	v_cndmask_b32_e64 v1, v62, v67, s[6:7]
	v_lshlrev_b32_e32 v1, 2, v1
	ds_bpermute_b32 v1, v1, v0
	v_cmp_lt_i32_e64 s[6:7], v68, v63
	s_lshl_b64 s[8:9], s[8:9], 2
	s_mov_b64 s[10:11], src_private_base
	v_ashrrev_i32_e32 v55, 31, v54
	s_waitcnt lgkmcnt(0)
	v_max_f32_e32 v1, v1, v1
	v_max_f32_e32 v0, v0, v1
	v_cndmask_b32_e64 v1, v62, v68, s[6:7]
	v_lshlrev_b32_e32 v1, 2, v1
	ds_bpermute_b32 v1, v1, v0
	s_mov_b32 s6, 0x3fb8aa3b
	s_waitcnt lgkmcnt(0)
	v_max_f32_e32 v1, v1, v1
	v_max_f32_e32 v48, v0, v1
	v_sub_f32_e32 v0, v10, v48
	v_mul_f32_e32 v1, 0x3fb8aa3b, v0
	v_fma_f32 v2, v0, s6, -v1
	v_rndne_f32_e32 v4, v1
	v_fmamk_f32 v2, v0, 0x32a5705f, v2
	v_sub_f32_e32 v1, v1, v4
	v_add_f32_e32 v1, v1, v2
	v_exp_f32_e32 v1, v1
	v_cvt_i32_f32_e32 v2, v4
	s_mov_b32 s6, 0xc2ce8ed0
	v_cmp_ngt_f32_e64 s[6:7], s6, v0
	v_ldexp_f32 v1, v1, v2
	s_nop 0
	v_cndmask_b32_e64 v1, 0, v1, s[6:7]
	s_mov_b32 s6, 0x42b17218
	v_mov_b32_e32 v2, 0x7f800000
	v_cmp_nlt_f32_e64 s[6:7], s6, v0
	s_nop 1
	v_cndmask_b32_e64 v0, v2, v1, s[6:7]
	v_cmp_gt_u32_e64 s[6:7], s20, v44
	v_mov_b32_e32 v1, 0x13c0
	v_lshl_add_u32 v76, v73, 6, v1
	v_cndmask_b32_e64 v69, 0, v0, s[6:7]
	v_cvt_f16_f32_e32 v0, v69
	v_lshl_add_u32 v1, v44, 1, v76
	v_cmp_gt_u32_e64 s[6:7], 16, v43
	ds_write_b16 v1, v0
	v_mul_u32_u24_e32 v0, 0xe0, v43
	v_lshl_or_b32 v0, v3, 2, v0
	v_add_u32_e32 v77, 0xc0, v0
	v_lshl_add_u64 v[0:1], v[46:47], 0, s[8:9]
	s_and_saveexec_b64 s[8:9], s[6:7]
	s_cbranch_execz .LBB65_50
; %bb.49:
	v_mov_b32_e32 v2, 0
	v_mov_b32_e32 v3, v2
	;; [unrolled: 1-line block ×3, first 2 shown]
	scratch_store_dwordx3 off, v[2:4], off offset:4
	v_mov_b32_e32 v51, v2
	scratch_store_dword off, v2, off
	v_lshl_add_u64 v[4:5], v[54:55], 2, v[0:1]
	v_lshl_add_u64 v[2:3], v[4:5], 0, v[50:51]
	s_mov_b64 s[12:13], 0xc0
	v_lshl_add_u64 v[2:3], v[2:3], 0, s[12:13]
	v_mov_b32_e32 v4, s11
	v_cndmask_b32_e32 v3, v4, v3, vcc
	v_mov_b32_e32 v4, 0
	v_cndmask_b32_e32 v2, v4, v2, vcc
	flat_load_dwordx4 v[2:5], v[2:3]
	s_waitcnt vmcnt(0) lgkmcnt(0)
	ds_write_b128 v77, v[2:5]
.LBB65_50:
	s_or_b64 exec, exec, s[8:9]
	v_mul_u32_u24_e32 v2, 0xe0, v49
	s_movk_i32 s8, 0x80
	v_mul_lo_u32 v58, s2, v49
	v_cmp_gt_u32_e32 vcc, 16, v49
	v_add3_u32 v79, v2, v52, s8
	v_ashrrev_i32_e32 v59, 31, v58
	s_and_saveexec_b64 s[8:9], vcc
	s_cbranch_execz .LBB65_52
; %bb.51:
	v_mov_b32_e32 v2, 0
	v_mov_b32_e32 v3, v2
	;; [unrolled: 1-line block ×3, first 2 shown]
	scratch_store_dwordx3 off, v[2:4], off offset:4
	v_mov_b32_e32 v53, v2
	scratch_store_dword off, v2, off
	v_lshl_add_u64 v[4:5], v[58:59], 2, v[0:1]
	v_lshl_add_u64 v[2:3], v[4:5], 0, v[52:53]
	s_mov_b64 s[12:13], 0x80
	v_lshl_add_u64 v[2:3], v[2:3], 0, s[12:13]
	v_mov_b32_e32 v4, s11
	v_cndmask_b32_e64 v3, v4, v3, s[4:5]
	v_mov_b32_e32 v4, 0
	v_cndmask_b32_e64 v2, v4, v2, s[4:5]
	flat_load_dwordx4 v[2:5], v[2:3]
	s_waitcnt vmcnt(0) lgkmcnt(0)
	ds_write_b128 v79, v[2:5]
.LBB65_52:
	s_or_b64 exec, exec, s[8:9]
	v_lshl_add_u32 v75, v73, 2, v75
	v_mul_lo_u32 v56, s2, v75
	v_ashrrev_i32_e32 v57, 31, v56
	v_mov_b32_e32 v40, 0
	v_and_b32_e32 v2, 28, v74
	s_mov_b64 s[12:13], src_private_base
	v_lshl_add_u64 v[0:1], v[56:57], 2, v[0:1]
	v_lshlrev_b32_e32 v60, 2, v2
	v_mov_b32_e32 v61, v40
	v_mov_b32_e32 v53, 0
	;; [unrolled: 1-line block ×4, first 2 shown]
	v_lshl_add_u64 v[0:1], v[0:1], 0, v[60:61]
	v_mov_b32_e32 v2, s13
	v_cmp_gt_i32_e64 s[4:5], s20, v75
	scratch_store_dword off, v40, off
	scratch_store_dwordx3 off, v[40:42], off offset:4
	v_cndmask_b32_e64 v1, v2, v1, s[4:5]
	v_cndmask_b32_e64 v0, v53, v0, s[4:5]
	flat_load_dwordx4 v[0:3], v[0:1]
	v_sub_f32_e32 v4, v80, v48
	s_mov_b32 s4, 0x3fb8aa3b
	v_mul_f32_e32 v6, 0x3fb8aa3b, v4
	v_fma_f32 v7, v4, s4, -v6
	v_rndne_f32_e32 v8, v6
	v_fmamk_f32 v7, v4, 0x32a5705f, v7
	v_sub_f32_e32 v6, v6, v8
	v_add_f32_e32 v6, v6, v7
	v_cvt_i32_f32_e32 v8, v8
	v_exp_f32_e32 v6, v6
	s_mov_b32 s8, 0xc2ce8ed0
	s_movk_i32 s9, 0xe0
	s_mov_b32 s5, 0x42b17218
	v_add_u32_e32 v5, 0x800, v70
	v_mad_u32_u24 v73, v75, s9, v60
	v_ldexp_f32 v6, v6, v8
	v_cmp_ngt_f32_e64 s[8:9], s8, v4
	v_cmp_nlt_f32_e64 s[4:5], s5, v4
	s_or_b32 s10, s22, 16
	v_cndmask_b32_e64 v74, 0, v6, s[8:9]
	s_mul_hi_i32 s9, s10, s2
	s_mul_i32 s8, s10, s2
	s_lshl_b64 s[8:9], s[8:9], 2
	v_mov_b32_e32 v61, 0x7f800000
	v_lshl_add_u64 v[46:47], v[46:47], 0, s[8:9]
	s_add_i32 s20, s20, -16
	s_waitcnt vmcnt(0) lgkmcnt(0)
	ds_write_b128 v73, v[0:3]
	s_waitcnt lgkmcnt(0)
	s_barrier
	ds_read2_b64 v[36:39], v70 offset1:28
	ds_read_b128 v[16:19], v76
	ds_read_b128 v[0:3], v76 offset:16
	ds_read2_b64 v[32:35], v70 offset0:56 offset1:84
	ds_read2_b64 v[28:31], v70 offset0:112 offset1:140
	;; [unrolled: 1-line block ×7, first 2 shown]
	s_waitcnt lgkmcnt(0)
	s_barrier
	s_and_saveexec_b64 s[8:9], s[6:7]
	s_cbranch_execz .LBB65_54
; %bb.53:
	v_lshl_add_u64 v[54:55], v[54:55], 2, v[46:47]
	v_mov_b32_e32 v51, v40
	scratch_store_dword off, v40, off
	scratch_store_dwordx3 off, v[40:42], off offset:4
	s_mov_b64 s[6:7], 0xc0
	s_nop 0
	v_lshl_add_u64 v[40:41], v[54:55], 0, v[50:51]
	v_lshl_add_u64 v[40:41], v[40:41], 0, s[6:7]
	v_mov_b32_e32 v42, s11
	v_cmp_gt_i32_e64 s[6:7], s20, v43
	s_nop 1
	v_cndmask_b32_e64 v41, v42, v41, s[6:7]
	v_cndmask_b32_e64 v40, v53, v40, s[6:7]
	flat_load_dwordx4 v[40:43], v[40:41]
	s_waitcnt vmcnt(0) lgkmcnt(0)
	ds_write_b128 v77, v[40:43]
.LBB65_54:
	s_or_b64 exec, exec, s[8:9]
	v_cndmask_b32_e64 v40, v61, v74, s[4:5]
	s_and_saveexec_b64 s[4:5], vcc
	s_cbranch_execz .LBB65_56
; %bb.55:
	v_mov_b32_e32 v80, 0
	v_lshl_add_u64 v[42:43], v[58:59], 2, v[46:47]
	v_mov_b32_e32 v53, v80
	v_lshl_add_u64 v[42:43], v[42:43], 0, v[52:53]
	s_mov_b64 s[6:7], 0x80
	v_lshl_add_u64 v[42:43], v[42:43], 0, s[6:7]
	v_mov_b32_e32 v41, s11
	v_cmp_gt_i32_e32 vcc, s20, v49
	v_mov_b32_e32 v81, v80
	v_mov_b32_e32 v82, v80
	v_cndmask_b32_e32 v43, v41, v43, vcc
	v_mov_b32_e32 v41, 0
	scratch_store_dword off, v80, off
	scratch_store_dwordx3 off, v[80:82], off offset:4
	v_cndmask_b32_e32 v42, v41, v42, vcc
	flat_load_dwordx4 v[50:53], v[42:43]
	s_waitcnt vmcnt(0) lgkmcnt(0)
	ds_write_b128 v79, v[50:53]
.LBB65_56:
	s_or_b64 exec, exec, s[4:5]
	v_mov_b32_e32 v50, 0
	v_lshl_add_u64 v[42:43], v[56:57], 2, v[46:47]
	v_mov_b32_e32 v61, v50
	v_lshl_add_u64 v[42:43], v[42:43], 0, v[60:61]
	v_mov_b32_e32 v41, s13
	v_cmp_gt_i32_e32 vcc, s20, v75
	v_mov_b32_e32 v51, v50
	v_mov_b32_e32 v52, v50
	v_cndmask_b32_e32 v43, v41, v43, vcc
	v_mov_b32_e32 v41, 0
	scratch_store_dword off, v50, off
	scratch_store_dwordx3 off, v[50:52], off offset:4
	v_cndmask_b32_e32 v42, v41, v42, vcc
	flat_load_dwordx4 v[50:53], v[42:43]
	v_cvt_f16_f32_e32 v41, v40
	v_pk_mul_f16 v36, v36, v16 op_sel_hi:[1,0]
	v_pk_mul_f16 v37, v37, v16 op_sel_hi:[1,0]
	v_fmac_f32_e32 v69, v78, v40
	v_pk_fma_f16 v36, v72, v41, v36 op_sel_hi:[1,0,1]
	v_pk_fma_f16 v37, v71, v41, v37 op_sel_hi:[1,0,1]
	v_pk_fma_f16 v36, v38, v16, v36 op_sel:[0,1,0]
	v_pk_fma_f16 v16, v39, v16, v37 op_sel:[0,1,0]
	v_pk_fma_f16 v32, v32, v17, v36 op_sel_hi:[1,0,1]
	v_pk_fma_f16 v16, v33, v17, v16 op_sel_hi:[1,0,1]
	v_pk_fma_f16 v32, v34, v17, v32 op_sel:[0,1,0]
	v_pk_fma_f16 v16, v35, v17, v16 op_sel:[0,1,0]
	;; [unrolled: 4-line block ×7, first 2 shown]
	v_pk_fma_f16 v1, v4, v3, v1 op_sel_hi:[1,0,1]
	v_pk_fma_f16 v0, v5, v3, v0 op_sel_hi:[1,0,1]
	v_add_u32_e32 v40, 0x800, v70
	v_pk_fma_f16 v41, v6, v3, v1 op_sel:[0,1,0]
	v_pk_fma_f16 v42, v7, v3, v0 op_sel:[0,1,0]
	v_mov_b32_e32 v78, v69
	s_waitcnt vmcnt(0) lgkmcnt(0)
	ds_write_b128 v73, v[50:53]
	s_waitcnt lgkmcnt(0)
	s_barrier
	ds_read2_b64 v[0:3], v70 offset1:28
	ds_read_b128 v[4:7], v76 offset:32
	ds_read_b128 v[8:11], v76 offset:48
	ds_read2_b64 v[12:15], v70 offset0:56 offset1:84
	ds_read2_b64 v[16:19], v70 offset0:112 offset1:140
	;; [unrolled: 1-line block ×7, first 2 shown]
	s_waitcnt lgkmcnt(8)
	v_pk_fma_f16 v0, v0, v4, v41 op_sel_hi:[1,0,1]
	v_pk_fma_f16 v1, v1, v4, v42 op_sel_hi:[1,0,1]
	v_pk_fma_f16 v0, v2, v4, v0 op_sel:[0,1,0]
	v_pk_fma_f16 v1, v3, v4, v1 op_sel:[0,1,0]
	s_waitcnt lgkmcnt(6)
	v_pk_fma_f16 v0, v12, v5, v0 op_sel_hi:[1,0,1]
	v_pk_fma_f16 v1, v13, v5, v1 op_sel_hi:[1,0,1]
	v_pk_fma_f16 v0, v14, v5, v0 op_sel:[0,1,0]
	v_pk_fma_f16 v1, v15, v5, v1 op_sel:[0,1,0]
	;; [unrolled: 5-line block ×8, first 2 shown]
	s_barrier
.LBB65_57:
	v_cmp_lt_i32_e32 vcc, v64, v63
	s_cmp_eq_u64 s[24:25], 0
	s_cselect_b64 s[4:5], -1, 0
	v_cndmask_b32_e32 v0, v62, v64, vcc
	v_lshlrev_b32_e32 v0, 2, v0
	ds_bpermute_b32 v0, v0, v78
	v_cmp_lt_i32_e32 vcc, v65, v63
	s_cmp_lg_u32 s3, 0
	s_cselect_b64 s[6:7], -1, 0
	v_cndmask_b32_e32 v1, v62, v65, vcc
	v_lshlrev_b32_e32 v1, 2, v1
	s_waitcnt lgkmcnt(0)
	v_add_f32_e32 v0, v78, v0
	ds_bpermute_b32 v1, v1, v0
	v_cmp_lt_i32_e32 vcc, v66, v63
	s_or_b64 s[4:5], s[6:7], s[4:5]
	s_waitcnt lgkmcnt(0)
	v_add_f32_e32 v0, v0, v1
	v_cndmask_b32_e32 v2, v62, v66, vcc
	v_lshlrev_b32_e32 v2, 2, v2
	ds_bpermute_b32 v1, v2, v0
	v_cmp_lt_i32_e32 vcc, v67, v63
	s_waitcnt lgkmcnt(0)
	v_add_f32_e32 v0, v0, v1
	v_cndmask_b32_e32 v2, v62, v67, vcc
	v_lshlrev_b32_e32 v2, 2, v2
	ds_bpermute_b32 v1, v2, v0
	v_cmp_lt_i32_e32 vcc, v68, v63
	s_waitcnt lgkmcnt(0)
	v_add_f32_e32 v0, v0, v1
	v_cndmask_b32_e32 v2, v62, v68, vcc
	v_lshlrev_b32_e32 v2, 2, v2
	ds_bpermute_b32 v1, v2, v0
	s_and_b64 vcc, exec, s[4:5]
	s_waitcnt lgkmcnt(0)
	v_add_f32_e32 v49, v0, v1
	s_cbranch_vccnz .LBB65_60
; %bb.58:
	s_lshl_b64 s[4:5], s[34:35], 2
	s_add_u32 s4, s24, s4
	s_addc_u32 s5, s25, s5
	v_mov_b32_e32 v0, 0
	global_load_dword v1, v0, s[4:5]
	v_max_f32_e32 v0, v48, v48
	s_mov_b32 s2, 0x3fb8aa3b
	s_mov_b32 s4, 0xc2ce8ed0
	s_waitcnt vmcnt(0)
	v_max_f32_e32 v2, v1, v1
	v_max_f32_e32 v0, v0, v2
	v_sub_f32_e32 v2, v48, v0
	v_sub_f32_e32 v1, v1, v0
	v_mul_f32_e32 v3, 0x3fb8aa3b, v2
	v_mul_f32_e32 v4, 0x3fb8aa3b, v1
	v_fma_f32 v5, v2, s2, -v3
	v_rndne_f32_e32 v6, v3
	v_fma_f32 v7, v1, s2, -v4
	v_rndne_f32_e32 v8, v4
	v_fmac_f32_e32 v5, 0x32a5705f, v2
	v_sub_f32_e32 v3, v3, v6
	v_fmac_f32_e32 v7, 0x32a5705f, v1
	v_sub_f32_e32 v4, v4, v8
	v_add_f32_e32 v3, v3, v5
	v_cvt_i32_f32_e32 v6, v6
	v_add_f32_e32 v4, v4, v7
	v_exp_f32_e32 v3, v3
	v_cvt_i32_f32_e32 v8, v8
	v_exp_f32_e32 v4, v4
	v_cmp_ngt_f32_e32 vcc, s4, v2
	v_ldexp_f32 v3, v3, v6
	s_mov_b32 s2, 0x42b17218
	v_ldexp_f32 v4, v4, v8
	v_cndmask_b32_e32 v3, 0, v3, vcc
	v_cmp_ngt_f32_e32 vcc, s4, v1
	v_mov_b32_e32 v5, 0x7f800000
	s_nop 0
	v_cndmask_b32_e32 v4, 0, v4, vcc
	v_cmp_nlt_f32_e32 vcc, s2, v2
	s_nop 1
	v_cndmask_b32_e32 v2, v5, v3, vcc
	v_cvt_f16_f32_e32 v3, v2
	v_cmp_nlt_f32_e32 vcc, s2, v1
	v_pk_mul_f16 v72, v3, v72 op_sel_hi:[0,1]
	s_nop 0
	v_cndmask_b32_e32 v1, v5, v4, vcc
	v_fmac_f32_e32 v1, v49, v2
	v_pk_mul_f16 v71, v3, v71 op_sel_hi:[0,1]
	v_mov_b64_e32 v[48:49], v[0:1]
	v_cmp_gt_i32_e32 vcc, s38, v45
	s_and_saveexec_b64 s[4:5], vcc
	s_cbranch_execnz .LBB65_61
.LBB65_59:
	s_endpgm
.LBB65_60:
	v_mov_b32_e32 v1, v49
	v_cmp_gt_i32_e32 vcc, s38, v45
	s_and_saveexec_b64 s[4:5], vcc
	s_cbranch_execz .LBB65_59
.LBB65_61:
	s_load_dword s2, s[0:1], 0xd4
	s_mul_i32 s33, s33, s38
	v_add_u32_e32 v0, s33, v45
	v_mul_lo_u32 v0, v0, s39
	v_add_u32_e32 v0, s34, v0
	s_waitcnt lgkmcnt(0)
	s_cmp_lg_u32 s2, 1
	v_mul_lo_u32 v0, s2, v0
	s_cselect_b64 s[0:1], -1, 0
	v_add_u32_e32 v0, s3, v0
	s_and_saveexec_b64 s[2:3], s[14:15]
	s_cbranch_execz .LBB65_63
; %bb.62:
	v_div_scale_f32 v4, s[4:5], v1, v1, 1.0
	v_rcp_f32_e32 v5, v4
	v_cvt_f32_f16_sdwa v9, v72 dst_sel:DWORD dst_unused:UNUSED_PAD src0_sel:WORD_1
	v_cvt_f32_f16_sdwa v11, v71 dst_sel:DWORD dst_unused:UNUSED_PAD src0_sel:WORD_1
	v_cvt_f32_f16_e32 v10, v71
	v_fma_f32 v6, -v4, v5, 1.0
	v_fmac_f32_e32 v5, v6, v5
	v_div_scale_f32 v6, vcc, 1.0, v1, 1.0
	v_mul_f32_e32 v7, v6, v5
	v_fma_f32 v8, -v4, v7, v6
	v_fmac_f32_e32 v7, v8, v5
	v_fma_f32 v4, -v4, v7, v6
	v_div_fmas_f32 v4, v4, v5, v7
	v_cvt_f32_f16_e32 v8, v72
	v_div_fixup_f32 v1, v4, v1, 1.0
	s_movk_i32 s4, 0x70
	v_cndmask_b32_e64 v4, v1, 1.0, s[0:1]
	v_mul_lo_u32 v1, v0, s4
	v_mov_b32_e32 v2, s28
	v_mov_b32_e32 v3, s29
	v_lshl_add_u32 v6, v44, 2, v1
	v_mov_b32_e32 v7, 0
	v_lshl_add_u64 v[6:7], v[6:7], 2, v[2:3]
	v_pk_mul_f32 v[2:3], v[4:5], v[8:9] op_sel_hi:[0,1]
	v_pk_mul_f32 v[4:5], v[4:5], v[10:11] op_sel_hi:[0,1]
	global_store_dwordx4 v[6:7], v[2:5], off
.LBB65_63:
	s_or_b64 exec, exec, s[2:3]
	v_cmp_eq_u32_e32 vcc, 0, v44
	s_and_b64 s[0:1], vcc, s[0:1]
	s_and_b64 exec, exec, s[0:1]
	s_cbranch_execz .LBB65_59
; %bb.64:
	v_mov_b32_e32 v2, s30
	v_mov_b32_e32 v3, s31
	v_ashrrev_i32_e32 v1, 31, v0
	v_lshl_add_u64 v[0:1], v[0:1], 3, v[2:3]
	global_store_dwordx2 v[0:1], v[48:49], off
	s_endpgm
	.section	.rodata,"a",@progbits
	.p2align	6, 0x0
	.amdhsa_kernel _ZL15flash_attn_tileILi112ELi112ELi4ELi1ELb0EEvPKcS1_S1_S1_S1_PKiPfP15HIP_vector_typeIfLj2EEffffjfiS5_IjLj3EEiiiiiiiiiiiliiliiiiil
		.amdhsa_group_segment_fixed_size 5312
		.amdhsa_private_segment_fixed_size 32
		.amdhsa_kernarg_size 464
		.amdhsa_user_sgpr_count 2
		.amdhsa_user_sgpr_dispatch_ptr 0
		.amdhsa_user_sgpr_queue_ptr 0
		.amdhsa_user_sgpr_kernarg_segment_ptr 1
		.amdhsa_user_sgpr_dispatch_id 0
		.amdhsa_user_sgpr_kernarg_preload_length 0
		.amdhsa_user_sgpr_kernarg_preload_offset 0
		.amdhsa_user_sgpr_private_segment_size 0
		.amdhsa_uses_dynamic_stack 0
		.amdhsa_enable_private_segment 1
		.amdhsa_system_sgpr_workgroup_id_x 1
		.amdhsa_system_sgpr_workgroup_id_y 1
		.amdhsa_system_sgpr_workgroup_id_z 1
		.amdhsa_system_sgpr_workgroup_info 0
		.amdhsa_system_vgpr_workitem_id 1
		.amdhsa_next_free_vgpr 100
		.amdhsa_next_free_sgpr 48
		.amdhsa_accum_offset 100
		.amdhsa_reserve_vcc 1
		.amdhsa_float_round_mode_32 0
		.amdhsa_float_round_mode_16_64 0
		.amdhsa_float_denorm_mode_32 3
		.amdhsa_float_denorm_mode_16_64 3
		.amdhsa_dx10_clamp 1
		.amdhsa_ieee_mode 1
		.amdhsa_fp16_overflow 0
		.amdhsa_tg_split 0
		.amdhsa_exception_fp_ieee_invalid_op 0
		.amdhsa_exception_fp_denorm_src 0
		.amdhsa_exception_fp_ieee_div_zero 0
		.amdhsa_exception_fp_ieee_overflow 0
		.amdhsa_exception_fp_ieee_underflow 0
		.amdhsa_exception_fp_ieee_inexact 0
		.amdhsa_exception_int_div_zero 0
	.end_amdhsa_kernel
	.section	.text._ZL15flash_attn_tileILi112ELi112ELi4ELi1ELb0EEvPKcS1_S1_S1_S1_PKiPfP15HIP_vector_typeIfLj2EEffffjfiS5_IjLj3EEiiiiiiiiiiiliiliiiiil,"axG",@progbits,_ZL15flash_attn_tileILi112ELi112ELi4ELi1ELb0EEvPKcS1_S1_S1_S1_PKiPfP15HIP_vector_typeIfLj2EEffffjfiS5_IjLj3EEiiiiiiiiiiiliiliiiiil,comdat
.Lfunc_end65:
	.size	_ZL15flash_attn_tileILi112ELi112ELi4ELi1ELb0EEvPKcS1_S1_S1_S1_PKiPfP15HIP_vector_typeIfLj2EEffffjfiS5_IjLj3EEiiiiiiiiiiiliiliiiiil, .Lfunc_end65-_ZL15flash_attn_tileILi112ELi112ELi4ELi1ELb0EEvPKcS1_S1_S1_S1_PKiPfP15HIP_vector_typeIfLj2EEffffjfiS5_IjLj3EEiiiiiiiiiiiliiliiiiil
                                        ; -- End function
	.section	.AMDGPU.csdata,"",@progbits
; Kernel info:
; codeLenInByte = 10196
; NumSgprs: 54
; NumVgprs: 100
; NumAgprs: 0
; TotalNumVgprs: 100
; ScratchSize: 32
; MemoryBound: 0
; FloatMode: 240
; IeeeMode: 1
; LDSByteSize: 5312 bytes/workgroup (compile time only)
; SGPRBlocks: 6
; VGPRBlocks: 12
; NumSGPRsForWavesPerEU: 54
; NumVGPRsForWavesPerEU: 100
; AccumOffset: 100
; Occupancy: 4
; WaveLimiterHint : 1
; COMPUTE_PGM_RSRC2:SCRATCH_EN: 1
; COMPUTE_PGM_RSRC2:USER_SGPR: 2
; COMPUTE_PGM_RSRC2:TRAP_HANDLER: 0
; COMPUTE_PGM_RSRC2:TGID_X_EN: 1
; COMPUTE_PGM_RSRC2:TGID_Y_EN: 1
; COMPUTE_PGM_RSRC2:TGID_Z_EN: 1
; COMPUTE_PGM_RSRC2:TIDIG_COMP_CNT: 1
; COMPUTE_PGM_RSRC3_GFX90A:ACCUM_OFFSET: 24
; COMPUTE_PGM_RSRC3_GFX90A:TG_SPLIT: 0
	.section	.text._ZL33flash_attn_stream_k_fixup_uniformILi112ELi4ELi1EEvPfPK15HIP_vector_typeIfLj2EEiiiiiiS1_IjLj3EES5_S5_,"axG",@progbits,_ZL33flash_attn_stream_k_fixup_uniformILi112ELi4ELi1EEvPfPK15HIP_vector_typeIfLj2EEiiiiiiS1_IjLj3EES5_S5_,comdat
	.globl	_ZL33flash_attn_stream_k_fixup_uniformILi112ELi4ELi1EEvPfPK15HIP_vector_typeIfLj2EEiiiiiiS1_IjLj3EES5_S5_ ; -- Begin function _ZL33flash_attn_stream_k_fixup_uniformILi112ELi4ELi1EEvPfPK15HIP_vector_typeIfLj2EEiiiiiiS1_IjLj3EES5_S5_
	.p2align	8
	.type	_ZL33flash_attn_stream_k_fixup_uniformILi112ELi4ELi1EEvPfPK15HIP_vector_typeIfLj2EEiiiiiiS1_IjLj3EES5_S5_,@function
_ZL33flash_attn_stream_k_fixup_uniformILi112ELi4ELi1EEvPfPK15HIP_vector_typeIfLj2EEiiiiiiS1_IjLj3EES5_S5_: ; @_ZL33flash_attn_stream_k_fixup_uniformILi112ELi4ELi1EEvPfPK15HIP_vector_typeIfLj2EEiiiiiiS1_IjLj3EES5_S5_
; %bb.0:
	s_load_dwordx8 s[8:15], s[0:1], 0x1c
	s_load_dwordx2 s[6:7], s[0:1], 0x10
	s_load_dwordx4 s[16:19], s[0:1], 0x3c
	s_waitcnt lgkmcnt(0)
	s_mul_hi_u32 s5, s11, s2
	s_add_i32 s5, s2, s5
	s_lshr_b32 s5, s5, s12
	s_mul_i32 s11, s5, s13
	s_sub_i32 s12, s2, s11
	s_mul_hi_u32 s11, s12, s14
	s_add_i32 s11, s12, s11
	s_lshr_b32 s11, s11, s15
	s_mul_i32 s13, s11, s16
	s_sub_i32 s12, s12, s13
	;; [unrolled: 5-line block ×3, first 2 shown]
	s_lshl_b32 s12, s17, 2
	s_add_i32 s12, s12, s3
	s_cmp_lt_i32 s12, s6
	s_cselect_b64 s[12:13], -1, 0
	s_add_i32 s16, s16, s4
	s_cmp_lt_i32 s16, s9
	s_cselect_b64 s[14:15], -1, 0
	s_and_b64 s[12:13], s[12:13], s[14:15]
	s_andn2_b64 vcc, exec, s[12:13]
	s_cbranch_vccnz .LBB66_6
; %bb.1:
	s_load_dwordx4 s[12:15], s[0:1], 0x0
	s_mul_i32 s0, s5, s6
	s_mul_i32 s11, s11, s9
	s_add_i32 s0, s0, s3
	s_mul_i32 s0, s0, s7
	s_add_i32 s5, s16, s11
	;; [unrolled: 2-line block ×3, first 2 shown]
	s_mulk_i32 s1, 0x1c0
	s_mulk_i32 s0, 0x70
	s_add_i32 s0, s0, s1
	v_add_u32_e32 v4, s0, v0
	s_waitcnt lgkmcnt(0)
	v_mov_b32_e32 v2, s12
	v_mov_b32_e32 v3, s13
	v_ashrrev_i32_e32 v5, 31, v4
	v_lshl_add_u64 v[2:3], v[4:5], 2, v[2:3]
	global_load_dword v7, v[2:3], off
	s_mul_i32 s6, s2, s10
	s_add_i32 s7, s6, s10
	s_add_i32 s3, s3, s4
	s_lshl_b32 s0, s7, 2
	s_add_i32 s0, s3, s0
	s_add_i32 s0, s0, -4
	s_ashr_i32 s1, s0, 31
	s_lshl_b64 s[0:1], s[0:1], 3
	s_add_u32 s0, s14, s0
	s_addc_u32 s1, s15, s1
	s_load_dword s9, s[0:1], 0x4
	s_add_i32 s4, s7, -2
	s_cmp_lt_i32 s4, s6
	s_cbranch_scc1 .LBB66_4
; %bb.2:
	s_lshl_b32 s4, s8, 4
	s_ashr_i32 s5, s4, 31
	s_lshl_b64 s[4:5], s[4:5], 2
	s_add_u32 s4, s14, s4
	s_addc_u32 s5, s15, s5
	s_load_dword s0, s[0:1], 0x0
	s_add_i32 s2, s2, 1
	s_mul_i32 s10, s10, s2
	s_mul_i32 s1, s3, 0x70
	s_lshl_b32 s2, s10, 2
	s_mulk_i32 s10, 0x1c0
	s_add_i32 s2, s3, s2
	s_lshl_b32 s3, s8, 2
	s_add_i32 s1, s1, s10
	s_add_i32 s2, s2, s3
	v_add_u32_e32 v0, s1, v0
	s_add_i32 s7, s7, -1
	s_add_i32 s2, s2, -8
	v_add_u32_e32 v0, 0xfffffc80, v0
	s_waitcnt lgkmcnt(0)
	v_mov_b32_e32 v6, s9
	v_mov_b32_e32 v5, s0
	s_mov_b32 s8, 0x3fb8aa3b
	s_mov_b32 s9, 0xc2ce8ed0
	;; [unrolled: 1-line block ×3, first 2 shown]
	v_mov_b32_e32 v4, 0x7f800000
	s_mov_b32 s11, 0xc1a00000
.LBB66_3:                               ; =>This Inner Loop Header: Depth=1
	v_ashrrev_i32_e32 v1, 31, v0
	v_lshl_add_u64 v[8:9], v[0:1], 2, s[4:5]
	global_load_dword v1, v[8:9], off
	s_ashr_i32 s3, s2, 31
	s_lshl_b64 s[0:1], s[2:3], 3
	s_add_u32 s0, s14, s0
	s_addc_u32 s1, s15, s1
	s_load_dwordx2 s[12:13], s[0:1], 0x0
	s_waitcnt vmcnt(1)
	v_mov_b32_e32 v8, v7
	v_max_f32_e32 v7, v5, v5
	v_mov_b32_e32 v9, v6
	s_add_i32 s7, s7, -1
	s_waitcnt lgkmcnt(0)
	v_max_f32_e64 v6, s12, s12
	v_max_f32_e32 v6, v7, v6
	v_sub_f32_e32 v10, s12, v6
	v_sub_f32_e32 v7, v5, v6
	v_mul_f32_e32 v11, 0x3fb8aa3b, v10
	v_mov_b32_e32 v5, v6
	v_mul_f32_e32 v6, 0x3fb8aa3b, v7
	v_fma_f32 v14, v10, s8, -v11
	v_rndne_f32_e32 v15, v11
	v_fma_f32 v12, v7, s8, -v6
	v_rndne_f32_e32 v13, v6
	v_fmac_f32_e32 v14, 0x32a5705f, v10
	v_sub_f32_e32 v11, v11, v15
	v_fmac_f32_e32 v12, 0x32a5705f, v7
	v_sub_f32_e32 v6, v6, v13
	v_add_f32_e32 v11, v11, v14
	v_cvt_i32_f32_e32 v15, v15
	v_add_f32_e32 v6, v6, v12
	v_exp_f32_e32 v11, v11
	v_cvt_i32_f32_e32 v13, v13
	v_exp_f32_e32 v6, v6
	v_cmp_ngt_f32_e32 vcc, s9, v10
	v_ldexp_f32 v11, v11, v15
	v_cmp_ngt_f32_e64 s[0:1], s9, v7
	v_ldexp_f32 v6, v6, v13
	v_cndmask_b32_e32 v11, 0, v11, vcc
	v_cmp_nlt_f32_e32 vcc, s10, v10
	v_cndmask_b32_e64 v6, 0, v6, s[0:1]
	v_cmp_nlt_f32_e64 s[0:1], s10, v7
	v_cndmask_b32_e32 v11, v4, v11, vcc
	v_cmp_le_f32_e32 vcc, s11, v10
	v_cndmask_b32_e64 v6, v4, v6, s[0:1]
	v_cmp_le_f32_e64 s[0:1], s11, v7
	v_cndmask_b32_e32 v7, 0, v11, vcc
	s_add_i32 s2, s2, -4
	v_cndmask_b32_e64 v10, 0, v6, s[0:1]
	v_mul_f32_e32 v6, s13, v7
	v_add_u32_e32 v0, 0xfffffe40, v0
	s_cmp_le_i32 s7, s6
	v_fmac_f32_e32 v6, v9, v10
	s_waitcnt vmcnt(0)
	v_mul_f32_e32 v7, v1, v7
	v_fmac_f32_e32 v7, v8, v10
	s_cbranch_scc0 .LBB66_3
	s_branch .LBB66_5
.LBB66_4:
	s_waitcnt lgkmcnt(0)
	v_mov_b32_e32 v6, s9
.LBB66_5:
	s_waitcnt vmcnt(0)
	v_div_scale_f32 v0, s[0:1], v6, v6, v7
	v_rcp_f32_e32 v1, v0
	v_div_scale_f32 v4, vcc, v7, v6, v7
	v_fma_f32 v5, -v0, v1, 1.0
	v_fmac_f32_e32 v1, v5, v1
	v_mul_f32_e32 v5, v4, v1
	v_fma_f32 v8, -v0, v5, v4
	v_fmac_f32_e32 v5, v8, v1
	v_fma_f32 v0, -v0, v5, v4
	v_div_fmas_f32 v0, v0, v1, v5
	v_div_fixup_f32 v0, v0, v6, v7
	global_store_dword v[2:3], v0, off
.LBB66_6:
	s_endpgm
	.section	.rodata,"a",@progbits
	.p2align	6, 0x0
	.amdhsa_kernel _ZL33flash_attn_stream_k_fixup_uniformILi112ELi4ELi1EEvPfPK15HIP_vector_typeIfLj2EEiiiiiiS1_IjLj3EES5_S5_
		.amdhsa_group_segment_fixed_size 0
		.amdhsa_private_segment_fixed_size 0
		.amdhsa_kernarg_size 76
		.amdhsa_user_sgpr_count 2
		.amdhsa_user_sgpr_dispatch_ptr 0
		.amdhsa_user_sgpr_queue_ptr 0
		.amdhsa_user_sgpr_kernarg_segment_ptr 1
		.amdhsa_user_sgpr_dispatch_id 0
		.amdhsa_user_sgpr_kernarg_preload_length 0
		.amdhsa_user_sgpr_kernarg_preload_offset 0
		.amdhsa_user_sgpr_private_segment_size 0
		.amdhsa_uses_dynamic_stack 0
		.amdhsa_enable_private_segment 0
		.amdhsa_system_sgpr_workgroup_id_x 1
		.amdhsa_system_sgpr_workgroup_id_y 1
		.amdhsa_system_sgpr_workgroup_id_z 1
		.amdhsa_system_sgpr_workgroup_info 0
		.amdhsa_system_vgpr_workitem_id 0
		.amdhsa_next_free_vgpr 16
		.amdhsa_next_free_sgpr 20
		.amdhsa_accum_offset 16
		.amdhsa_reserve_vcc 1
		.amdhsa_float_round_mode_32 0
		.amdhsa_float_round_mode_16_64 0
		.amdhsa_float_denorm_mode_32 3
		.amdhsa_float_denorm_mode_16_64 3
		.amdhsa_dx10_clamp 1
		.amdhsa_ieee_mode 1
		.amdhsa_fp16_overflow 0
		.amdhsa_tg_split 0
		.amdhsa_exception_fp_ieee_invalid_op 0
		.amdhsa_exception_fp_denorm_src 0
		.amdhsa_exception_fp_ieee_div_zero 0
		.amdhsa_exception_fp_ieee_overflow 0
		.amdhsa_exception_fp_ieee_underflow 0
		.amdhsa_exception_fp_ieee_inexact 0
		.amdhsa_exception_int_div_zero 0
	.end_amdhsa_kernel
	.section	.text._ZL33flash_attn_stream_k_fixup_uniformILi112ELi4ELi1EEvPfPK15HIP_vector_typeIfLj2EEiiiiiiS1_IjLj3EES5_S5_,"axG",@progbits,_ZL33flash_attn_stream_k_fixup_uniformILi112ELi4ELi1EEvPfPK15HIP_vector_typeIfLj2EEiiiiiiS1_IjLj3EES5_S5_,comdat
.Lfunc_end66:
	.size	_ZL33flash_attn_stream_k_fixup_uniformILi112ELi4ELi1EEvPfPK15HIP_vector_typeIfLj2EEiiiiiiS1_IjLj3EES5_S5_, .Lfunc_end66-_ZL33flash_attn_stream_k_fixup_uniformILi112ELi4ELi1EEvPfPK15HIP_vector_typeIfLj2EEiiiiiiS1_IjLj3EES5_S5_
                                        ; -- End function
	.section	.AMDGPU.csdata,"",@progbits
; Kernel info:
; codeLenInByte = 820
; NumSgprs: 26
; NumVgprs: 16
; NumAgprs: 0
; TotalNumVgprs: 16
; ScratchSize: 0
; MemoryBound: 0
; FloatMode: 240
; IeeeMode: 1
; LDSByteSize: 0 bytes/workgroup (compile time only)
; SGPRBlocks: 3
; VGPRBlocks: 1
; NumSGPRsForWavesPerEU: 26
; NumVGPRsForWavesPerEU: 16
; AccumOffset: 16
; Occupancy: 8
; WaveLimiterHint : 0
; COMPUTE_PGM_RSRC2:SCRATCH_EN: 0
; COMPUTE_PGM_RSRC2:USER_SGPR: 2
; COMPUTE_PGM_RSRC2:TRAP_HANDLER: 0
; COMPUTE_PGM_RSRC2:TGID_X_EN: 1
; COMPUTE_PGM_RSRC2:TGID_Y_EN: 1
; COMPUTE_PGM_RSRC2:TGID_Z_EN: 1
; COMPUTE_PGM_RSRC2:TIDIG_COMP_CNT: 0
; COMPUTE_PGM_RSRC3_GFX90A:ACCUM_OFFSET: 3
; COMPUTE_PGM_RSRC3_GFX90A:TG_SPLIT: 0
	.section	.text._ZL33flash_attn_stream_k_fixup_generalILi112ELi4ELi1EEvPfPK15HIP_vector_typeIfLj2EEiiiiS1_IjLj3EES5_S5_S5_,"axG",@progbits,_ZL33flash_attn_stream_k_fixup_generalILi112ELi4ELi1EEvPfPK15HIP_vector_typeIfLj2EEiiiiS1_IjLj3EES5_S5_S5_,comdat
	.globl	_ZL33flash_attn_stream_k_fixup_generalILi112ELi4ELi1EEvPfPK15HIP_vector_typeIfLj2EEiiiiS1_IjLj3EES5_S5_S5_ ; -- Begin function _ZL33flash_attn_stream_k_fixup_generalILi112ELi4ELi1EEvPfPK15HIP_vector_typeIfLj2EEiiiiS1_IjLj3EES5_S5_S5_
	.p2align	8
	.type	_ZL33flash_attn_stream_k_fixup_generalILi112ELi4ELi1EEvPfPK15HIP_vector_typeIfLj2EEiiiiS1_IjLj3EES5_S5_S5_,@function
_ZL33flash_attn_stream_k_fixup_generalILi112ELi4ELi1EEvPfPK15HIP_vector_typeIfLj2EEiiiiS1_IjLj3EES5_S5_S5_: ; @_ZL33flash_attn_stream_k_fixup_generalILi112ELi4ELi1EEvPfPK15HIP_vector_typeIfLj2EEiiiiS1_IjLj3EES5_S5_S5_
; %bb.0:
	s_load_dwordx4 s[12:15], s[0:1], 0x10
	s_load_dword s22, s[0:1], 0x50
	s_mov_b32 s8, 0
	s_waitcnt lgkmcnt(0)
	s_mul_hi_i32 s9, s15, s2
	s_cmp_lg_u64 s[8:9], 0
	s_mul_i32 s5, s15, s2
	s_cbranch_scc0 .LBB67_21
; %bb.1:
	v_cvt_f32_u32_e32 v1, s22
	v_cvt_f32_ubyte0_e32 v2, 0
	s_sub_u32 s8, 0, s22
	s_subb_u32 s10, 0, 0
	v_fmamk_f32 v1, v2, 0x4f800000, v1
	v_rcp_f32_e32 v1, v1
	s_nop 0
	v_mul_f32_e32 v1, 0x5f7ffffc, v1
	v_mul_f32_e32 v2, 0x2f800000, v1
	v_trunc_f32_e32 v2, v2
	v_fmamk_f32 v1, v2, 0xcf800000, v1
	v_cvt_u32_f32_e32 v2, v2
	v_cvt_u32_f32_e32 v1, v1
	v_readfirstlane_b32 s11, v2
	v_readfirstlane_b32 s16, v1
	s_mul_i32 s17, s8, s11
	s_mul_hi_u32 s19, s8, s16
	s_mul_i32 s18, s10, s16
	s_add_i32 s17, s19, s17
	s_add_i32 s17, s17, s18
	s_mul_i32 s20, s8, s16
	s_mul_hi_u32 s18, s16, s17
	s_mul_i32 s19, s16, s17
	s_mul_hi_u32 s16, s16, s20
	s_add_u32 s16, s16, s19
	s_addc_u32 s18, 0, s18
	s_mul_hi_u32 s21, s11, s20
	s_mul_i32 s20, s11, s20
	s_add_u32 s16, s16, s20
	s_mul_hi_u32 s19, s11, s17
	s_addc_u32 s16, s18, s21
	s_addc_u32 s18, s19, 0
	s_mul_i32 s17, s11, s17
	s_add_u32 s16, s16, s17
	s_addc_u32 s17, 0, s18
	v_add_co_u32_e32 v1, vcc, s16, v1
	s_cmp_lg_u64 vcc, 0
	s_addc_u32 s11, s11, s17
	v_readfirstlane_b32 s17, v1
	s_mul_i32 s16, s8, s11
	s_mul_hi_u32 s18, s8, s17
	s_add_i32 s16, s18, s16
	s_mul_i32 s10, s10, s17
	s_add_i32 s16, s16, s10
	s_mul_i32 s8, s8, s17
	s_mul_hi_u32 s18, s11, s8
	s_mul_i32 s19, s11, s8
	s_mul_i32 s21, s17, s16
	s_mul_hi_u32 s8, s17, s8
	s_mul_hi_u32 s20, s17, s16
	s_add_u32 s8, s8, s21
	s_addc_u32 s17, 0, s20
	s_add_u32 s8, s8, s19
	s_mul_hi_u32 s10, s11, s16
	s_addc_u32 s8, s17, s18
	s_addc_u32 s10, s10, 0
	s_mul_i32 s16, s11, s16
	s_add_u32 s8, s8, s16
	s_addc_u32 s10, 0, s10
	v_add_co_u32_e32 v1, vcc, s8, v1
	s_cmp_lg_u64 vcc, 0
	s_addc_u32 s16, s11, s10
	s_ashr_i32 s10, s9, 31
	s_add_u32 s8, s5, s10
	s_mov_b32 s11, s10
	s_addc_u32 s9, s9, s10
	s_xor_b64 s[8:9], s[8:9], s[10:11]
	v_readfirstlane_b32 s19, v1
	s_mul_i32 s18, s8, s16
	s_mul_hi_u32 s20, s8, s19
	s_mul_hi_u32 s17, s8, s16
	s_add_u32 s18, s20, s18
	s_addc_u32 s17, 0, s17
	s_mul_hi_u32 s21, s9, s19
	s_mul_i32 s19, s9, s19
	s_add_u32 s18, s18, s19
	s_mul_hi_u32 s20, s9, s16
	s_addc_u32 s17, s17, s21
	s_addc_u32 s18, s20, 0
	s_mul_i32 s16, s9, s16
	s_add_u32 s16, s17, s16
	s_addc_u32 s17, 0, s18
	s_add_u32 s18, s16, 1
	s_addc_u32 s19, s17, 0
	s_add_u32 s20, s16, 2
	s_mul_i32 s23, s22, s17
	s_mul_hi_u32 s24, s22, s16
	s_addc_u32 s21, s17, 0
	s_add_i32 s24, s24, s23
	s_mul_i32 s23, s22, s16
	v_mov_b32_e32 v1, s23
	v_sub_co_u32_e32 v1, vcc, s8, v1
	s_cmp_lg_u64 vcc, 0
	s_subb_u32 s8, s9, s24
	v_subrev_co_u32_e32 v2, vcc, s22, v1
	s_cmp_lg_u64 vcc, 0
	s_subb_u32 s9, s8, 0
	v_readfirstlane_b32 s23, v2
	s_cmp_ge_u32 s23, s22
	s_cselect_b32 s23, -1, 0
	s_cmp_eq_u32 s9, 0
	s_cselect_b32 s9, s23, -1
	s_cmp_lg_u32 s9, 0
	s_cselect_b32 s9, s21, s19
	v_readfirstlane_b32 s19, v1
	s_cselect_b32 s18, s20, s18
	s_cmp_ge_u32 s19, s22
	s_cselect_b32 s19, -1, 0
	s_cmp_eq_u32 s8, 0
	s_cselect_b32 s8, s19, -1
	s_cmp_lg_u32 s8, 0
	s_cselect_b32 s9, s9, s17
	s_cselect_b32 s8, s18, s16
	s_xor_b64 s[8:9], s[8:9], s[10:11]
	s_sub_u32 s20, s8, s10
	s_load_dwordx4 s[16:19], s[0:1], 0x44
	s_cbranch_execnz .LBB67_3
.LBB67_2:
	v_cvt_f32_u32_e32 v1, s22
	s_sub_i32 s6, 0, s22
	v_rcp_iflag_f32_e32 v1, v1
	s_nop 0
	v_mul_f32_e32 v1, 0x4f7ffffe, v1
	v_cvt_u32_f32_e32 v1, v1
	s_nop 0
	v_readfirstlane_b32 s7, v1
	s_mul_i32 s6, s6, s7
	s_mul_hi_u32 s6, s7, s6
	s_add_i32 s7, s7, s6
	s_mul_hi_u32 s6, s5, s7
	s_mul_i32 s8, s6, s22
	s_sub_i32 s5, s5, s8
	s_add_i32 s7, s6, 1
	s_sub_i32 s8, s5, s22
	s_cmp_ge_u32 s5, s22
	s_cselect_b32 s6, s7, s6
	s_cselect_b32 s5, s8, s5
	s_add_i32 s7, s6, 1
	s_cmp_ge_u32 s5, s22
	s_cselect_b32 s20, s7, s6
.LBB67_3:
	s_add_i32 s5, s2, 1
	s_mul_hi_i32 s9, s15, s5
	s_mov_b32 s8, 0
	s_cmp_lg_u64 s[8:9], 0
	s_mul_i32 s5, s15, s5
	s_cbranch_scc0 .LBB67_22
; %bb.4:
	v_cvt_f32_u32_e32 v1, s22
	v_cvt_f32_ubyte0_e32 v2, 0
	s_sub_u32 s8, 0, s22
	s_subb_u32 s10, 0, 0
	v_fmamk_f32 v1, v2, 0x4f800000, v1
	v_rcp_f32_e32 v1, v1
	s_nop 0
	v_mul_f32_e32 v1, 0x5f7ffffc, v1
	v_mul_f32_e32 v2, 0x2f800000, v1
	v_trunc_f32_e32 v2, v2
	v_fmamk_f32 v1, v2, 0xcf800000, v1
	v_cvt_u32_f32_e32 v2, v2
	v_cvt_u32_f32_e32 v1, v1
	v_readfirstlane_b32 s11, v2
	s_waitcnt lgkmcnt(0)
	v_readfirstlane_b32 s19, v1
	s_mul_i32 s21, s8, s11
	s_mul_hi_u32 s24, s8, s19
	s_mul_i32 s23, s10, s19
	s_add_i32 s21, s24, s21
	s_add_i32 s21, s21, s23
	s_mul_i32 s25, s8, s19
	s_mul_hi_u32 s23, s19, s21
	s_mul_i32 s24, s19, s21
	s_mul_hi_u32 s19, s19, s25
	s_add_u32 s19, s19, s24
	s_addc_u32 s23, 0, s23
	s_mul_hi_u32 s26, s11, s25
	s_mul_i32 s25, s11, s25
	s_add_u32 s19, s19, s25
	s_mul_hi_u32 s24, s11, s21
	s_addc_u32 s19, s23, s26
	s_addc_u32 s23, s24, 0
	s_mul_i32 s21, s11, s21
	s_add_u32 s19, s19, s21
	s_addc_u32 s21, 0, s23
	v_add_co_u32_e32 v1, vcc, s19, v1
	s_cmp_lg_u64 vcc, 0
	s_addc_u32 s11, s11, s21
	v_readfirstlane_b32 s21, v1
	s_mul_i32 s19, s8, s11
	s_mul_hi_u32 s23, s8, s21
	s_add_i32 s19, s23, s19
	s_mul_i32 s10, s10, s21
	s_add_i32 s19, s19, s10
	s_mul_i32 s8, s8, s21
	s_mul_hi_u32 s23, s11, s8
	s_mul_i32 s24, s11, s8
	s_mul_i32 s26, s21, s19
	s_mul_hi_u32 s8, s21, s8
	s_mul_hi_u32 s25, s21, s19
	s_add_u32 s8, s8, s26
	s_addc_u32 s21, 0, s25
	s_add_u32 s8, s8, s24
	s_mul_hi_u32 s10, s11, s19
	s_addc_u32 s8, s21, s23
	s_addc_u32 s10, s10, 0
	s_mul_i32 s19, s11, s19
	s_add_u32 s8, s8, s19
	s_addc_u32 s10, 0, s10
	v_add_co_u32_e32 v1, vcc, s8, v1
	s_cmp_lg_u64 vcc, 0
	s_addc_u32 s19, s11, s10
	s_ashr_i32 s10, s9, 31
	s_add_u32 s8, s5, s10
	s_mov_b32 s11, s10
	s_addc_u32 s9, s9, s10
	s_xor_b64 s[8:9], s[8:9], s[10:11]
	v_readfirstlane_b32 s23, v1
	s_mul_i32 s21, s8, s19
	s_mul_hi_u32 s24, s8, s23
	s_mul_hi_u32 s11, s8, s19
	s_add_u32 s21, s24, s21
	s_addc_u32 s11, 0, s11
	s_mul_hi_u32 s25, s9, s23
	s_mul_i32 s23, s9, s23
	s_add_u32 s21, s21, s23
	s_mul_hi_u32 s24, s9, s19
	s_addc_u32 s11, s11, s25
	s_addc_u32 s21, s24, 0
	s_mul_i32 s19, s9, s19
	s_add_u32 s11, s11, s19
	s_addc_u32 s19, 0, s21
	s_mul_i32 s19, s22, s19
	s_mul_hi_u32 s24, s22, s11
	s_add_i32 s24, s24, s19
	s_mul_i32 s19, s22, s11
	v_mov_b32_e32 v1, s19
	s_add_u32 s21, s11, 1
	s_add_u32 s23, s11, 2
	v_sub_co_u32_e32 v1, vcc, s8, v1
	s_cmp_lg_u64 vcc, 0
	s_subb_u32 s8, s9, s24
	v_subrev_co_u32_e32 v2, vcc, s22, v1
	s_cmp_lg_u64 vcc, 0
	s_subb_u32 s9, s8, 0
	v_cmp_le_u32_e32 vcc, s22, v2
	s_cmp_eq_u32 s9, 0
	v_mov_b32_e32 v3, s21
	v_cndmask_b32_e64 v2, 0, -1, vcc
	s_cselect_b64 vcc, -1, 0
	v_cndmask_b32_e32 v2, -1, v2, vcc
	v_mov_b32_e32 v4, s23
	v_cmp_ne_u32_e32 vcc, 0, v2
	s_cmp_eq_u32 s8, 0
	s_nop 0
	v_cndmask_b32_e32 v2, v3, v4, vcc
	v_cmp_le_u32_e32 vcc, s22, v1
	v_mov_b32_e32 v3, s11
	s_nop 0
	v_cndmask_b32_e64 v1, 0, -1, vcc
	s_cselect_b64 vcc, -1, 0
	v_cndmask_b32_e32 v1, -1, v1, vcc
	v_cmp_ne_u32_e32 vcc, 0, v1
	s_nop 1
	v_cndmask_b32_e32 v1, v3, v2, vcc
	v_xor_b32_e32 v1, s10, v1
	v_subrev_co_u32_e32 v2, vcc, s10, v1
	s_cbranch_execnz .LBB67_6
.LBB67_5:
	v_cvt_f32_u32_e32 v1, s22
	s_sub_i32 s6, 0, s22
	s_mov_b32 s7, 0
	v_rcp_iflag_f32_e32 v1, v1
	s_nop 0
	v_mul_f32_e32 v1, 0x4f7ffffe, v1
	v_cvt_u32_f32_e32 v1, v1
	s_nop 0
	v_readfirstlane_b32 s8, v1
	s_mul_i32 s6, s6, s8
	s_mul_hi_u32 s6, s8, s6
	s_add_i32 s8, s8, s6
	s_mul_hi_u32 s6, s5, s8
	s_mul_i32 s9, s6, s22
	s_sub_i32 s5, s5, s9
	s_add_i32 s8, s6, 1
	s_sub_i32 s9, s5, s22
	s_cmp_ge_u32 s5, s22
	s_cselect_b32 s6, s8, s6
	s_cselect_b32 s5, s9, s5
	s_add_i32 s8, s6, 1
	s_cmp_ge_u32 s5, s22
	s_cselect_b32 s6, s8, s6
	v_mov_b64_e32 v[2:3], s[6:7]
.LBB67_6:
	s_waitcnt lgkmcnt(0)
	s_mul_hi_u32 s5, s20, s16
	s_add_i32 s5, s5, s20
	v_mul_hi_u32 v1, v2, s16
	s_lshr_b32 s19, s5, s17
	v_add_u32_e32 v1, v1, v2
	s_mul_i32 s5, s19, s18
	v_lshrrev_b32_e32 v1, s17, v1
	s_cmp_eq_u32 s5, s20
	v_cmp_eq_u32_e64 s[6:7], s19, v1
	v_mul_lo_u32 v1, v1, s18
	v_cmp_eq_u32_e32 vcc, s20, v2
	s_cselect_b64 s[10:11], -1, 0
	v_cmp_ne_u32_e64 s[8:9], v1, v2
	s_and_b64 s[6:7], s[6:7], s[8:9]
	s_or_b64 s[8:9], vcc, s[10:11]
	s_or_b64 s[6:7], s[8:9], s[6:7]
	s_and_b64 vcc, exec, s[6:7]
	s_cbranch_vccnz .LBB67_24
; %bb.7:
	s_load_dwordx8 s[24:31], s[0:1], 0x20
	s_load_dword s5, s[0:1], 0x40
	s_waitcnt lgkmcnt(0)
	s_mul_hi_u32 s6, s20, s24
	s_add_i32 s6, s6, s20
	s_lshr_b32 s7, s6, s25
	s_mul_i32 s6, s7, s26
	s_sub_i32 s6, s20, s6
	s_mul_hi_u32 s8, s6, s27
	s_add_i32 s8, s6, s8
	s_lshr_b32 s23, s8, s28
	s_mul_i32 s8, s23, s29
	s_sub_i32 s6, s6, s8
	;; [unrolled: 5-line block ×3, first 2 shown]
	s_mul_hi_u32 s6, s5, s16
	s_add_i32 s5, s5, s6
	s_lshr_b32 s24, s5, s17
	s_lshl_b32 s5, s24, 2
	s_add_i32 s5, s5, s3
	s_cmp_lt_i32 s5, s12
	s_cselect_b64 s[8:9], -1, 0
	s_add_i32 s25, s25, s4
	s_cmp_lt_i32 s25, s14
	s_cselect_b64 s[10:11], -1, 0
	s_and_b64 s[8:9], s[8:9], s[10:11]
	s_andn2_b64 vcc, exec, s[8:9]
	s_mov_b32 s6, 0
	s_cbranch_vccnz .LBB67_24
; %bb.8:
	s_load_dwordx4 s[8:11], s[0:1], 0x0
	s_lshl_b32 s0, s22, 4
	s_mov_b32 s1, s6
	s_add_i32 s21, s3, s4
	s_lshl_b64 s[0:1], s[0:1], 2
	s_waitcnt lgkmcnt(0)
	s_add_u32 s4, s10, s0
	s_mul_i32 s0, s7, s12
	s_addc_u32 s5, s11, s1
	s_mul_i32 s23, s23, s14
	s_add_i32 s0, s0, s3
	s_mul_i32 s0, s0, s13
	s_add_i32 s3, s25, s23
	s_mul_i32 s1, s13, s24
	s_add_i32 s0, s3, s0
	s_mulk_i32 s1, 0x1c0
	s_mulk_i32 s0, 0x70
	s_add_i32 s1, s1, s0
	v_add_u32_e32 v4, s1, v0
	v_mov_b32_e32 v2, s8
	v_mov_b32_e32 v3, s9
	v_ashrrev_i32_e32 v5, 31, v4
	v_lshl_add_u64 v[2:3], v[4:5], 2, v[2:3]
	global_load_dword v5, v[2:3], off
	s_lshl_b32 s0, s2, 2
	s_add_i32 s0, s0, s21
	s_ashr_i32 s1, s0, 31
	s_lshl_b64 s[0:1], s[0:1], 3
	s_add_u32 s0, s10, s0
	s_addc_u32 s1, s11, s1
	s_add_i32 s12, s2, -1
	s_mul_i32 s2, s21, 0x70
	v_add_u32_e32 v4, s2, v0
	v_cvt_f32_u32_e32 v0, s22
	v_cvt_f32_ubyte0_e32 v1, 0
	s_load_dwordx2 s[0:1], s[0:1], 0x0
	v_mov_b32_e32 v8, s20
	v_fmac_f32_e32 v0, 0x4f800000, v1
	v_rcp_f32_e32 v0, v0
	v_cvt_f32_u32_e32 v1, s22
	s_waitcnt lgkmcnt(0)
	v_mov_b32_e32 v6, s1
	v_mov_b32_e32 v7, s0
	v_mul_f32_e32 v0, 0x5f7ffffc, v0
	v_rcp_iflag_f32_e32 v1, v1
	v_mul_f32_e32 v9, 0x2f800000, v0
	v_trunc_f32_e32 v10, v9
	v_fmac_f32_e32 v0, 0xcf800000, v10
	v_cvt_u32_f32_e32 v9, v0
	v_mul_f32_e32 v0, 0x4f7ffffe, v1
	v_cvt_u32_f32_e32 v10, v10
	v_cvt_u32_f32_e32 v11, v0
	s_mov_b32 s8, 0x3fb8aa3b
	s_mov_b32 s9, 0xc2ce8ed0
	;; [unrolled: 1-line block ×4, first 2 shown]
	v_mov_b32_e32 v12, 0x7f800000
	s_mul_hi_i32 s7, s12, s15
	s_cmp_lg_u64 s[6:7], 0
	s_mul_i32 s2, s12, s15
	s_cbranch_scc0 .LBB67_15
.LBB67_9:
	s_sub_u32 s0, 0, s22
	v_readfirstlane_b32 s3, v9
	v_readfirstlane_b32 s24, v10
	s_subb_u32 s1, 0, 0
	s_mul_hi_u32 s23, s0, s3
	s_mul_i32 s25, s0, s24
	s_mul_i32 s20, s1, s3
	s_add_i32 s23, s23, s25
	s_add_i32 s23, s23, s20
	s_mul_i32 s26, s0, s3
	s_mul_hi_u32 s20, s3, s23
	s_mul_i32 s25, s3, s23
	s_mul_hi_u32 s3, s3, s26
	s_add_u32 s3, s3, s25
	s_addc_u32 s20, 0, s20
	s_mul_hi_u32 s27, s24, s26
	s_mul_i32 s26, s24, s26
	s_add_u32 s3, s3, s26
	s_mul_hi_u32 s25, s24, s23
	s_addc_u32 s3, s20, s27
	s_addc_u32 s20, s25, 0
	s_mul_i32 s23, s24, s23
	s_add_u32 s3, s3, s23
	s_addc_u32 s20, 0, s20
	v_add_co_u32_e32 v0, vcc, s3, v9
	s_cmp_lg_u64 vcc, 0
	s_addc_u32 s3, s24, s20
	v_readfirstlane_b32 s23, v0
	s_mul_i32 s20, s0, s3
	s_mul_hi_u32 s24, s0, s23
	s_add_i32 s20, s24, s20
	s_mul_i32 s1, s1, s23
	s_add_i32 s20, s20, s1
	s_mul_i32 s0, s0, s23
	s_mul_hi_u32 s24, s3, s0
	s_mul_i32 s25, s3, s0
	s_mul_i32 s27, s23, s20
	s_mul_hi_u32 s0, s23, s0
	s_mul_hi_u32 s26, s23, s20
	s_add_u32 s0, s0, s27
	s_addc_u32 s23, 0, s26
	s_add_u32 s0, s0, s25
	s_mul_hi_u32 s1, s3, s20
	s_addc_u32 s0, s23, s24
	s_addc_u32 s1, s1, 0
	s_mul_i32 s20, s3, s20
	s_add_u32 s0, s0, s20
	s_addc_u32 s1, 0, s1
	v_add_co_u32_e32 v0, vcc, s0, v0
	s_cmp_lg_u64 vcc, 0
	s_addc_u32 s3, s3, s1
	s_ashr_i32 s0, s7, 31
	s_add_u32 s24, s2, s0
	s_mov_b32 s1, s0
	s_addc_u32 s25, s7, s0
	s_xor_b64 s[24:25], s[24:25], s[0:1]
	v_readfirstlane_b32 s20, v0
	s_mul_i32 s7, s24, s3
	s_mul_hi_u32 s23, s24, s20
	s_mul_hi_u32 s1, s24, s3
	s_add_u32 s7, s23, s7
	s_addc_u32 s1, 0, s1
	s_mul_hi_u32 s26, s25, s20
	s_mul_i32 s20, s25, s20
	s_add_u32 s7, s7, s20
	s_mul_hi_u32 s23, s25, s3
	s_addc_u32 s1, s1, s26
	s_addc_u32 s7, s23, 0
	s_mul_i32 s3, s25, s3
	s_add_u32 s1, s1, s3
	s_addc_u32 s3, 0, s7
	s_mul_i32 s3, s22, s3
	s_mul_hi_u32 s23, s22, s1
	s_add_i32 s23, s23, s3
	s_mul_i32 s3, s22, s1
	v_mov_b32_e32 v0, s3
	s_add_u32 s7, s1, 1
	s_add_u32 s20, s1, 2
	v_sub_co_u32_e32 v0, vcc, s24, v0
	s_cmp_lg_u64 vcc, 0
	s_subb_u32 s3, s25, s23
	v_subrev_co_u32_e32 v1, vcc, s22, v0
	s_cmp_lg_u64 vcc, 0
	s_subb_u32 s23, s3, 0
	v_cmp_le_u32_e32 vcc, s22, v1
	s_cmp_eq_u32 s23, 0
	v_mov_b32_e32 v13, s7
	v_cndmask_b32_e64 v1, 0, -1, vcc
	s_cselect_b64 vcc, -1, 0
	v_cndmask_b32_e32 v1, -1, v1, vcc
	v_mov_b32_e32 v14, s20
	v_cmp_ne_u32_e32 vcc, 0, v1
	s_cmp_eq_u32 s3, 0
	s_nop 0
	v_cndmask_b32_e32 v1, v13, v14, vcc
	v_cmp_le_u32_e32 vcc, s22, v0
	v_mov_b32_e32 v13, s1
	s_nop 0
	v_cndmask_b32_e64 v0, 0, -1, vcc
	s_cselect_b64 vcc, -1, 0
	v_cndmask_b32_e32 v0, -1, v0, vcc
	v_cmp_ne_u32_e32 vcc, 0, v0
	s_nop 1
	v_cndmask_b32_e32 v0, v13, v1, vcc
	v_xor_b32_e32 v0, s0, v0
	v_subrev_co_u32_e32 v0, vcc, s0, v0
	s_cbranch_execnz .LBB67_11
.LBB67_10:
	s_sub_i32 s0, 0, s22
	v_mul_lo_u32 v0, s0, v11
	v_mul_hi_u32 v0, v11, v0
	v_add_u32_e32 v0, v11, v0
	v_mul_hi_u32 v0, s2, v0
	v_mul_lo_u32 v13, v0, s22
	v_sub_u32_e32 v13, s2, v13
	v_add_u32_e32 v1, 1, v0
	v_subrev_u32_e32 v14, s22, v13
	v_cmp_le_u32_e32 vcc, s22, v13
	s_nop 1
	v_cndmask_b32_e32 v13, v13, v14, vcc
	v_cndmask_b32_e32 v0, v0, v1, vcc
	v_add_u32_e32 v1, 1, v0
	v_cmp_le_u32_e32 vcc, s22, v13
	s_nop 1
	v_cndmask_b32_e32 v0, v0, v1, vcc
.LBB67_11:
	v_cmp_ne_u32_e32 vcc, v8, v0
	s_cbranch_vccz .LBB67_14
; %bb.12:
	s_add_i32 s0, s12, s22
	s_lshl_b32 s0, s0, 2
	v_mul_hi_u32 v1, v0, s16
	s_add_i32 s0, s0, s21
	s_mov_b32 s1, s6
	v_add_u32_e32 v1, v1, v0
	s_lshl_b64 s[0:1], s[0:1], 3
	v_lshrrev_b32_e32 v1, s17, v1
	s_add_u32 s2, s10, s0
	v_mul_lo_u32 v13, v1, s18
	s_addc_u32 s3, s11, s1
	v_cmp_eq_u32_e32 vcc, v13, v0
	v_cmp_gt_u32_e64 s[0:1], s19, v1
	s_or_b64 s[0:1], s[0:1], vcc
	s_and_b64 vcc, exec, s[0:1]
	s_cbranch_vccnz .LBB67_16
; %bb.13:
	s_add_i32 s7, s12, -1
	s_mov_b64 s[0:1], 0
	s_branch .LBB67_17
.LBB67_14:
                                        ; implicit-def: $sgpr0_sgpr1
                                        ; implicit-def: $vgpr14
                                        ; implicit-def: $vgpr1
                                        ; implicit-def: $vgpr13
                                        ; implicit-def: $sgpr7
                                        ; implicit-def: $vgpr0
	s_branch .LBB67_18
.LBB67_15:
                                        ; implicit-def: $vgpr0_vgpr1
	s_branch .LBB67_10
.LBB67_16:
	s_mov_b64 s[0:1], -1
	s_mov_b32 s7, s12
	v_mov_b32_e32 v0, v8
.LBB67_17:
	s_mul_i32 s20, s12, 0x1c0
	v_add_u32_e32 v14, s20, v4
	v_ashrrev_i32_e32 v15, 31, v14
	v_lshl_add_u64 v[14:15], v[14:15], 2, s[4:5]
	global_load_dword v14, v[14:15], off
	s_load_dwordx2 s[2:3], s[2:3], 0x0
	v_max_f32_e32 v1, v7, v7
	s_waitcnt lgkmcnt(0)
	v_max_f32_e64 v13, s2, s2
	v_max_f32_e32 v1, v1, v13
	v_sub_f32_e32 v13, v7, v1
	v_sub_f32_e32 v15, s2, v1
	v_mul_f32_e32 v16, 0x3fb8aa3b, v13
	v_mul_f32_e32 v17, 0x3fb8aa3b, v15
	v_fma_f32 v18, v13, s8, -v16
	v_rndne_f32_e32 v19, v16
	v_fma_f32 v20, v15, s8, -v17
	v_rndne_f32_e32 v21, v17
	v_fmac_f32_e32 v18, 0x32a5705f, v13
	v_sub_f32_e32 v16, v16, v19
	v_fmac_f32_e32 v20, 0x32a5705f, v15
	v_sub_f32_e32 v17, v17, v21
	v_add_f32_e32 v16, v16, v18
	v_cvt_i32_f32_e32 v19, v19
	v_add_f32_e32 v17, v17, v20
	v_exp_f32_e32 v16, v16
	v_cvt_i32_f32_e32 v21, v21
	v_exp_f32_e32 v17, v17
	v_cmp_ngt_f32_e32 vcc, s9, v13
	v_ldexp_f32 v16, v16, v19
	v_ldexp_f32 v17, v17, v21
	v_cndmask_b32_e32 v16, 0, v16, vcc
	v_cmp_ngt_f32_e32 vcc, s9, v15
	s_nop 1
	v_cndmask_b32_e32 v17, 0, v17, vcc
	v_cmp_nlt_f32_e32 vcc, s13, v13
	s_nop 1
	v_cndmask_b32_e32 v16, v12, v16, vcc
	v_cmp_nlt_f32_e32 vcc, s13, v15
	s_nop 1
	v_cndmask_b32_e32 v17, v12, v17, vcc
	v_cmp_le_f32_e32 vcc, s14, v13
	s_nop 1
	v_cndmask_b32_e32 v16, 0, v16, vcc
	v_cmp_le_f32_e32 vcc, s14, v15
	s_nop 1
	v_cndmask_b32_e32 v15, 0, v17, vcc
	v_mul_f32_e32 v13, s3, v15
	v_fmac_f32_e32 v13, v6, v16
	s_waitcnt vmcnt(0)
	v_mul_f32_e32 v14, v14, v15
	v_fmac_f32_e32 v14, v5, v16
	s_cbranch_execnz .LBB67_19
.LBB67_18:
	s_add_i32 s7, s12, -1
	s_mov_b64 s[0:1], 0
	v_mov_b32_e32 v0, v8
	v_mov_b32_e32 v13, v6
	;; [unrolled: 1-line block ×3, first 2 shown]
	s_waitcnt vmcnt(0)
	v_mov_b32_e32 v14, v5
.LBB67_19:
	s_andn2_b64 vcc, exec, s[0:1]
	s_cbranch_vccz .LBB67_23
; %bb.20:
	v_mov_b32_e32 v8, v0
	s_mov_b32 s12, s7
	v_mov_b32_e32 v6, v13
	v_mov_b32_e32 v7, v1
	s_waitcnt vmcnt(0)
	v_mov_b32_e32 v5, v14
	s_mul_hi_i32 s7, s12, s15
	s_cmp_lg_u64 s[6:7], 0
	s_mul_i32 s2, s12, s15
	s_cbranch_scc1 .LBB67_9
	s_branch .LBB67_15
.LBB67_21:
                                        ; implicit-def: $sgpr20_sgpr21
	s_load_dwordx4 s[16:19], s[0:1], 0x44
	s_branch .LBB67_2
.LBB67_22:
                                        ; implicit-def: $vgpr2_vgpr3
	s_branch .LBB67_5
.LBB67_23:
	v_div_scale_f32 v0, s[0:1], v13, v13, v14
	v_rcp_f32_e32 v1, v0
	v_div_scale_f32 v4, vcc, v14, v13, v14
	s_waitcnt vmcnt(0)
	v_fma_f32 v5, -v0, v1, 1.0
	v_fmac_f32_e32 v1, v5, v1
	v_mul_f32_e32 v5, v4, v1
	v_fma_f32 v6, -v0, v5, v4
	v_fmac_f32_e32 v5, v6, v1
	v_fma_f32 v0, -v0, v5, v4
	v_div_fmas_f32 v0, v0, v1, v5
	v_div_fixup_f32 v0, v0, v13, v14
	global_store_dword v[2:3], v0, off
.LBB67_24:
	s_endpgm
	.section	.rodata,"a",@progbits
	.p2align	6, 0x0
	.amdhsa_kernel _ZL33flash_attn_stream_k_fixup_generalILi112ELi4ELi1EEvPfPK15HIP_vector_typeIfLj2EEiiiiS1_IjLj3EES5_S5_S5_
		.amdhsa_group_segment_fixed_size 0
		.amdhsa_private_segment_fixed_size 0
		.amdhsa_kernarg_size 336
		.amdhsa_user_sgpr_count 2
		.amdhsa_user_sgpr_dispatch_ptr 0
		.amdhsa_user_sgpr_queue_ptr 0
		.amdhsa_user_sgpr_kernarg_segment_ptr 1
		.amdhsa_user_sgpr_dispatch_id 0
		.amdhsa_user_sgpr_kernarg_preload_length 0
		.amdhsa_user_sgpr_kernarg_preload_offset 0
		.amdhsa_user_sgpr_private_segment_size 0
		.amdhsa_uses_dynamic_stack 0
		.amdhsa_enable_private_segment 0
		.amdhsa_system_sgpr_workgroup_id_x 1
		.amdhsa_system_sgpr_workgroup_id_y 1
		.amdhsa_system_sgpr_workgroup_id_z 1
		.amdhsa_system_sgpr_workgroup_info 0
		.amdhsa_system_vgpr_workitem_id 0
		.amdhsa_next_free_vgpr 22
		.amdhsa_next_free_sgpr 32
		.amdhsa_accum_offset 24
		.amdhsa_reserve_vcc 1
		.amdhsa_float_round_mode_32 0
		.amdhsa_float_round_mode_16_64 0
		.amdhsa_float_denorm_mode_32 3
		.amdhsa_float_denorm_mode_16_64 3
		.amdhsa_dx10_clamp 1
		.amdhsa_ieee_mode 1
		.amdhsa_fp16_overflow 0
		.amdhsa_tg_split 0
		.amdhsa_exception_fp_ieee_invalid_op 0
		.amdhsa_exception_fp_denorm_src 0
		.amdhsa_exception_fp_ieee_div_zero 0
		.amdhsa_exception_fp_ieee_overflow 0
		.amdhsa_exception_fp_ieee_underflow 0
		.amdhsa_exception_fp_ieee_inexact 0
		.amdhsa_exception_int_div_zero 0
	.end_amdhsa_kernel
	.section	.text._ZL33flash_attn_stream_k_fixup_generalILi112ELi4ELi1EEvPfPK15HIP_vector_typeIfLj2EEiiiiS1_IjLj3EES5_S5_S5_,"axG",@progbits,_ZL33flash_attn_stream_k_fixup_generalILi112ELi4ELi1EEvPfPK15HIP_vector_typeIfLj2EEiiiiS1_IjLj3EES5_S5_S5_,comdat
.Lfunc_end67:
	.size	_ZL33flash_attn_stream_k_fixup_generalILi112ELi4ELi1EEvPfPK15HIP_vector_typeIfLj2EEiiiiS1_IjLj3EES5_S5_S5_, .Lfunc_end67-_ZL33flash_attn_stream_k_fixup_generalILi112ELi4ELi1EEvPfPK15HIP_vector_typeIfLj2EEiiiiS1_IjLj3EES5_S5_S5_
                                        ; -- End function
	.section	.AMDGPU.csdata,"",@progbits
; Kernel info:
; codeLenInByte = 2860
; NumSgprs: 38
; NumVgprs: 22
; NumAgprs: 0
; TotalNumVgprs: 22
; ScratchSize: 0
; MemoryBound: 0
; FloatMode: 240
; IeeeMode: 1
; LDSByteSize: 0 bytes/workgroup (compile time only)
; SGPRBlocks: 4
; VGPRBlocks: 2
; NumSGPRsForWavesPerEU: 38
; NumVGPRsForWavesPerEU: 22
; AccumOffset: 24
; Occupancy: 8
; WaveLimiterHint : 0
; COMPUTE_PGM_RSRC2:SCRATCH_EN: 0
; COMPUTE_PGM_RSRC2:USER_SGPR: 2
; COMPUTE_PGM_RSRC2:TRAP_HANDLER: 0
; COMPUTE_PGM_RSRC2:TGID_X_EN: 1
; COMPUTE_PGM_RSRC2:TGID_Y_EN: 1
; COMPUTE_PGM_RSRC2:TGID_Z_EN: 1
; COMPUTE_PGM_RSRC2:TIDIG_COMP_CNT: 0
; COMPUTE_PGM_RSRC3_GFX90A:ACCUM_OFFSET: 5
; COMPUTE_PGM_RSRC3_GFX90A:TG_SPLIT: 0
	.section	.text._ZL15flash_attn_tileILi112ELi112ELi2ELi1ELb0EEvPKcS1_S1_S1_S1_PKiPfP15HIP_vector_typeIfLj2EEffffjfiS5_IjLj3EEiiiiiiiiiiiliiliiiiil,"axG",@progbits,_ZL15flash_attn_tileILi112ELi112ELi2ELi1ELb0EEvPKcS1_S1_S1_S1_PKiPfP15HIP_vector_typeIfLj2EEffffjfiS5_IjLj3EEiiiiiiiiiiiliiliiiiil,comdat
	.globl	_ZL15flash_attn_tileILi112ELi112ELi2ELi1ELb0EEvPKcS1_S1_S1_S1_PKiPfP15HIP_vector_typeIfLj2EEffffjfiS5_IjLj3EEiiiiiiiiiiiliiliiiiil ; -- Begin function _ZL15flash_attn_tileILi112ELi112ELi2ELi1ELb0EEvPKcS1_S1_S1_S1_PKiPfP15HIP_vector_typeIfLj2EEffffjfiS5_IjLj3EEiiiiiiiiiiiliiliiiiil
	.p2align	8
	.type	_ZL15flash_attn_tileILi112ELi112ELi2ELi1ELb0EEvPKcS1_S1_S1_S1_PKiPfP15HIP_vector_typeIfLj2EEffffjfiS5_IjLj3EEiiiiiiiiiiiliiliiiiil,@function
_ZL15flash_attn_tileILi112ELi112ELi2ELi1ELb0EEvPKcS1_S1_S1_S1_PKiPfP15HIP_vector_typeIfLj2EEffffjfiS5_IjLj3EEiiiiiiiiiiiliiliiiiil: ; @_ZL15flash_attn_tileILi112ELi112ELi2ELi1ELb0EEvPKcS1_S1_S1_S1_PKiPfP15HIP_vector_typeIfLj2EEffffjfiS5_IjLj3EEiiiiiiiiiiiliiliiiiil
; %bb.0:
	s_load_dwordx4 s[36:39], s[0:1], 0x5c
	s_load_dwordx2 s[10:11], s[0:1], 0x80
	s_load_dwordx16 s[16:31], s[0:1], 0x0
	s_load_dwordx2 s[44:45], s[0:1], 0xb8
	s_mov_b64 s[34:35], 0
	s_waitcnt lgkmcnt(0)
	v_cvt_f32_u32_e32 v1, s39
	s_sub_i32 s5, 0, s39
	v_rcp_iflag_f32_e32 v1, v1
	s_nop 0
	v_mul_f32_e32 v1, 0x4f7ffffe, v1
	v_cvt_u32_f32_e32 v1, v1
	s_nop 0
	v_readfirstlane_b32 s6, v1
	s_mul_i32 s5, s5, s6
	s_mul_hi_u32 s5, s6, s5
	s_add_i32 s6, s6, s5
	s_mul_hi_u32 s5, s4, s6
	s_mul_i32 s6, s5, s39
	s_sub_i32 s6, s4, s6
	s_add_i32 s7, s5, 1
	s_sub_i32 s8, s6, s39
	s_cmp_ge_u32 s6, s39
	s_cselect_b32 s5, s7, s5
	s_cselect_b32 s6, s8, s6
	s_add_i32 s7, s5, 1
	s_cmp_ge_u32 s6, s39
	s_cselect_b32 s33, s7, s5
	s_abs_i32 s5, s11
	v_cvt_f32_u32_e32 v1, s5
	s_sub_i32 s8, 0, s5
	s_abs_i32 s7, s39
	s_xor_b32 s6, s39, s11
	v_rcp_iflag_f32_e32 v1, v1
	s_ashr_i32 s6, s6, 31
	v_mul_f32_e32 v1, 0x4f7ffffe, v1
	v_cvt_u32_f32_e32 v1, v1
	v_mul_lo_u32 v2, s8, v1
	v_mul_hi_u32 v2, v1, v2
	v_add_u32_e32 v1, v1, v2
	v_mul_hi_u32 v1, s7, v1
	v_mul_lo_u32 v2, v1, s5
	v_sub_u32_e32 v2, s7, v2
	v_add_u32_e32 v3, 1, v1
	v_subrev_u32_e32 v4, s5, v2
	v_cmp_le_u32_e32 vcc, s5, v2
	s_nop 1
	v_cndmask_b32_e32 v1, v1, v3, vcc
	v_cndmask_b32_e32 v2, v2, v4, vcc
	v_add_u32_e32 v3, 1, v1
	v_cmp_le_u32_e32 vcc, s5, v2
	s_mul_i32 s5, s33, s39
	s_sub_i32 s14, s4, s5
	v_cndmask_b32_e32 v1, v1, v3, vcc
	v_xor_b32_e32 v1, s6, v1
	v_subrev_u32_e32 v2, s6, v1
	v_sub_u32_e32 v1, 0, v2
	v_max_i32_e32 v1, v2, v1
	v_cvt_f32_u32_e32 v3, v1
	v_sub_u32_e32 v4, 0, v1
	s_cmp_eq_u64 s[22:23], 0
	v_rcp_iflag_f32_e32 v3, v3
	s_nop 0
	v_mul_f32_e32 v3, 0x4f7ffffe, v3
	v_cvt_u32_f32_e32 v3, v3
	v_mul_lo_u32 v4, v4, v3
	v_mul_hi_u32 v4, v3, v4
	s_cbranch_scc1 .LBB68_2
; %bb.1:
	s_abs_i32 s6, s44
	v_cvt_f32_u32_e32 v5, s6
	s_sub_i32 s9, 0, s6
	s_abs_i32 s8, s33
	s_ashr_i32 s7, s33, 31
	v_rcp_iflag_f32_e32 v5, v5
	s_load_dwordx2 s[4:5], s[0:1], 0xc8
	v_mul_f32_e32 v5, 0x4f7ffffe, v5
	v_cvt_u32_f32_e32 v5, v5
	s_nop 0
	v_readfirstlane_b32 s11, v5
	s_mul_i32 s9, s9, s11
	s_mul_hi_u32 s9, s11, s9
	s_add_i32 s11, s11, s9
	s_mul_hi_u32 s9, s8, s11
	s_mul_i32 s9, s9, s6
	s_sub_i32 s8, s8, s9
	s_sub_i32 s9, s8, s6
	s_cmp_ge_u32 s8, s6
	s_cselect_b32 s8, s9, s8
	s_sub_i32 s9, s8, s6
	s_cmp_ge_u32 s8, s6
	s_cselect_b32 s6, s9, s8
	s_xor_b32 s6, s6, s7
	s_sub_i32 s6, s6, s7
	s_ashr_i32 s7, s6, 31
	s_waitcnt lgkmcnt(0)
	s_mul_i32 s5, s6, s5
	s_mul_hi_u32 s8, s6, s4
	s_add_i32 s5, s8, s5
	s_mul_i32 s7, s7, s4
	s_add_i32 s5, s5, s7
	s_mul_i32 s6, s6, s4
	s_add_u32 s34, s22, s6
	s_addc_u32 s35, s23, s5
.LBB68_2:
	s_load_dwordx4 s[40:43], s[0:1], 0x40
	s_load_dword s4, s[0:1], 0x50
	s_abs_i32 s22, s14
	v_add_u32_e32 v3, v3, v4
	v_mov_b32_e32 v80, 1.0
	s_waitcnt lgkmcnt(0)
	v_cmp_le_f32_e64 s[6:7], s41, 0
	s_and_b64 vcc, exec, s[6:7]
	s_cbranch_vccnz .LBB68_4
; %bb.3:
	s_sub_i32 s5, s14, s4
	s_lshl_b32 s5, s5, 1
	s_add_i32 s6, s14, 1
	s_or_b32 s7, s5, 1
	s_cmp_lt_u32 s14, s4
	s_cselect_b64 vcc, -1, 0
	s_and_b64 s[4:5], vcc, exec
	v_mov_b32_e32 v4, s43
	v_mov_b32_e32 v5, s42
	s_cselect_b32 s4, s6, s7
	v_cndmask_b32_e32 v20, v4, v5, vcc
	v_cvt_f32_i32_e32 v4, s4
	v_cmp_neq_f32_e32 vcc, 1.0, v20
	s_mov_b32 s4, 0x3f2aaaab
	s_movk_i32 s6, 0x204
	v_cndmask_b32_e32 v21, 1.0, v4, vcc
	v_cmp_eq_f32_e32 vcc, 0, v21
	s_mov_b32 s8, 0x42b17218
	s_mov_b32 s7, 0x7f800000
	v_cndmask_b32_e64 v22, |v20|, 1.0, vcc
	v_frexp_mant_f32_e32 v4, v22
	v_cmp_gt_f32_e64 s[4:5], s4, v4
	s_brev_b32 s11, -2
	s_nop 0
	v_cndmask_b32_e64 v5, 1.0, 2.0, s[4:5]
	v_mul_f32_e32 v4, v4, v5
	v_add_f32_e32 v7, 1.0, v4
	v_rcp_f32_e32 v12, v7
	v_add_f32_e32 v5, -1.0, v7
	v_sub_f32_e32 v9, v4, v5
	v_add_f32_e32 v5, -1.0, v4
	v_mul_f32_e32 v13, v5, v12
	v_mul_f32_e32 v6, v7, v13
	v_fma_f32 v8, v13, v7, -v6
	v_fmac_f32_e32 v8, v13, v9
	v_add_f32_e32 v4, v6, v8
	v_sub_f32_e32 v7, v5, v4
	v_pk_add_f32 v[10:11], v[4:5], v[6:7] neg_lo:[0,1] neg_hi:[0,1]
	v_mov_b32_e32 v9, v4
	v_pk_add_f32 v[4:5], v[10:11], v[8:9] neg_lo:[0,1] neg_hi:[0,1]
	v_mov_b32_e32 v8, 0x3e91f4c4
	v_add_f32_e32 v4, v4, v5
	v_add_f32_e32 v4, v7, v4
	v_mul_f32_e32 v5, v12, v4
	v_add_f32_e32 v4, v13, v5
	v_sub_f32_e32 v6, v4, v13
	v_sub_f32_e32 v14, v5, v6
	v_mul_f32_e32 v5, v4, v4
	v_fma_f32 v7, v4, v4, -v5
	v_add_f32_e32 v6, v14, v14
	v_fmac_f32_e32 v7, v4, v6
	v_add_f32_e32 v6, v5, v7
	v_fmac_f32_e32 v8, 0x3e76c4e1, v6
	v_fmaak_f32 v8, v6, v8, 0x3ecccdef
	v_sub_f32_e32 v5, v6, v5
	v_sub_f32_e32 v15, v7, v5
	v_mul_f32_e32 v5, v6, v8
	v_fma_f32 v7, v6, v8, -v5
	v_fmac_f32_e32 v7, v15, v8
	v_add_f32_e32 v8, v5, v7
	v_add_f32_e32 v9, 0x3f2aaaaa, v8
	v_sub_f32_e32 v5, v8, v5
	v_sub_f32_e32 v5, v7, v5
	v_add_f32_e32 v7, 0xbf2aaaaa, v9
	v_add_f32_e32 v5, 0x31739010, v5
	v_sub_f32_e32 v7, v8, v7
	v_pk_mul_f32 v[10:11], v[4:5], v[6:7]
	v_pk_add_f32 v[12:13], v[4:5], v[6:7]
	v_fma_f32 v8, v6, v4, -v10
	v_fmac_f32_e32 v8, v6, v14
	v_mov_b32_e32 v11, v13
	v_fmac_f32_e32 v8, v15, v4
	v_pk_add_f32 v[6:7], v[10:11], v[8:9]
	v_ldexp_f32 v16, v14, 1
	v_sub_f32_e32 v5, v6, v10
	v_sub_f32_e32 v5, v8, v5
	;; [unrolled: 1-line block ×3, first 2 shown]
	v_add_f32_e32 v11, v13, v8
	v_mov_b32_e32 v8, v7
	v_pk_mul_f32 v[8:9], v[6:7], v[8:9]
	v_cvt_f64_f32_e32 v[12:13], v22
	v_frexp_exp_i32_f64_e32 v9, v[12:13]
	v_subbrev_co_u32_e64 v9, s[4:5], 0, v9, s[4:5]
	v_cvt_f32_i32_e32 v9, v9
	v_fma_f32 v10, v6, v7, -v8
	v_fmac_f32_e32 v10, v6, v11
	s_mov_b32 s4, 0x3f317218
	v_mul_f32_e32 v6, 0x3f317218, v9
	v_fmac_f32_e32 v10, v5, v7
	v_fma_f32 v5, v9, s4, -v6
	v_fmamk_f32 v12, v9, 0xb102e308, v5
	v_ldexp_f32 v13, v4, 1
	v_add_f32_e32 v7, v8, v10
	v_pk_add_f32 v[4:5], v[6:7], v[12:13]
	v_mov_b32_e32 v14, v7
	v_mov_b32_e32 v15, v5
	;; [unrolled: 1-line block ×3, first 2 shown]
	v_pk_add_f32 v[8:9], v[14:15], v[8:9] neg_lo:[0,1] neg_hi:[0,1]
	v_mov_b32_e32 v11, v7
	v_pk_add_f32 v[8:9], v[10:11], v[8:9] neg_lo:[0,1] neg_hi:[0,1]
	v_mov_b32_e32 v13, v4
	v_add_f32_e32 v7, v16, v8
	v_add_f32_e32 v7, v7, v9
	v_pk_add_f32 v[8:9], v[4:5], v[6:7] neg_lo:[0,1] neg_hi:[0,1]
	v_pk_add_f32 v[10:11], v[4:5], v[6:7]
	v_mov_b32_e32 v14, v8
	v_mov_b32_e32 v15, v11
	v_pk_add_f32 v[14:15], v[12:13], v[14:15]
	v_pk_add_f32 v[8:9], v[12:13], v[8:9] neg_lo:[0,1] neg_hi:[0,1]
	v_mov_b32_e32 v6, v15
	v_pk_add_f32 v[16:17], v[6:7], v[4:5] neg_lo:[0,1] neg_hi:[0,1]
	v_mov_b32_e32 v14, v11
	v_mov_b32_e32 v17, v16
	;; [unrolled: 1-line block ×4, first 2 shown]
	v_pk_add_f32 v[18:19], v[10:11], v[16:17] neg_lo:[0,1] neg_hi:[0,1]
	v_pk_add_f32 v[4:5], v[14:15], v[4:5] neg_lo:[0,1] neg_hi:[0,1]
	v_mov_b32_e32 v12, v7
	v_pk_add_f32 v[4:5], v[12:13], v[4:5] neg_lo:[0,1] neg_hi:[0,1]
	v_mov_b32_e32 v18, v8
	v_pk_add_f32 v[10:11], v[18:19], v[4:5]
	v_mov_b32_e32 v9, v15
	v_mov_b32_e32 v12, v11
	v_pk_add_f32 v[12:13], v[10:11], v[12:13]
	s_nop 0
	v_pk_add_f32 v[6:7], v[6:7], v[12:13]
	v_mov_b32_e32 v5, v12
	v_mov_b32_e32 v11, v6
	v_pk_add_f32 v[14:15], v[10:11], v[8:9] neg_lo:[0,1] neg_hi:[0,1]
	s_nop 0
	v_sub_f32_e32 v7, v10, v14
	v_pk_add_f32 v[4:5], v[4:5], v[14:15] neg_lo:[0,1] neg_hi:[0,1]
	v_sub_f32_e32 v7, v8, v7
	v_add_f32_e32 v4, v4, v7
	v_add_f32_e32 v4, v4, v5
	;; [unrolled: 1-line block ×3, first 2 shown]
	v_sub_f32_e32 v6, v5, v6
	v_sub_f32_e32 v4, v4, v6
	v_mul_f32_e32 v6, v21, v5
	v_fma_f32 v5, v21, v5, -v6
	v_fmac_f32_e32 v5, v21, v4
	v_add_f32_e32 v4, v6, v5
	v_cmp_class_f32_e64 s[4:5], v6, s6
	v_sub_f32_e32 v7, v4, v6
	v_sub_f32_e32 v5, v5, v7
	v_cndmask_b32_e64 v4, v4, v6, s[4:5]
	v_mov_b32_e32 v6, 0x37000000
	v_cmp_eq_f32_e64 s[4:5], s8, v4
	s_nop 1
	v_cndmask_b32_e64 v6, 0, v6, s[4:5]
	v_sub_f32_e32 v7, v4, v6
	s_mov_b32 s4, 0x3fb8aa3b
	v_mul_f32_e32 v8, 0x3fb8aa3b, v7
	v_fma_f32 v9, v7, s4, -v8
	v_rndne_f32_e32 v10, v8
	v_fmamk_f32 v9, v7, 0x32a5705f, v9
	v_sub_f32_e32 v8, v8, v10
	v_add_f32_e32 v8, v8, v9
	v_exp_f32_e32 v8, v8
	v_cvt_i32_f32_e32 v9, v10
	v_cmp_neq_f32_e64 s[4:5], |v4|, s7
	s_nop 1
	v_cndmask_b32_e64 v4, 0, v5, s[4:5]
	s_mov_b32 s4, 0xc2ce8ed0
	v_ldexp_f32 v5, v8, v9
	v_cmp_ngt_f32_e64 s[4:5], s4, v7
	v_add_f32_e32 v4, v6, v4
	v_mov_b32_e32 v6, 0x7f800000
	v_cndmask_b32_e64 v5, 0, v5, s[4:5]
	v_cmp_nlt_f32_e64 s[4:5], s8, v7
	v_trunc_f32_e32 v7, v21
	v_mov_b32_e32 v8, 0x7fc00000
	v_cndmask_b32_e64 v5, v6, v5, s[4:5]
	v_fma_f32 v4, v5, v4, v5
	v_cmp_class_f32_e64 s[4:5], v5, s6
	v_cmp_gt_f32_e64 s[8:9], 0, v21
	s_nop 0
	v_cndmask_b32_e64 v4, v4, v5, s[4:5]
	v_cndmask_b32_e64 v5, v20, 1.0, vcc
	v_cmp_eq_f32_e32 vcc, v7, v21
	v_mul_f32_e32 v7, 0.5, v21
	v_trunc_f32_e32 v9, v7
	v_cmp_neq_f32_e64 s[4:5], v9, v7
	s_and_b64 s[4:5], vcc, s[4:5]
	s_nop 0
	v_cndmask_b32_e64 v7, 1.0, v5, s[4:5]
	v_bfi_b32 v4, s11, v4, v7
	v_cndmask_b32_e32 v7, v8, v4, vcc
	v_cmp_gt_f32_e32 vcc, 0, v5
	s_nop 1
	v_cndmask_b32_e32 v4, v4, v7, vcc
	v_cmp_eq_f32_e32 vcc, s7, v22
	v_cmp_eq_f32_e64 s[6:7], 0, v5
	s_xor_b64 s[8:9], s[8:9], s[6:7]
	v_cndmask_b32_e64 v6, v6, 0, s[8:9]
	v_cndmask_b32_e64 v7, 0, v5, s[4:5]
	v_bfi_b32 v6, s11, v6, v7
	s_or_b64 vcc, vcc, s[6:7]
	v_cndmask_b32_e32 v4, v4, v6, vcc
	v_cmp_o_f32_e32 vcc, v5, v5
	s_nop 1
	v_cndmask_b32_e32 v80, v8, v4, vcc
.LBB68_4:
	s_lshl_b32 s4, s2, 1
	v_bfe_u32 v77, v0, 10, 10
	v_and_b32_e32 v40, 0x3ff, v0
	v_mul_hi_u32 v3, s22, v3
	v_cmp_gt_u32_e64 s[12:13], 28, v40
	v_add_u32_e32 v41, s4, v77
	s_and_saveexec_b64 s[4:5], s[12:13]
	s_cbranch_execz .LBB68_6
; %bb.5:
	s_load_dwordx4 s[48:51], s[0:1], 0x70
	v_mul_hi_u32 v0, s36, v41
	v_add_u32_e32 v0, v41, v0
	v_lshrrev_b32_e32 v0, s37, v0
	v_mul_lo_u32 v0, v0, s38
	s_waitcnt lgkmcnt(0)
	s_mul_i32 s6, s33, s50
	s_ashr_i32 s8, s6, 31
	s_mul_i32 s7, s14, s49
	s_add_u32 s6, s16, s6
	s_addc_u32 s8, s17, s8
	s_ashr_i32 s9, s7, 31
	s_add_u32 s6, s6, s7
	s_addc_u32 s7, s8, s9
	v_sub_u32_e32 v6, v41, v0
	s_ashr_i32 s11, s48, 31
	v_mov_b32_e32 v0, s48
	v_alignbit_b32 v0, s11, v0, 2
	v_mad_u64_u32 v[4:5], s[8:9], v0, v6, 0
	v_mov_b32_e32 v0, v5
	s_lshr_b32 s8, s11, 2
	v_mad_u64_u32 v[6:7], s[8:9], s8, v6, v[0:1]
	v_mov_b32_e32 v5, v6
	v_lshl_add_u64 v[4:5], v[4:5], 2, s[6:7]
	v_lshlrev_b32_e32 v6, 4, v40
	v_mov_b32_e32 v7, 0
	v_lshl_add_u64 v[4:5], v[4:5], 0, v[6:7]
	global_load_dwordx4 v[4:7], v[4:5], off
	v_mul_u32_u24_e32 v0, 56, v77
	s_waitcnt vmcnt(0)
	v_pk_mul_f32 v[4:5], v[4:5], s[40:41] op_sel_hi:[1,0]
	v_pk_mul_f32 v[6:7], v[6:7], s[40:41] op_sel_hi:[1,0]
	v_cvt_f16_f32_e32 v8, v5
	v_cvt_f16_f32_e32 v5, v7
	;; [unrolled: 1-line block ×4, first 2 shown]
	v_lshlrev_b32_e32 v7, 1, v40
	v_add_lshl_u32 v0, v0, v7, 2
	v_pack_b32_f16 v5, v6, v5
	v_pack_b32_f16 v4, v4, v8
	ds_write_b64 v0, v[4:5] offset:4160
.LBB68_6:
	s_or_b64 exec, exec, s[4:5]
	s_ashr_i32 s15, s14, 31
	v_ashrrev_i32_e32 v0, 31, v2
	s_cmp_eq_u64 s[26:27], 0
	s_waitcnt lgkmcnt(0)
	; wave barrier
	s_waitcnt lgkmcnt(0)
	s_cbranch_scc1 .LBB68_8
; %bb.7:
	s_load_dword s4, s[0:1], 0xd0
	s_mov_b32 s5, 0
	s_waitcnt lgkmcnt(0)
	s_mul_i32 s4, s4, s33
	s_add_i32 s4, s4, s2
	s_lshl_b64 s[4:5], s[4:5], 2
	s_add_u32 s4, s26, s4
	s_addc_u32 s5, s27, s5
	s_load_dword s10, s[4:5], 0x0
.LBB68_8:
	v_mul_lo_u32 v2, v3, v1
	s_load_dwordx2 s[8:9], s[0:1], 0x8c
	s_load_dwordx4 s[4:7], s[0:1], 0x98
	s_load_dwordx2 s[16:17], s[0:1], 0xa8
	v_sub_u32_e32 v2, s22, v2
	v_add_u32_e32 v4, 1, v3
	v_sub_u32_e32 v5, v2, v1
	v_cmp_ge_u32_e32 vcc, v2, v1
	s_waitcnt lgkmcnt(0)
	s_ashr_i32 s11, s8, 2
	s_ashr_i32 s2, s6, 2
	v_cndmask_b32_e32 v3, v3, v4, vcc
	v_cndmask_b32_e32 v2, v2, v5, vcc
	v_add_u32_e32 v4, 1, v3
	v_cmp_ge_u32_e32 vcc, v2, v1
	s_ashr_i32 s6, s33, 31
	s_mul_i32 s5, s33, s5
	s_mul_hi_u32 s8, s33, s4
	v_xor_b32_e32 v0, s15, v0
	v_cndmask_b32_e32 v1, v3, v4, vcc
	s_add_i32 s5, s8, s5
	s_mul_i32 s8, s6, s4
	v_xor_b32_e32 v1, v1, v0
	s_ashr_i32 s23, s45, 1
	s_add_i32 s5, s5, s8
	s_mul_i32 s4, s33, s4
	v_sub_u32_e32 v2, v1, v0
	s_add_u32 s4, s18, s4
	v_mul_lo_u32 v0, v2, s9
	s_addc_u32 s5, s19, s5
	v_ashrrev_i32_e32 v1, 31, v0
	v_lshl_add_u64 v[44:45], s[4:5], 0, v[0:1]
	s_mul_i32 s4, s33, s17
	s_mul_hi_u32 s5, s33, s16
	s_add_i32 s4, s5, s4
	s_mul_i32 s6, s6, s16
	s_add_i32 s5, s4, s6
	s_mul_i32 s4, s33, s16
	s_add_u32 s4, s20, s4
	v_mul_lo_u32 v0, v2, s7
	s_addc_u32 s5, s21, s5
	v_ashrrev_i32_e32 v1, 31, v0
	s_lshl_b32 s22, s3, 5
	s_sub_i32 s26, s10, 32
	v_lshl_add_u64 v[42:43], s[4:5], 0, v[0:1]
	s_cmp_ge_i32 s22, s26
	v_mov_b32_e32 v75, 0
	v_lshl_add_u32 v87, v77, 5, v40
	v_lshlrev_b32_e32 v83, 7, v40
	v_lshrrev_b32_e32 v86, 1, v40
	v_lshlrev_b32_e32 v78, 2, v40
	v_lshrrev_b32_e32 v85, 2, v40
	v_lshrrev_b32_e32 v79, 3, v40
	v_lshlrev_b32_e32 v74, 3, v40
	v_mbcnt_lo_u32_b32 v81, -1, 0
	s_cbranch_scc1 .LBB68_23
; %bb.9:
	s_movk_i32 s8, 0xe0
	v_mov_b32_e32 v6, 0x1040
	v_mad_u32_u24 v91, v77, s8, v6
	v_mul_hi_u32 v6, s36, v41
	v_add_u32_e32 v6, v41, v6
	v_lshl_add_u32 v1, v77, 4, v86
	v_and_b32_e32 v0, 4, v78
	v_lshrrev_b32_e32 v6, s37, v6
	v_lshlrev_b32_e32 v2, 7, v1
	v_lshlrev_b32_e32 v3, 2, v0
	v_mul_lo_u32 v6, v6, s38
	v_or3_b32 v88, v2, v3, 64
	v_and_b32_e32 v2, 12, v78
	v_sub_u32_e32 v6, v41, v6
	v_lshl_add_u32 v4, v77, 3, v85
	v_lshlrev_b32_e32 v5, 2, v2
	v_mad_u64_u32 v[56:57], s[6:7], v6, s23, v[40:41]
	v_mov_b32_e32 v6, 0x1200
	v_lshl_or_b32 v89, v4, 7, v5
	v_mul_lo_u32 v50, s11, v4
	v_lshl_add_u32 v57, v77, 6, v6
	v_mul_u32_u24_e32 v6, 0xe0, v4
	v_mul_lo_u32 v58, s2, v4
	v_mul_u32_u24_e32 v4, 0xe0, v1
	v_lshl_add_u32 v7, v77, 2, v79
	v_or_b32_e32 v3, v4, v3
	v_and_b32_e32 v4, 28, v78
	v_mul_lo_u32 v46, s11, v1
	s_cmp_lg_u64 s[34:35], 0
	v_cmp_gt_u32_e64 s[6:7], 16, v1
	v_mul_lo_u32 v60, s2, v7
	v_mul_lo_u32 v64, s2, v1
	v_lshlrev_b32_e32 v1, 2, v4
	v_mov_b32_e32 v49, 0
	v_lshl_add_u32 v52, s11, 4, v50
	v_mul_lo_u32 v54, s11, v87
	s_cselect_b64 s[16:17], -1, 0
	v_lshl_add_u32 v62, s2, 3, v60
	s_movk_i32 s9, 0x80
	v_mad_u32_u24 v96, v7, s8, v1
	s_add_u32 s18, s0, 0xd0
	v_lshlrev_b32_e32 v66, 2, v0
	v_cmp_gt_u32_e64 s[4:5], 32, v87
	v_ashrrev_i32_e32 v47, 31, v46
	v_ashrrev_i32_e32 v51, 31, v50
	v_add_u32_e32 v90, 0x800, v89
	v_ashrrev_i32_e32 v53, 31, v52
	v_ashrrev_i32_e32 v55, 31, v54
	v_or_b32_e32 v92, 0x60, v83
	v_lshl_add_u32 v93, v40, 1, v57
	v_ashrrev_i32_e32 v59, 31, v58
	v_ashrrev_i32_e32 v61, 31, v60
	;; [unrolled: 1-line block ×3, first 2 shown]
	v_add_u32_e32 v94, 0xc0, v3
	v_ashrrev_i32_e32 v65, 31, v64
	v_add3_u32 v95, v6, v5, s9
	v_add_u32_e32 v97, 0x700, v96
	s_addc_u32 s19, s1, 0
	v_mov_b32_e32 v8, 0xfeffffff
	v_lshlrev_b32_e32 v48, 2, v2
	v_mbcnt_hi_u32_b32 v98, -1, v81
	s_mov_b32 s27, 0x3fb8aa3b
	s_mov_b32 s40, 0xc2ce8ed0
	;; [unrolled: 1-line block ×3, first 2 shown]
	v_lshlrev_b32_e32 v68, 2, v4
	v_mov_b32_e32 v70, v66
	v_mov_b32_e32 v71, v49
	;; [unrolled: 1-line block ×6, first 2 shown]
.LBB68_10:                              ; =>This Inner Loop Header: Depth=1
	s_mul_hi_i32 s9, s22, s11
	s_mul_i32 s8, s22, s11
	s_lshl_b64 s[8:9], s[8:9], 2
	v_lshl_add_u64 v[6:7], v[44:45], 0, s[8:9]
	v_lshl_add_u64 v[0:1], v[54:55], 2, v[6:7]
	s_and_saveexec_b64 s[8:9], s[4:5]
	s_cbranch_execz .LBB68_12
; %bb.11:                               ;   in Loop: Header=BB68_10 Depth=1
	global_load_dwordx4 v[2:5], v[0:1], off offset:96
	s_waitcnt vmcnt(0)
	ds_write_b128 v92, v[2:5]
.LBB68_12:                              ;   in Loop: Header=BB68_10 Depth=1
	s_or_b64 exec, exec, s[8:9]
	v_lshl_add_u64 v[4:5], v[46:47], 2, v[6:7]
	v_lshl_add_u64 v[2:3], v[4:5], 0, v[70:71]
	global_load_dwordx4 v[10:13], v[2:3], off offset:64
	v_lshl_add_u64 v[2:3], v[50:51], 2, v[6:7]
	v_lshl_add_u64 v[2:3], v[2:3], 0, v[48:49]
	;; [unrolled: 1-line block ×4, first 2 shown]
	global_load_dwordx4 v[14:17], v[2:3], off
	global_load_dwordx4 v[18:21], v[6:7], off
	v_mov_b32_e32 v9, v49
	s_waitcnt vmcnt(2)
	ds_write_b128 v88, v[10:13]
	s_waitcnt vmcnt(1)
	ds_write_b128 v89, v[14:17]
	;; [unrolled: 2-line block ×3, first 2 shown]
	s_waitcnt lgkmcnt(0)
	; wave barrier
	s_waitcnt lgkmcnt(0)
	ds_read_b128 v[10:13], v83
	ds_read_b128 v[14:17], v91
	s_waitcnt lgkmcnt(0)
	;;#ASMSTART
	v_dot2_f32_f16 v9, v10, v14, v9
	;;#ASMEND
	s_nop 0
	;;#ASMSTART
	v_dot2_f32_f16 v9, v11, v15, v9
	;;#ASMEND
	s_nop 0
	;;#ASMSTART
	v_dot2_f32_f16 v9, v12, v16, v9
	;;#ASMEND
	s_nop 0
	;;#ASMSTART
	v_dot2_f32_f16 v9, v13, v17, v9
	;;#ASMEND
	ds_read_b128 v[10:13], v83 offset:16
	ds_read_b128 v[14:17], v91 offset:16
	s_waitcnt lgkmcnt(0)
	;;#ASMSTART
	v_dot2_f32_f16 v9, v10, v14, v9
	;;#ASMEND
	s_nop 0
	;;#ASMSTART
	v_dot2_f32_f16 v9, v11, v15, v9
	;;#ASMEND
	s_nop 0
	;;#ASMSTART
	v_dot2_f32_f16 v9, v12, v16, v9
	;;#ASMEND
	s_nop 0
	;;#ASMSTART
	v_dot2_f32_f16 v9, v13, v17, v9
	;;#ASMEND
	ds_read_b128 v[10:13], v83 offset:32
	ds_read_b128 v[14:17], v91 offset:32
	;; [unrolled: 18-line block ×6, first 2 shown]
	s_waitcnt lgkmcnt(0)
	;;#ASMSTART
	v_dot2_f32_f16 v9, v10, v14, v9
	;;#ASMEND
	s_nop 0
	;;#ASMSTART
	v_dot2_f32_f16 v9, v11, v15, v9
	;;#ASMEND
	s_nop 0
	;; [unrolled: 4-line block ×3, first 2 shown]
	;;#ASMSTART
	v_dot2_f32_f16 v9, v13, v17, v9
	;;#ASMEND
	s_waitcnt lgkmcnt(0)
	; wave barrier
	s_and_saveexec_b64 s[8:9], s[4:5]
	s_cbranch_execz .LBB68_14
; %bb.13:                               ;   in Loop: Header=BB68_10 Depth=1
	global_load_dwordx4 v[10:13], v[0:1], off offset:208
	s_waitcnt vmcnt(0)
	ds_write_b128 v92, v[10:13]
.LBB68_14:                              ;   in Loop: Header=BB68_10 Depth=1
	s_or_b64 exec, exec, s[8:9]
	v_mov_b32_e32 v67, v49
	v_lshl_add_u64 v[0:1], v[4:5], 0, v[66:67]
	global_load_dwordx4 v[10:13], v[0:1], off offset:176
	global_load_dwordx4 v[14:17], v[2:3], off offset:112
	;; [unrolled: 1-line block ×3, first 2 shown]
	s_andn2_b64 vcc, exec, s[16:17]
	s_waitcnt vmcnt(2)
	ds_write_b128 v88, v[10:13]
	s_waitcnt vmcnt(1)
	ds_write_b128 v89, v[14:17]
	;; [unrolled: 2-line block ×3, first 2 shown]
	s_waitcnt lgkmcnt(0)
	; wave barrier
	s_waitcnt lgkmcnt(0)
	ds_read_b128 v[0:3], v83
	ds_read_b128 v[4:7], v91 offset:112
	s_waitcnt lgkmcnt(0)
	;;#ASMSTART
	v_dot2_f32_f16 v9, v0, v4, v9
	;;#ASMEND
	s_nop 0
	;;#ASMSTART
	v_dot2_f32_f16 v9, v1, v5, v9
	;;#ASMEND
	s_nop 0
	;;#ASMSTART
	v_dot2_f32_f16 v9, v2, v6, v9
	;;#ASMEND
	s_nop 0
	;;#ASMSTART
	v_dot2_f32_f16 v9, v3, v7, v9
	;;#ASMEND
	ds_read_b128 v[0:3], v83 offset:16
	ds_read_b128 v[4:7], v91 offset:128
	s_waitcnt lgkmcnt(0)
	;;#ASMSTART
	v_dot2_f32_f16 v9, v0, v4, v9
	;;#ASMEND
	s_nop 0
	;;#ASMSTART
	v_dot2_f32_f16 v9, v1, v5, v9
	;;#ASMEND
	s_nop 0
	;;#ASMSTART
	v_dot2_f32_f16 v9, v2, v6, v9
	;;#ASMEND
	s_nop 0
	;;#ASMSTART
	v_dot2_f32_f16 v9, v3, v7, v9
	;;#ASMEND
	ds_read_b128 v[0:3], v83 offset:32
	;; [unrolled: 18-line block ×6, first 2 shown]
	ds_read_b128 v[4:7], v91 offset:208
	s_waitcnt lgkmcnt(0)
	;;#ASMSTART
	v_dot2_f32_f16 v9, v0, v4, v9
	;;#ASMEND
	s_nop 0
	;;#ASMSTART
	v_dot2_f32_f16 v9, v1, v5, v9
	;;#ASMEND
	s_nop 0
	;; [unrolled: 4-line block ×3, first 2 shown]
	;;#ASMSTART
	v_dot2_f32_f16 v9, v3, v7, v9
	;;#ASMEND
	s_cbranch_vccnz .LBB68_16
; %bb.15:                               ;   in Loop: Header=BB68_10 Depth=1
	v_add_u32_e32 v0, s22, v56
	v_ashrrev_i32_e32 v1, 31, v0
	v_lshl_add_u64 v[0:1], v[0:1], 1, s[34:35]
	flat_load_ushort v0, v[0:1]
	s_waitcnt vmcnt(0) lgkmcnt(0)
	v_cvt_f32_f16_e32 v0, v0
	v_mul_f32_e32 v0, v80, v0
	s_branch .LBB68_17
.LBB68_16:                              ;   in Loop: Header=BB68_10 Depth=1
	v_mov_b32_e32 v0, 0
.LBB68_17:                              ;   in Loop: Header=BB68_10 Depth=1
	v_add_f32_e32 v0, v9, v0
	v_add_f32_e32 v1, 0x40051340, v0
	v_max_f32_e32 v2, v8, v8
	v_max_f32_e32 v1, v2, v1
	v_and_b32_e32 v2, 0x60, v98
	v_add_u32_e32 v2, 32, v2
	v_xor_b32_e32 v3, 16, v98
	v_cmp_lt_i32_e32 vcc, v3, v2
	s_mul_hi_i32 s9, s22, s2
	s_mul_i32 s8, s22, s2
	v_cndmask_b32_e32 v3, v98, v3, vcc
	v_lshlrev_b32_e32 v3, 2, v3
	ds_bpermute_b32 v3, v3, v1
	s_lshl_b64 s[8:9], s[8:9], 2
	s_waitcnt lgkmcnt(0)
	; wave barrier
	s_waitcnt lgkmcnt(0)
	v_max_f32_e32 v3, v3, v3
	v_max_f32_e32 v1, v1, v3
	v_xor_b32_e32 v3, 8, v98
	v_cmp_lt_i32_e32 vcc, v3, v2
	s_nop 1
	v_cndmask_b32_e32 v3, v98, v3, vcc
	v_lshlrev_b32_e32 v3, 2, v3
	ds_bpermute_b32 v3, v3, v1
	s_waitcnt lgkmcnt(0)
	v_max_f32_e32 v3, v3, v3
	v_max_f32_e32 v1, v1, v3
	v_xor_b32_e32 v3, 4, v98
	v_cmp_lt_i32_e32 vcc, v3, v2
	s_nop 1
	v_cndmask_b32_e32 v3, v98, v3, vcc
	v_lshlrev_b32_e32 v3, 2, v3
	ds_bpermute_b32 v3, v3, v1
	;; [unrolled: 9-line block ×4, first 2 shown]
	s_waitcnt lgkmcnt(0)
	v_max_f32_e32 v2, v2, v2
	v_max_f32_e32 v84, v1, v2
	v_sub_f32_e32 v0, v0, v84
	v_mul_f32_e32 v1, 0x3fb8aa3b, v0
	v_fma_f32 v2, v0, s27, -v1
	v_rndne_f32_e32 v3, v1
	v_fmac_f32_e32 v2, 0x32a5705f, v0
	v_sub_f32_e32 v1, v1, v3
	v_add_f32_e32 v1, v1, v2
	v_exp_f32_e32 v1, v1
	v_cvt_i32_f32_e32 v2, v3
	v_cmp_ngt_f32_e32 vcc, s40, v0
	v_ldexp_f32 v1, v1, v2
	s_nop 0
	v_cndmask_b32_e32 v1, 0, v1, vcc
	v_cmp_nlt_f32_e32 vcc, s41, v0
	s_nop 1
	v_cndmask_b32_e32 v82, v99, v1, vcc
	v_cvt_f16_f32_e32 v0, v82
	ds_write_b16 v93, v0
	v_lshl_add_u64 v[0:1], v[42:43], 0, s[8:9]
	s_and_saveexec_b64 s[8:9], s[6:7]
	s_cbranch_execz .LBB68_19
; %bb.18:                               ;   in Loop: Header=BB68_10 Depth=1
	v_lshl_add_u64 v[2:3], v[64:65], 2, v[0:1]
	v_mov_b32_e32 v67, v49
	v_lshl_add_u64 v[2:3], v[2:3], 0, v[66:67]
	global_load_dwordx4 v[2:5], v[2:3], off offset:192
	s_waitcnt vmcnt(0)
	ds_write_b128 v94, v[2:5]
.LBB68_19:                              ;   in Loop: Header=BB68_10 Depth=1
	s_or_b64 exec, exec, s[8:9]
	v_lshl_add_u64 v[2:3], v[58:59], 2, v[0:1]
	v_lshl_add_u64 v[6:7], v[2:3], 0, v[48:49]
	;; [unrolled: 1-line block ×3, first 2 shown]
	v_mov_b32_e32 v69, v49
	v_lshl_add_u64 v[14:15], v[2:3], 0, v[68:69]
	global_load_dwordx4 v[2:5], v[6:7], off offset:128
	global_load_dwordx4 v[10:13], v[14:15], off
	v_lshl_add_u64 v[0:1], v[62:63], 2, v[0:1]
	v_lshl_add_u64 v[0:1], v[0:1], 0, v[68:69]
	global_load_dwordx4 v[14:17], v[0:1], off
	v_sub_f32_e32 v102, v8, v84
	v_add_u32_e32 v101, 0x800, v74
	s_or_b32 s20, s22, 16
	s_mul_hi_i32 s21, s20, s2
	s_mul_i32 s20, s20, s2
	s_lshl_b64 s[20:21], s[20:21], 2
	v_cmp_ngt_f32_e32 vcc, s40, v102
	v_cmp_nlt_f32_e64 s[8:9], s41, v102
	v_lshl_add_u64 v[72:73], v[42:43], 0, s[20:21]
	s_waitcnt vmcnt(2)
	ds_write_b128 v95, v[2:5]
	s_waitcnt vmcnt(1)
	ds_write_b128 v96, v[10:13]
	;; [unrolled: 2-line block ×3, first 2 shown]
	s_waitcnt lgkmcnt(0)
	; wave barrier
	s_waitcnt lgkmcnt(0)
	ds_read2_b64 v[36:39], v74 offset1:28
	ds_read_b128 v[16:19], v57
	ds_read_b128 v[0:3], v57 offset:16
	ds_read2_b64 v[32:35], v74 offset0:56 offset1:84
	ds_read2_b64 v[28:31], v74 offset0:112 offset1:140
	;; [unrolled: 1-line block ×7, first 2 shown]
	s_waitcnt lgkmcnt(0)
	; wave barrier
	s_waitcnt lgkmcnt(0)
	s_and_saveexec_b64 s[20:21], s[6:7]
	s_cbranch_execz .LBB68_21
; %bb.20:                               ;   in Loop: Header=BB68_10 Depth=1
	v_lshl_add_u64 v[104:105], v[64:65], 2, v[72:73]
	v_mov_b32_e32 v67, v49
	v_lshl_add_u64 v[104:105], v[104:105], 0, v[66:67]
	global_load_dwordx4 v[104:107], v[104:105], off offset:192
	s_waitcnt vmcnt(0)
	ds_write_b128 v94, v[104:107]
.LBB68_21:                              ;   in Loop: Header=BB68_10 Depth=1
	s_or_b64 exec, exec, s[20:21]
	v_lshl_add_u64 v[104:105], v[58:59], 2, v[72:73]
	v_lshl_add_u64 v[112:113], v[104:105], 0, v[48:49]
	v_lshl_add_u64 v[104:105], v[60:61], 2, v[72:73]
	v_lshl_add_u64 v[114:115], v[104:105], 0, v[68:69]
	global_load_dwordx4 v[104:107], v[112:113], off offset:128
	global_load_dwordx4 v[108:111], v[114:115], off
	v_lshl_add_u64 v[72:73], v[62:63], 2, v[72:73]
	v_lshl_add_u64 v[72:73], v[72:73], 0, v[68:69]
	global_load_dwordx4 v[112:115], v[72:73], off
	v_mul_f32_e32 v67, 0x3fb8aa3b, v102
	v_fma_f32 v69, v102, s27, -v67
	v_rndne_f32_e32 v72, v67
	v_fmac_f32_e32 v69, 0x32a5705f, v102
	v_sub_f32_e32 v67, v67, v72
	v_add_f32_e32 v67, v67, v69
	v_cvt_i32_f32_e32 v72, v72
	v_exp_f32_e32 v67, v67
	v_pk_mul_f16 v36, v36, v16 op_sel_hi:[1,0]
	v_pk_mul_f16 v37, v37, v16 op_sel_hi:[1,0]
	s_waitcnt vmcnt(2)
	ds_write_b128 v95, v[104:107]
	s_waitcnt vmcnt(1)
	ds_write_b128 v96, v[108:111]
	;; [unrolled: 2-line block ×3, first 2 shown]
	v_ldexp_f32 v67, v67, v72
	v_cndmask_b32_e32 v67, 0, v67, vcc
	v_cndmask_b32_e64 v67, v99, v67, s[8:9]
	v_cvt_f16_f32_e32 v69, v67
	v_fmac_f32_e32 v82, v100, v67
	s_waitcnt lgkmcnt(0)
	; wave barrier
	s_waitcnt lgkmcnt(0)
	v_pk_fma_f16 v36, v76, v69, v36 op_sel_hi:[1,0,1]
	v_pk_fma_f16 v37, v75, v69, v37 op_sel_hi:[1,0,1]
	v_pk_fma_f16 v36, v38, v16, v36 op_sel:[0,1,0]
	v_pk_fma_f16 v16, v39, v16, v37 op_sel:[0,1,0]
	v_pk_fma_f16 v32, v32, v17, v36 op_sel_hi:[1,0,1]
	v_pk_fma_f16 v16, v33, v17, v16 op_sel_hi:[1,0,1]
	v_pk_fma_f16 v32, v34, v17, v32 op_sel:[0,1,0]
	v_pk_fma_f16 v16, v35, v17, v16 op_sel:[0,1,0]
	;; [unrolled: 4-line block ×8, first 2 shown]
	ds_read2_b64 v[0:3], v74 offset1:28
	ds_read_b128 v[4:7], v57 offset:32
	ds_read_b128 v[8:11], v57 offset:48
	ds_read2_b64 v[12:15], v74 offset0:56 offset1:84
	ds_read2_b64 v[16:19], v74 offset0:112 offset1:140
	;; [unrolled: 1-line block ×7, first 2 shown]
	s_waitcnt lgkmcnt(8)
	v_pk_fma_f16 v0, v0, v4, v67 op_sel_hi:[1,0,1]
	v_pk_fma_f16 v1, v1, v4, v69 op_sel_hi:[1,0,1]
	v_pk_fma_f16 v0, v2, v4, v0 op_sel:[0,1,0]
	v_pk_fma_f16 v1, v3, v4, v1 op_sel:[0,1,0]
	s_waitcnt lgkmcnt(6)
	v_pk_fma_f16 v0, v12, v5, v0 op_sel_hi:[1,0,1]
	v_pk_fma_f16 v1, v13, v5, v1 op_sel_hi:[1,0,1]
	v_pk_fma_f16 v0, v14, v5, v0 op_sel:[0,1,0]
	v_pk_fma_f16 v1, v15, v5, v1 op_sel:[0,1,0]
	;; [unrolled: 5-line block ×4, first 2 shown]
	s_waitcnt lgkmcnt(0)
	; wave barrier
	s_waitcnt lgkmcnt(0)
	s_load_dword s8, s[18:19], 0x4
	v_pk_fma_f16 v0, v24, v8, v0 op_sel_hi:[1,0,1]
	v_pk_fma_f16 v1, v25, v8, v1 op_sel_hi:[1,0,1]
	v_pk_fma_f16 v0, v26, v8, v0 op_sel:[0,1,0]
	v_pk_fma_f16 v1, v27, v8, v1 op_sel:[0,1,0]
	v_pk_fma_f16 v0, v28, v9, v0 op_sel_hi:[1,0,1]
	v_pk_fma_f16 v1, v29, v9, v1 op_sel_hi:[1,0,1]
	v_pk_fma_f16 v0, v30, v9, v0 op_sel:[0,1,0]
	v_pk_fma_f16 v1, v31, v9, v1 op_sel:[0,1,0]
	;; [unrolled: 4-line block ×3, first 2 shown]
	s_waitcnt lgkmcnt(0)
	s_lshl_b32 s8, s8, 5
	v_pk_fma_f16 v0, v36, v11, v0 op_sel_hi:[1,0,1]
	v_pk_fma_f16 v1, v37, v11, v1 op_sel_hi:[1,0,1]
	s_add_i32 s22, s8, s22
	v_pk_fma_f16 v76, v38, v11, v0 op_sel:[0,1,0]
	s_cmp_lt_i32 s22, s26
	v_pk_fma_f16 v75, v39, v11, v1 op_sel:[0,1,0]
	s_cbranch_scc0 .LBB68_24
; %bb.22:                               ;   in Loop: Header=BB68_10 Depth=1
	v_mov_b32_e32 v8, v84
	v_mov_b32_e32 v100, v82
	s_branch .LBB68_10
.LBB68_23:
	v_mov_b32_e32 v84, 0xfeffffff
	v_mov_b32_e32 v82, 0
	;; [unrolled: 1-line block ×3, first 2 shown]
.LBB68_24:
	s_cmp_gt_i32 s10, s22
	s_cbranch_scc1 .LBB68_26
; %bb.25:
	v_mbcnt_hi_u32_b32 v61, -1, v81
	v_and_b32_e32 v0, 0x60, v61
	v_add_u32_e32 v62, 32, v0
	v_xor_b32_e32 v63, 16, v61
	v_xor_b32_e32 v64, 8, v61
	;; [unrolled: 1-line block ×5, first 2 shown]
	v_mov_b32_e32 v48, v84
	s_cbranch_execz .LBB68_27
	s_branch .LBB68_40
.LBB68_26:
                                        ; implicit-def: $vgpr61
                                        ; implicit-def: $vgpr62
                                        ; implicit-def: $vgpr63
                                        ; implicit-def: $vgpr64
                                        ; implicit-def: $vgpr65
                                        ; implicit-def: $vgpr66
                                        ; implicit-def: $vgpr67
	v_mov_b32_e32 v48, v84
.LBB68_27:
	s_mul_hi_i32 s5, s22, s11
	s_mul_i32 s4, s22, s11
	s_lshl_b64 s[4:5], s[4:5], 2
	v_mul_lo_u32 v0, s11, v87
	s_sub_i32 s26, s10, s22
	v_lshl_add_u64 v[6:7], v[44:45], 0, s[4:5]
	v_ashrrev_i32_e32 v1, 31, v0
	v_cmp_gt_u32_e64 s[8:9], 32, v87
	s_mov_b64 s[18:19], src_private_base
	s_mov_b32 s27, 0
	v_or_b32_e32 v10, 0x60, v83
	v_cmp_gt_i32_e64 s[6:7], s26, v87
	v_lshl_add_u64 v[0:1], v[0:1], 2, v[6:7]
	s_and_saveexec_b64 s[4:5], s[8:9]
	s_cbranch_execz .LBB68_29
; %bb.28:
	v_mov_b32_e32 v2, 0
	v_mov_b32_e32 v3, v2
	;; [unrolled: 1-line block ×3, first 2 shown]
	s_mov_b64 s[16:17], 0x60
	scratch_store_dword off, v2, off
	scratch_store_dwordx3 off, v[2:4], off offset:4
	s_nop 1
	v_lshl_add_u64 v[2:3], v[0:1], 0, s[16:17]
	v_mov_b32_e32 v4, s19
	v_cndmask_b32_e64 v3, v4, v3, s[6:7]
	v_mov_b32_e32 v4, 0
	v_cndmask_b32_e64 v2, v4, v2, s[6:7]
	flat_load_dwordx4 v[2:5], v[2:3]
	s_waitcnt vmcnt(0) lgkmcnt(0)
	ds_write_b128 v10, v[2:5]
.LBB68_29:
	s_or_b64 exec, exec, s[4:5]
	v_lshl_add_u32 v60, v77, 4, v86
	v_mul_lo_u32 v2, s11, v60
	v_and_b32_e32 v8, 4, v78
	v_ashrrev_i32_e32 v3, 31, v2
	s_mov_b32 s16, 0
	v_lshlrev_b32_e32 v46, 2, v8
	v_mov_b32_e32 v47, 0
	s_mov_b32 s18, s16
	v_lshl_add_u64 v[2:3], v[2:3], 2, v[6:7]
	s_mov_b32 s17, s16
	v_mov_b32_e32 v20, s18
	v_lshl_add_u64 v[2:3], v[2:3], 0, v[46:47]
	v_mov_b32_e32 v11, 0
	v_mov_b32_e32 v19, s17
	;; [unrolled: 1-line block ×3, first 2 shown]
	v_lshl_add_u64 v[4:5], v[2:3], 0, 64
	v_mov_b32_e32 v9, s19
	v_cmp_gt_i32_e64 s[4:5], s26, v60
	scratch_store_dword off, v47, off
	scratch_store_dwordx3 off, v[18:20], off offset:4
	v_cndmask_b32_e64 v5, v9, v5, s[4:5]
	v_cndmask_b32_e64 v4, v11, v4, s[4:5]
	flat_load_dwordx4 v[12:15], v[4:5]
	v_lshl_add_u32 v49, v77, 3, v85
	v_mul_lo_u32 v22, s11, v49
	v_and_b32_e32 v4, 12, v78
	v_ashrrev_i32_e32 v23, 31, v22
	v_lshlrev_b32_e32 v44, 2, v4
	v_mov_b32_e32 v45, v47
	v_lshl_add_u64 v[4:5], v[22:23], 2, v[6:7]
	v_lshl_or_b32 v24, v60, 7, v46
	v_lshl_add_u64 v[4:5], v[4:5], 0, v[44:45]
	v_cmp_gt_i32_e32 vcc, s26, v49
	scratch_store_dword off, v47, off
	scratch_store_dwordx3 off, v[18:20], off offset:4
	v_cndmask_b32_e32 v17, v9, v5, vcc
	v_cndmask_b32_e32 v16, v11, v4, vcc
	v_lshl_add_u32 v22, s11, 4, v22
	v_ashrrev_i32_e32 v23, 31, v22
	v_lshl_add_u64 v[6:7], v[22:23], 2, v[6:7]
	v_lshl_add_u64 v[6:7], v[6:7], 0, v[44:45]
	s_movk_i32 s20, 0xe0
	s_waitcnt vmcnt(0) lgkmcnt(0)
	ds_write_b128 v24, v[12:15] offset:64
	flat_load_dwordx4 v[14:17], v[16:17]
	v_add_u32_e32 v13, 16, v49
	v_lshl_or_b32 v12, v49, 7, v44
	v_cmp_gt_i32_e64 s[10:11], s26, v13
	scratch_store_dword off, v47, off
	scratch_store_dwordx3 off, v[18:20], off offset:4
	v_cndmask_b32_e64 v23, v9, v7, s[10:11]
	v_cndmask_b32_e64 v22, v11, v6, s[10:11]
	v_lshl_or_b32 v13, v13, 7, v44
	v_mov_b32_e32 v9, v47
	s_waitcnt vmcnt(0) lgkmcnt(0)
	ds_write_b128 v12, v[14:17]
	flat_load_dwordx4 v[14:17], v[22:23]
	v_mul_u32_u24_e32 v22, 0xe0, v77
	s_waitcnt vmcnt(0) lgkmcnt(0)
	ds_write_b128 v13, v[14:17]
	s_waitcnt lgkmcnt(0)
	; wave barrier
	s_waitcnt lgkmcnt(0)
	ds_read_b128 v[14:17], v83
	ds_read_b128 v[18:21], v22 offset:4160
	s_waitcnt lgkmcnt(0)
	;;#ASMSTART
	v_dot2_f32_f16 v9, v14, v18, v9
	;;#ASMEND
	s_nop 0
	;;#ASMSTART
	v_dot2_f32_f16 v9, v15, v19, v9
	;;#ASMEND
	s_nop 0
	;;#ASMSTART
	v_dot2_f32_f16 v9, v16, v20, v9
	;;#ASMEND
	s_nop 0
	;;#ASMSTART
	v_dot2_f32_f16 v9, v17, v21, v9
	;;#ASMEND
	ds_read_b128 v[14:17], v83 offset:16
	ds_read_b128 v[18:21], v22 offset:4176
	s_waitcnt lgkmcnt(0)
	;;#ASMSTART
	v_dot2_f32_f16 v9, v14, v18, v9
	;;#ASMEND
	s_nop 0
	;;#ASMSTART
	v_dot2_f32_f16 v9, v15, v19, v9
	;;#ASMEND
	s_nop 0
	;;#ASMSTART
	v_dot2_f32_f16 v9, v16, v20, v9
	;;#ASMEND
	s_nop 0
	;;#ASMSTART
	v_dot2_f32_f16 v9, v17, v21, v9
	;;#ASMEND
	ds_read_b128 v[14:17], v83 offset:32
	;; [unrolled: 18-line block ×5, first 2 shown]
	ds_read_b128 v[18:21], v22 offset:4240
	s_waitcnt lgkmcnt(0)
	;;#ASMSTART
	v_dot2_f32_f16 v9, v14, v18, v9
	;;#ASMEND
	s_nop 0
	;;#ASMSTART
	v_dot2_f32_f16 v9, v15, v19, v9
	;;#ASMEND
	v_mov_b32_e32 v14, 0x1040
	;;#ASMSTART
	v_dot2_f32_f16 v9, v16, v20, v9
	;;#ASMEND
	v_mad_u32_u24 v14, v77, s20, v14
	;;#ASMSTART
	v_dot2_f32_f16 v9, v17, v21, v9
	;;#ASMEND
	ds_read_b128 v[16:19], v83 offset:96
	ds_read_b128 v[20:23], v22 offset:4256
	s_waitcnt lgkmcnt(0)
	;;#ASMSTART
	v_dot2_f32_f16 v9, v16, v20, v9
	;;#ASMEND
	s_nop 0
	;;#ASMSTART
	v_dot2_f32_f16 v9, v17, v21, v9
	;;#ASMEND
	v_or_b32_e32 v15, 64, v24
	;;#ASMSTART
	v_dot2_f32_f16 v9, v18, v22, v9
	;;#ASMEND
	s_nop 0
	;;#ASMSTART
	v_dot2_f32_f16 v9, v19, v23, v9
	;;#ASMEND
	s_waitcnt lgkmcnt(0)
	; wave barrier
	s_and_saveexec_b64 s[20:21], s[8:9]
	s_cbranch_execz .LBB68_31
; %bb.30:
	v_mov_b32_e32 v16, 0
	v_mov_b32_e32 v17, v16
	;; [unrolled: 1-line block ×3, first 2 shown]
	s_mov_b64 s[8:9], 0xd0
	scratch_store_dword off, v16, off
	scratch_store_dwordx3 off, v[16:18], off offset:4
	v_lshl_add_u64 v[0:1], v[0:1], 0, s[8:9]
	v_cndmask_b32_e64 v0, v11, v0, s[6:7]
	v_mov_b32_e32 v16, s19
	v_cndmask_b32_e64 v1, v16, v1, s[6:7]
	flat_load_dwordx4 v[16:19], v[0:1]
	s_waitcnt vmcnt(0) lgkmcnt(0)
	ds_write_b128 v10, v[16:19]
.LBB68_31:
	s_or_b64 exec, exec, s[20:21]
	v_mov_b32_e32 v16, s16
	s_mov_b64 s[6:7], 0xb0
	v_mov_b32_e32 v17, s17
	v_mov_b32_e32 v18, s18
	v_lshl_add_u64 v[0:1], v[2:3], 0, s[6:7]
	v_mov_b32_e32 v10, s19
	v_mov_b32_e32 v11, s27
	scratch_store_dword off, v47, off
	scratch_store_dwordx3 off, v[16:18], off offset:4
	v_cndmask_b32_e64 v1, v10, v1, s[4:5]
	v_cndmask_b32_e64 v0, v11, v0, s[4:5]
	flat_load_dwordx4 v[0:3], v[0:1]
	s_mov_b64 s[6:7], 0x70
	v_lshl_add_u64 v[4:5], v[4:5], 0, s[6:7]
	v_cndmask_b32_e32 v5, v10, v5, vcc
	v_cndmask_b32_e32 v4, v11, v4, vcc
	scratch_store_dword off, v47, off
	scratch_store_dwordx3 off, v[16:18], off offset:4
	s_waitcnt vmcnt(0) lgkmcnt(0)
	ds_write_b128 v15, v[0:3]
	flat_load_dwordx4 v[0:3], v[4:5]
	v_lshl_add_u64 v[4:5], v[6:7], 0, s[6:7]
	v_cndmask_b32_e64 v5, v10, v5, s[10:11]
	v_cndmask_b32_e64 v4, v11, v4, s[10:11]
	scratch_store_dword off, v47, off
	scratch_store_dwordx3 off, v[16:18], off offset:4
	v_cmp_gt_i32_e64 s[6:7], s26, v40
	s_waitcnt vmcnt(0) lgkmcnt(0)
	ds_write_b128 v12, v[0:3]
	flat_load_dwordx4 v[0:3], v[4:5]
	s_waitcnt vmcnt(0) lgkmcnt(0)
	ds_write_b128 v13, v[0:3]
	s_waitcnt lgkmcnt(0)
	; wave barrier
	s_waitcnt lgkmcnt(0)
	ds_read_b128 v[0:3], v83
	ds_read_b128 v[4:7], v14 offset:112
	s_waitcnt lgkmcnt(0)
	;;#ASMSTART
	v_dot2_f32_f16 v9, v0, v4, v9
	;;#ASMEND
	s_nop 0
	;;#ASMSTART
	v_dot2_f32_f16 v9, v1, v5, v9
	;;#ASMEND
	s_nop 0
	;;#ASMSTART
	v_dot2_f32_f16 v9, v2, v6, v9
	;;#ASMEND
	s_nop 0
	;;#ASMSTART
	v_dot2_f32_f16 v9, v3, v7, v9
	;;#ASMEND
	ds_read_b128 v[0:3], v83 offset:16
	ds_read_b128 v[4:7], v14 offset:128
	s_waitcnt lgkmcnt(0)
	;;#ASMSTART
	v_dot2_f32_f16 v9, v0, v4, v9
	;;#ASMEND
	s_nop 0
	;;#ASMSTART
	v_dot2_f32_f16 v9, v1, v5, v9
	;;#ASMEND
	s_nop 0
	;;#ASMSTART
	v_dot2_f32_f16 v9, v2, v6, v9
	;;#ASMEND
	s_nop 0
	;;#ASMSTART
	v_dot2_f32_f16 v9, v3, v7, v9
	;;#ASMEND
	ds_read_b128 v[0:3], v83 offset:32
	ds_read_b128 v[4:7], v14 offset:144
	s_waitcnt lgkmcnt(0)
	;;#ASMSTART
	v_dot2_f32_f16 v9, v0, v4, v9
	;;#ASMEND
	s_nop 0
	;;#ASMSTART
	v_dot2_f32_f16 v9, v1, v5, v9
	;;#ASMEND
	s_nop 0
	;;#ASMSTART
	v_dot2_f32_f16 v9, v2, v6, v9
	;;#ASMEND
	s_nop 0
	;;#ASMSTART
	v_dot2_f32_f16 v9, v3, v7, v9
	;;#ASMEND
	ds_read_b128 v[0:3], v83 offset:48
	ds_read_b128 v[4:7], v14 offset:160
	s_waitcnt lgkmcnt(0)
	;;#ASMSTART
	v_dot2_f32_f16 v9, v0, v4, v9
	;;#ASMEND
	s_nop 0
	;;#ASMSTART
	v_dot2_f32_f16 v9, v1, v5, v9
	;;#ASMEND
	s_nop 0
	;;#ASMSTART
	v_dot2_f32_f16 v9, v2, v6, v9
	;;#ASMEND
	s_nop 0
	;;#ASMSTART
	v_dot2_f32_f16 v9, v3, v7, v9
	;;#ASMEND
	ds_read_b128 v[0:3], v83 offset:64
	ds_read_b128 v[4:7], v14 offset:176
	s_waitcnt lgkmcnt(0)
	;;#ASMSTART
	v_dot2_f32_f16 v9, v0, v4, v9
	;;#ASMEND
	s_nop 0
	;;#ASMSTART
	v_dot2_f32_f16 v9, v1, v5, v9
	;;#ASMEND
	s_nop 0
	;;#ASMSTART
	v_dot2_f32_f16 v9, v2, v6, v9
	;;#ASMEND
	s_nop 0
	;;#ASMSTART
	v_dot2_f32_f16 v9, v3, v7, v9
	;;#ASMEND
	ds_read_b128 v[0:3], v83 offset:80
	ds_read_b128 v[4:7], v14 offset:192
	s_waitcnt lgkmcnt(0)
	;;#ASMSTART
	v_dot2_f32_f16 v9, v0, v4, v9
	;;#ASMEND
	s_nop 0
	;;#ASMSTART
	v_dot2_f32_f16 v9, v1, v5, v9
	;;#ASMEND
	s_nop 0
	;;#ASMSTART
	v_dot2_f32_f16 v9, v2, v6, v9
	;;#ASMEND
	s_nop 0
	;;#ASMSTART
	v_dot2_f32_f16 v9, v3, v7, v9
	;;#ASMEND
	ds_read_b128 v[0:3], v83 offset:96
	ds_read_b128 v[4:7], v14 offset:208
	s_waitcnt lgkmcnt(0)
	;;#ASMSTART
	v_dot2_f32_f16 v9, v0, v4, v9
	;;#ASMEND
	s_nop 0
	;;#ASMSTART
	v_dot2_f32_f16 v9, v1, v5, v9
	;;#ASMEND
	v_mov_b32_e32 v0, v84
	;;#ASMSTART
	v_dot2_f32_f16 v9, v2, v6, v9
	;;#ASMEND
	s_nop 0
	;;#ASMSTART
	v_dot2_f32_f16 v9, v3, v7, v9
	;;#ASMEND
	s_and_saveexec_b64 s[8:9], s[6:7]
	s_cbranch_execz .LBB68_35
; %bb.32:
	s_cmp_eq_u64 s[34:35], 0
	s_cbranch_scc1 .LBB68_34
; %bb.33:
	v_mul_hi_u32 v0, s36, v41
	v_add_u32_e32 v0, v41, v0
	v_lshrrev_b32_e32 v0, s37, v0
	v_mul_lo_u32 v0, v0, s38
	v_sub_u32_e32 v0, v41, v0
	v_mul_lo_u32 v0, v0, s23
	v_add3_u32 v0, v0, v40, s22
	v_ashrrev_i32_e32 v1, 31, v0
	v_lshl_add_u64 v[0:1], v[0:1], 1, s[34:35]
	flat_load_ushort v0, v[0:1]
	s_waitcnt vmcnt(0) lgkmcnt(0)
	v_cvt_f32_f16_e32 v0, v0
	v_mul_f32_e32 v47, v80, v0
.LBB68_34:
	v_add_f32_e32 v9, v9, v47
	v_add_f32_e32 v0, 0x40051340, v9
	v_max_f32_e32 v1, v84, v84
	v_max_f32_e32 v0, v1, v0
.LBB68_35:
	s_or_b64 exec, exec, s[8:9]
	v_mbcnt_hi_u32_b32 v61, -1, v81
	v_and_b32_e32 v1, 0x60, v61
	v_add_u32_e32 v62, 32, v1
	v_xor_b32_e32 v63, 16, v61
	v_cmp_lt_i32_e64 s[6:7], v63, v62
	v_xor_b32_e32 v64, 8, v61
	v_xor_b32_e32 v65, 4, v61
	v_cndmask_b32_e64 v1, v61, v63, s[6:7]
	v_lshlrev_b32_e32 v1, 2, v1
	ds_bpermute_b32 v1, v1, v0
	v_max_f32_e32 v0, v0, v0
	v_cmp_lt_i32_e64 s[6:7], v64, v62
	v_xor_b32_e32 v66, 2, v61
	v_xor_b32_e32 v67, 1, v61
	s_waitcnt lgkmcnt(0)
	v_max_f32_e32 v1, v1, v1
	v_max_f32_e32 v0, v0, v1
	v_cndmask_b32_e64 v1, v61, v64, s[6:7]
	v_lshlrev_b32_e32 v1, 2, v1
	ds_bpermute_b32 v1, v1, v0
	v_cmp_lt_i32_e64 s[6:7], v65, v62
	s_mov_b32 s19, 0x3fb8aa3b
	s_mov_b32 s16, 0xc2ce8ed0
	;; [unrolled: 1-line block ×3, first 2 shown]
	s_waitcnt lgkmcnt(0)
	v_max_f32_e32 v1, v1, v1
	v_max_f32_e32 v0, v0, v1
	v_cndmask_b32_e64 v1, v61, v65, s[6:7]
	v_lshlrev_b32_e32 v1, 2, v1
	ds_bpermute_b32 v1, v1, v0
	v_cmp_lt_i32_e64 s[6:7], v66, v62
	s_waitcnt lgkmcnt(0)
	; wave barrier
	s_waitcnt lgkmcnt(0)
	s_mul_hi_i32 s9, s22, s2
	v_max_f32_e32 v1, v1, v1
	v_max_f32_e32 v0, v0, v1
	v_cndmask_b32_e64 v1, v61, v66, s[6:7]
	v_lshlrev_b32_e32 v1, 2, v1
	ds_bpermute_b32 v1, v1, v0
	v_cmp_lt_i32_e64 s[6:7], v67, v62
	s_mul_i32 s8, s22, s2
	v_mul_lo_u32 v52, s2, v60
	s_lshl_b64 s[8:9], s[8:9], 2
	s_waitcnt lgkmcnt(0)
	v_max_f32_e32 v1, v1, v1
	v_max_f32_e32 v0, v0, v1
	v_cndmask_b32_e64 v1, v61, v67, s[6:7]
	v_lshlrev_b32_e32 v1, 2, v1
	ds_bpermute_b32 v1, v1, v0
	s_mov_b64 s[10:11], src_private_base
	s_mov_b32 s18, 0
	s_movk_i32 s20, 0xe0
	v_ashrrev_i32_e32 v53, 31, v52
	s_waitcnt lgkmcnt(0)
	v_max_f32_e32 v1, v1, v1
	v_max_f32_e32 v48, v0, v1
	v_sub_f32_e32 v0, v9, v48
	v_mul_f32_e32 v1, 0x3fb8aa3b, v0
	v_fma_f32 v2, v0, s19, -v1
	v_rndne_f32_e32 v3, v1
	v_fmac_f32_e32 v2, 0x32a5705f, v0
	v_sub_f32_e32 v1, v1, v3
	v_add_f32_e32 v1, v1, v2
	v_exp_f32_e32 v1, v1
	v_cvt_i32_f32_e32 v2, v3
	v_cmp_ngt_f32_e64 s[6:7], s16, v0
	v_ldexp_f32 v1, v1, v2
	s_nop 0
	v_cndmask_b32_e64 v1, 0, v1, s[6:7]
	v_mov_b32_e32 v2, 0x7f800000
	v_cmp_nlt_f32_e64 s[6:7], s17, v0
	s_nop 1
	v_cndmask_b32_e64 v0, v2, v1, s[6:7]
	v_cmp_gt_u32_e64 s[6:7], s26, v40
	v_mov_b32_e32 v1, 0x1200
	v_lshl_add_u32 v69, v77, 6, v1
	v_cndmask_b32_e64 v68, 0, v0, s[6:7]
	v_cvt_f16_f32_e32 v0, v68
	v_lshl_add_u32 v1, v40, 1, v69
	v_cmp_gt_u32_e64 s[6:7], 16, v60
	ds_write_b16 v1, v0
	v_mul_u32_u24_e32 v0, 0xe0, v60
	v_lshl_or_b32 v0, v8, 2, v0
	v_add_u32_e32 v71, 0xc0, v0
	v_lshl_add_u64 v[0:1], v[42:43], 0, s[8:9]
	s_and_saveexec_b64 s[8:9], s[6:7]
	s_cbranch_execz .LBB68_37
; %bb.36:
	v_mov_b32_e32 v4, 0
	v_mov_b32_e32 v5, v4
	;; [unrolled: 1-line block ×3, first 2 shown]
	scratch_store_dwordx3 off, v[4:6], off offset:4
	v_mov_b32_e32 v47, v4
	scratch_store_dword off, v4, off
	v_lshl_add_u64 v[6:7], v[52:53], 2, v[0:1]
	v_lshl_add_u64 v[4:5], v[6:7], 0, v[46:47]
	s_mov_b64 s[34:35], 0xc0
	v_lshl_add_u64 v[4:5], v[4:5], 0, s[34:35]
	v_mov_b32_e32 v3, s11
	v_cndmask_b32_e64 v5, v3, v5, s[4:5]
	v_mov_b32_e32 v3, 0
	v_cndmask_b32_e64 v4, v3, v4, s[4:5]
	flat_load_dwordx4 v[4:7], v[4:5]
	s_waitcnt vmcnt(0) lgkmcnt(0)
	ds_write_b128 v71, v[4:7]
.LBB68_37:
	s_or_b64 exec, exec, s[8:9]
	v_mul_lo_u32 v50, s2, v49
	v_ashrrev_i32_e32 v51, 31, v50
	s_mov_b32 s8, 0
	v_mov_b32_e32 v45, 0
	v_lshl_add_u64 v[4:5], v[50:51], 2, v[0:1]
	s_mov_b32 s9, s8
	s_mov_b32 s10, s8
	v_mov_b32_e32 v8, s8
	v_lshl_add_u64 v[4:5], v[4:5], 0, v[44:45]
	s_mov_b64 s[4:5], 0x80
	v_mov_b32_e32 v80, 0
	v_mov_b32_e32 v9, s9
	;; [unrolled: 1-line block ×3, first 2 shown]
	v_lshl_add_u64 v[4:5], v[4:5], 0, s[4:5]
	v_mov_b32_e32 v3, s11
	scratch_store_dword off, v45, off
	scratch_store_dwordx3 off, v[8:10], off offset:4
	v_cndmask_b32_e32 v5, v3, v5, vcc
	v_cndmask_b32_e32 v4, v80, v4, vcc
	flat_load_dwordx4 v[4:7], v[4:5]
	v_lshl_add_u32 v72, v77, 2, v79
	v_mul_lo_u32 v56, s2, v72
	v_and_b32_e32 v12, 28, v78
	v_ashrrev_i32_e32 v57, 31, v56
	v_lshlrev_b32_e32 v54, 2, v12
	v_mov_b32_e32 v55, v45
	v_lshl_add_u64 v[12:13], v[56:57], 2, v[0:1]
	v_mad_u32_u24 v11, v49, s20, v44
	v_lshl_add_u64 v[12:13], v[12:13], 0, v[54:55]
	v_cmp_gt_i32_e32 vcc, s26, v72
	scratch_store_dword off, v45, off
	scratch_store_dwordx3 off, v[8:10], off offset:4
	v_cndmask_b32_e32 v13, v3, v13, vcc
	v_cndmask_b32_e32 v12, v80, v12, vcc
	v_lshl_add_u32 v58, s2, 3, v56
	v_ashrrev_i32_e32 v59, 31, v58
	v_add_u32_e32 v77, 8, v72
	v_lshl_add_u64 v[0:1], v[58:59], 2, v[0:1]
	v_mad_u32_u24 v73, v72, s20, v54
	v_lshl_add_u64 v[0:1], v[0:1], 0, v[54:55]
	v_cmp_gt_i32_e32 vcc, s26, v77
	v_add_u32_e32 v70, 0x800, v74
	v_add_u32_e32 v81, 0x80, v11
	v_cndmask_b32_e32 v1, v3, v1, vcc
	v_cndmask_b32_e32 v0, v80, v0, vcc
	v_add_u32_e32 v78, 0x700, v73
	s_add_i32 s26, s26, -16
	s_waitcnt vmcnt(0) lgkmcnt(0)
	ds_write_b128 v11, v[4:7] offset:128
	flat_load_dwordx4 v[4:7], v[12:13]
	s_nop 0
	scratch_store_dword off, v45, off
	scratch_store_dwordx3 off, v[8:10], off offset:4
	s_waitcnt vmcnt(0) lgkmcnt(0)
	ds_write_b128 v73, v[4:7]
	flat_load_dwordx4 v[4:7], v[0:1]
	v_sub_f32_e32 v0, v84, v48
	v_mul_f32_e32 v1, 0x3fb8aa3b, v0
	v_fma_f32 v3, v0, s19, -v1
	v_rndne_f32_e32 v8, v1
	v_fmac_f32_e32 v3, 0x32a5705f, v0
	v_sub_f32_e32 v1, v1, v8
	v_add_f32_e32 v1, v1, v3
	v_cvt_i32_f32_e32 v8, v8
	v_exp_f32_e32 v1, v1
	v_cmp_ngt_f32_e32 vcc, s16, v0
	s_or_b32 s19, s22, 16
	s_mul_i32 s16, s19, s2
	v_ldexp_f32 v1, v1, v8
	v_cndmask_b32_e32 v1, 0, v1, vcc
	v_cmp_nlt_f32_e32 vcc, s17, v0
	s_mul_hi_i32 s17, s19, s2
	s_lshl_b64 s[16:17], s[16:17], 2
	v_cndmask_b32_e32 v79, v2, v1, vcc
	v_lshl_add_u64 v[42:43], v[42:43], 0, s[16:17]
	s_waitcnt vmcnt(0) lgkmcnt(0)
	ds_write_b128 v73, v[4:7] offset:1792
	s_waitcnt lgkmcnt(0)
	; wave barrier
	s_waitcnt lgkmcnt(0)
	ds_read2_b64 v[36:39], v74 offset1:28
	ds_read_b128 v[16:19], v69
	ds_read_b128 v[0:3], v69 offset:16
	ds_read2_b64 v[32:35], v74 offset0:56 offset1:84
	ds_read2_b64 v[28:31], v74 offset0:112 offset1:140
	;; [unrolled: 1-line block ×7, first 2 shown]
	s_waitcnt lgkmcnt(0)
	; wave barrier
	s_waitcnt lgkmcnt(0)
	s_and_saveexec_b64 s[16:17], s[6:7]
	s_cbranch_execz .LBB68_39
; %bb.38:
	v_lshl_add_u64 v[52:53], v[52:53], 2, v[42:43]
	v_mov_b32_e32 v47, v45
	v_lshl_add_u64 v[46:47], v[52:53], 0, v[46:47]
	s_mov_b64 s[6:7], 0xc0
	v_mov_b32_e32 v84, v45
	v_mov_b32_e32 v85, v45
	;; [unrolled: 1-line block ×3, first 2 shown]
	v_lshl_add_u64 v[46:47], v[46:47], 0, s[6:7]
	v_mov_b32_e32 v52, s11
	v_cmp_gt_i32_e32 vcc, s26, v60
	scratch_store_dword off, v45, off
	scratch_store_dwordx3 off, v[84:86], off offset:4
	v_cndmask_b32_e32 v47, v52, v47, vcc
	v_cndmask_b32_e32 v46, v80, v46, vcc
	flat_load_dwordx4 v[84:87], v[46:47]
	s_waitcnt vmcnt(0) lgkmcnt(0)
	ds_write_b128 v71, v[84:87]
.LBB68_39:
	s_or_b64 exec, exec, s[16:17]
	v_lshl_add_u64 v[46:47], v[50:51], 2, v[42:43]
	v_mov_b32_e32 v86, s10
	v_lshl_add_u64 v[46:47], v[46:47], 0, v[44:45]
	v_mov_b32_e32 v85, s9
	v_mov_b32_e32 v84, s8
	v_lshl_add_u64 v[46:47], v[46:47], 0, s[4:5]
	v_mov_b32_e32 v44, s11
	v_cmp_gt_i32_e32 vcc, s26, v49
	v_mov_b32_e32 v49, s18
	scratch_store_dword off, v45, off
	scratch_store_dwordx3 off, v[84:86], off offset:4
	v_cndmask_b32_e32 v47, v44, v47, vcc
	v_cndmask_b32_e32 v46, v49, v46, vcc
	flat_load_dwordx4 v[50:53], v[46:47]
	v_lshl_add_u64 v[46:47], v[56:57], 2, v[42:43]
	v_lshl_add_u64 v[46:47], v[46:47], 0, v[54:55]
	v_cmp_gt_i32_e32 vcc, s26, v72
	scratch_store_dword off, v45, off
	scratch_store_dwordx3 off, v[84:86], off offset:4
	v_cndmask_b32_e32 v47, v44, v47, vcc
	v_cndmask_b32_e32 v46, v49, v46, vcc
	v_lshl_add_u64 v[42:43], v[58:59], 2, v[42:43]
	v_lshl_add_u64 v[42:43], v[42:43], 0, v[54:55]
	v_cmp_gt_i32_e32 vcc, s26, v77
	v_pk_mul_f16 v36, v36, v16 op_sel_hi:[1,0]
	v_pk_mul_f16 v37, v37, v16 op_sel_hi:[1,0]
	v_cndmask_b32_e32 v43, v44, v43, vcc
	v_cndmask_b32_e32 v42, v49, v42, vcc
	v_fmac_f32_e32 v68, v82, v79
	v_mov_b32_e32 v82, v68
	s_waitcnt vmcnt(0) lgkmcnt(0)
	ds_write_b128 v81, v[50:53]
	flat_load_dwordx4 v[50:53], v[46:47]
	s_nop 0
	scratch_store_dword off, v45, off
	scratch_store_dwordx3 off, v[84:86], off offset:4
	v_cvt_f16_f32_e32 v46, v79
	v_pk_fma_f16 v36, v76, v46, v36 op_sel_hi:[1,0,1]
	v_pk_fma_f16 v37, v75, v46, v37 op_sel_hi:[1,0,1]
	v_pk_fma_f16 v36, v38, v16, v36 op_sel:[0,1,0]
	v_pk_fma_f16 v16, v39, v16, v37 op_sel:[0,1,0]
	v_pk_fma_f16 v32, v32, v17, v36 op_sel_hi:[1,0,1]
	v_pk_fma_f16 v16, v33, v17, v16 op_sel_hi:[1,0,1]
	v_pk_fma_f16 v32, v34, v17, v32 op_sel:[0,1,0]
	v_pk_fma_f16 v16, v35, v17, v16 op_sel:[0,1,0]
	;; [unrolled: 4-line block ×8, first 2 shown]
	s_waitcnt vmcnt(0) lgkmcnt(0)
	ds_write_b128 v73, v[50:53]
	flat_load_dwordx4 v[42:45], v[42:43]
	s_waitcnt vmcnt(0) lgkmcnt(0)
	ds_write_b128 v78, v[42:45]
	s_waitcnt lgkmcnt(0)
	; wave barrier
	s_waitcnt lgkmcnt(0)
	ds_read2_b64 v[0:3], v74 offset1:28
	ds_read_b128 v[4:7], v69 offset:32
	ds_read_b128 v[8:11], v69 offset:48
	ds_read2_b64 v[12:15], v74 offset0:56 offset1:84
	ds_read2_b64 v[16:19], v74 offset0:112 offset1:140
	;; [unrolled: 1-line block ×7, first 2 shown]
	s_waitcnt lgkmcnt(8)
	v_pk_fma_f16 v0, v0, v4, v46 op_sel_hi:[1,0,1]
	v_pk_fma_f16 v1, v1, v4, v47 op_sel_hi:[1,0,1]
	v_pk_fma_f16 v0, v2, v4, v0 op_sel:[0,1,0]
	v_pk_fma_f16 v1, v3, v4, v1 op_sel:[0,1,0]
	s_waitcnt lgkmcnt(6)
	v_pk_fma_f16 v0, v12, v5, v0 op_sel_hi:[1,0,1]
	v_pk_fma_f16 v1, v13, v5, v1 op_sel_hi:[1,0,1]
	v_pk_fma_f16 v0, v14, v5, v0 op_sel:[0,1,0]
	v_pk_fma_f16 v1, v15, v5, v1 op_sel:[0,1,0]
	;; [unrolled: 5-line block ×8, first 2 shown]
	s_waitcnt lgkmcnt(0)
	; wave barrier
.LBB68_40:
	v_cmp_lt_i32_e32 vcc, v63, v62
	s_cmp_eq_u64 s[24:25], 0
	s_cselect_b64 s[4:5], -1, 0
	v_cndmask_b32_e32 v0, v61, v63, vcc
	v_lshlrev_b32_e32 v0, 2, v0
	ds_bpermute_b32 v0, v0, v82
	v_cmp_lt_i32_e32 vcc, v64, v62
	s_cmp_lg_u32 s3, 0
	s_cselect_b64 s[6:7], -1, 0
	v_cndmask_b32_e32 v1, v61, v64, vcc
	v_lshlrev_b32_e32 v1, 2, v1
	s_waitcnt lgkmcnt(0)
	v_add_f32_e32 v0, v82, v0
	ds_bpermute_b32 v1, v1, v0
	v_cmp_lt_i32_e32 vcc, v65, v62
	s_or_b64 s[4:5], s[6:7], s[4:5]
	s_waitcnt lgkmcnt(0)
	v_add_f32_e32 v0, v0, v1
	v_cndmask_b32_e32 v2, v61, v65, vcc
	v_lshlrev_b32_e32 v2, 2, v2
	ds_bpermute_b32 v1, v2, v0
	v_cmp_lt_i32_e32 vcc, v66, v62
	s_waitcnt lgkmcnt(0)
	v_add_f32_e32 v0, v0, v1
	v_cndmask_b32_e32 v2, v61, v66, vcc
	v_lshlrev_b32_e32 v2, 2, v2
	ds_bpermute_b32 v1, v2, v0
	v_cmp_lt_i32_e32 vcc, v67, v62
	s_waitcnt lgkmcnt(0)
	v_add_f32_e32 v0, v0, v1
	v_cndmask_b32_e32 v2, v61, v67, vcc
	v_lshlrev_b32_e32 v2, 2, v2
	ds_bpermute_b32 v1, v2, v0
	s_and_b64 vcc, exec, s[4:5]
	s_waitcnt lgkmcnt(0)
	v_add_f32_e32 v49, v0, v1
	s_cbranch_vccnz .LBB68_43
; %bb.41:
	s_lshl_b64 s[4:5], s[14:15], 2
	s_add_u32 s4, s24, s4
	s_addc_u32 s5, s25, s5
	v_mov_b32_e32 v0, 0
	global_load_dword v1, v0, s[4:5]
	v_max_f32_e32 v0, v48, v48
	s_mov_b32 s2, 0x3fb8aa3b
	s_mov_b32 s4, 0xc2ce8ed0
	s_waitcnt vmcnt(0)
	v_max_f32_e32 v2, v1, v1
	v_max_f32_e32 v0, v0, v2
	v_sub_f32_e32 v2, v48, v0
	v_sub_f32_e32 v1, v1, v0
	v_mul_f32_e32 v3, 0x3fb8aa3b, v2
	v_mul_f32_e32 v4, 0x3fb8aa3b, v1
	v_fma_f32 v5, v2, s2, -v3
	v_rndne_f32_e32 v6, v3
	v_fma_f32 v7, v1, s2, -v4
	v_rndne_f32_e32 v8, v4
	v_fmac_f32_e32 v5, 0x32a5705f, v2
	v_sub_f32_e32 v3, v3, v6
	v_fmac_f32_e32 v7, 0x32a5705f, v1
	v_sub_f32_e32 v4, v4, v8
	v_add_f32_e32 v3, v3, v5
	v_cvt_i32_f32_e32 v6, v6
	v_add_f32_e32 v4, v4, v7
	v_exp_f32_e32 v3, v3
	v_cvt_i32_f32_e32 v8, v8
	v_exp_f32_e32 v4, v4
	v_cmp_ngt_f32_e32 vcc, s4, v2
	v_ldexp_f32 v3, v3, v6
	s_mov_b32 s2, 0x42b17218
	v_ldexp_f32 v4, v4, v8
	v_cndmask_b32_e32 v3, 0, v3, vcc
	v_cmp_ngt_f32_e32 vcc, s4, v1
	v_mov_b32_e32 v5, 0x7f800000
	s_nop 0
	v_cndmask_b32_e32 v4, 0, v4, vcc
	v_cmp_nlt_f32_e32 vcc, s2, v2
	s_nop 1
	v_cndmask_b32_e32 v2, v5, v3, vcc
	v_cvt_f16_f32_e32 v3, v2
	v_cmp_nlt_f32_e32 vcc, s2, v1
	v_pk_mul_f16 v76, v3, v76 op_sel_hi:[0,1]
	s_nop 0
	v_cndmask_b32_e32 v1, v5, v4, vcc
	v_fmac_f32_e32 v1, v49, v2
	v_pk_mul_f16 v75, v3, v75 op_sel_hi:[0,1]
	v_mov_b64_e32 v[48:49], v[0:1]
	v_cmp_gt_i32_e32 vcc, s38, v41
	s_and_saveexec_b64 s[4:5], vcc
	s_cbranch_execnz .LBB68_44
.LBB68_42:
	s_endpgm
.LBB68_43:
	v_mov_b32_e32 v1, v49
	v_cmp_gt_i32_e32 vcc, s38, v41
	s_and_saveexec_b64 s[4:5], vcc
	s_cbranch_execz .LBB68_42
.LBB68_44:
	s_load_dword s2, s[0:1], 0xd4
	s_mul_i32 s33, s33, s38
	v_add_u32_e32 v0, s33, v41
	v_mul_lo_u32 v0, v0, s39
	v_add_u32_e32 v0, s14, v0
	s_waitcnt lgkmcnt(0)
	s_cmp_lg_u32 s2, 1
	v_mul_lo_u32 v0, s2, v0
	s_cselect_b64 s[0:1], -1, 0
	v_add_u32_e32 v0, s3, v0
	s_and_saveexec_b64 s[2:3], s[12:13]
	s_cbranch_execz .LBB68_46
; %bb.45:
	v_div_scale_f32 v4, s[4:5], v1, v1, 1.0
	v_rcp_f32_e32 v5, v4
	v_cvt_f32_f16_sdwa v9, v76 dst_sel:DWORD dst_unused:UNUSED_PAD src0_sel:WORD_1
	v_cvt_f32_f16_sdwa v11, v75 dst_sel:DWORD dst_unused:UNUSED_PAD src0_sel:WORD_1
	v_cvt_f32_f16_e32 v10, v75
	v_fma_f32 v6, -v4, v5, 1.0
	v_fmac_f32_e32 v5, v6, v5
	v_div_scale_f32 v6, vcc, 1.0, v1, 1.0
	v_mul_f32_e32 v7, v6, v5
	v_fma_f32 v8, -v4, v7, v6
	v_fmac_f32_e32 v7, v8, v5
	v_fma_f32 v4, -v4, v7, v6
	v_div_fmas_f32 v4, v4, v5, v7
	v_cvt_f32_f16_e32 v8, v76
	v_div_fixup_f32 v1, v4, v1, 1.0
	s_movk_i32 s4, 0x70
	v_cndmask_b32_e64 v4, v1, 1.0, s[0:1]
	v_mul_lo_u32 v1, v0, s4
	v_mov_b32_e32 v2, s28
	v_mov_b32_e32 v3, s29
	v_lshl_add_u32 v6, v40, 2, v1
	v_mov_b32_e32 v7, 0
	v_lshl_add_u64 v[6:7], v[6:7], 2, v[2:3]
	v_pk_mul_f32 v[2:3], v[4:5], v[8:9] op_sel_hi:[0,1]
	v_pk_mul_f32 v[4:5], v[4:5], v[10:11] op_sel_hi:[0,1]
	global_store_dwordx4 v[6:7], v[2:5], off
.LBB68_46:
	s_or_b64 exec, exec, s[2:3]
	v_cmp_eq_u32_e32 vcc, 0, v40
	s_and_b64 s[0:1], vcc, s[0:1]
	s_and_b64 exec, exec, s[0:1]
	s_cbranch_execz .LBB68_42
; %bb.47:
	v_mov_b32_e32 v2, s30
	v_mov_b32_e32 v3, s31
	v_ashrrev_i32_e32 v1, 31, v0
	v_lshl_add_u64 v[0:1], v[0:1], 3, v[2:3]
	global_store_dwordx2 v[0:1], v[48:49], off
	s_endpgm
	.section	.rodata,"a",@progbits
	.p2align	6, 0x0
	.amdhsa_kernel _ZL15flash_attn_tileILi112ELi112ELi2ELi1ELb0EEvPKcS1_S1_S1_S1_PKiPfP15HIP_vector_typeIfLj2EEffffjfiS5_IjLj3EEiiiiiiiiiiiliiliiiiil
		.amdhsa_group_segment_fixed_size 4736
		.amdhsa_private_segment_fixed_size 32
		.amdhsa_kernarg_size 464
		.amdhsa_user_sgpr_count 2
		.amdhsa_user_sgpr_dispatch_ptr 0
		.amdhsa_user_sgpr_queue_ptr 0
		.amdhsa_user_sgpr_kernarg_segment_ptr 1
		.amdhsa_user_sgpr_dispatch_id 0
		.amdhsa_user_sgpr_kernarg_preload_length 0
		.amdhsa_user_sgpr_kernarg_preload_offset 0
		.amdhsa_user_sgpr_private_segment_size 0
		.amdhsa_uses_dynamic_stack 0
		.amdhsa_enable_private_segment 1
		.amdhsa_system_sgpr_workgroup_id_x 1
		.amdhsa_system_sgpr_workgroup_id_y 1
		.amdhsa_system_sgpr_workgroup_id_z 1
		.amdhsa_system_sgpr_workgroup_info 0
		.amdhsa_system_vgpr_workitem_id 1
		.amdhsa_next_free_vgpr 116
		.amdhsa_next_free_sgpr 52
		.amdhsa_accum_offset 116
		.amdhsa_reserve_vcc 1
		.amdhsa_float_round_mode_32 0
		.amdhsa_float_round_mode_16_64 0
		.amdhsa_float_denorm_mode_32 3
		.amdhsa_float_denorm_mode_16_64 3
		.amdhsa_dx10_clamp 1
		.amdhsa_ieee_mode 1
		.amdhsa_fp16_overflow 0
		.amdhsa_tg_split 0
		.amdhsa_exception_fp_ieee_invalid_op 0
		.amdhsa_exception_fp_denorm_src 0
		.amdhsa_exception_fp_ieee_div_zero 0
		.amdhsa_exception_fp_ieee_overflow 0
		.amdhsa_exception_fp_ieee_underflow 0
		.amdhsa_exception_fp_ieee_inexact 0
		.amdhsa_exception_int_div_zero 0
	.end_amdhsa_kernel
	.section	.text._ZL15flash_attn_tileILi112ELi112ELi2ELi1ELb0EEvPKcS1_S1_S1_S1_PKiPfP15HIP_vector_typeIfLj2EEffffjfiS5_IjLj3EEiiiiiiiiiiiliiliiiiil,"axG",@progbits,_ZL15flash_attn_tileILi112ELi112ELi2ELi1ELb0EEvPKcS1_S1_S1_S1_PKiPfP15HIP_vector_typeIfLj2EEffffjfiS5_IjLj3EEiiiiiiiiiiiliiliiiiil,comdat
.Lfunc_end68:
	.size	_ZL15flash_attn_tileILi112ELi112ELi2ELi1ELb0EEvPKcS1_S1_S1_S1_PKiPfP15HIP_vector_typeIfLj2EEffffjfiS5_IjLj3EEiiiiiiiiiiiliiliiiiil, .Lfunc_end68-_ZL15flash_attn_tileILi112ELi112ELi2ELi1ELb0EEvPKcS1_S1_S1_S1_PKiPfP15HIP_vector_typeIfLj2EEffffjfiS5_IjLj3EEiiiiiiiiiiiliiliiiiil
                                        ; -- End function
	.section	.AMDGPU.csdata,"",@progbits
; Kernel info:
; codeLenInByte = 10380
; NumSgprs: 58
; NumVgprs: 116
; NumAgprs: 0
; TotalNumVgprs: 116
; ScratchSize: 32
; MemoryBound: 0
; FloatMode: 240
; IeeeMode: 1
; LDSByteSize: 4736 bytes/workgroup (compile time only)
; SGPRBlocks: 7
; VGPRBlocks: 14
; NumSGPRsForWavesPerEU: 58
; NumVGPRsForWavesPerEU: 116
; AccumOffset: 116
; Occupancy: 4
; WaveLimiterHint : 1
; COMPUTE_PGM_RSRC2:SCRATCH_EN: 1
; COMPUTE_PGM_RSRC2:USER_SGPR: 2
; COMPUTE_PGM_RSRC2:TRAP_HANDLER: 0
; COMPUTE_PGM_RSRC2:TGID_X_EN: 1
; COMPUTE_PGM_RSRC2:TGID_Y_EN: 1
; COMPUTE_PGM_RSRC2:TGID_Z_EN: 1
; COMPUTE_PGM_RSRC2:TIDIG_COMP_CNT: 1
; COMPUTE_PGM_RSRC3_GFX90A:ACCUM_OFFSET: 28
; COMPUTE_PGM_RSRC3_GFX90A:TG_SPLIT: 0
	.section	.text._ZL33flash_attn_stream_k_fixup_uniformILi112ELi2ELi1EEvPfPK15HIP_vector_typeIfLj2EEiiiiiiS1_IjLj3EES5_S5_,"axG",@progbits,_ZL33flash_attn_stream_k_fixup_uniformILi112ELi2ELi1EEvPfPK15HIP_vector_typeIfLj2EEiiiiiiS1_IjLj3EES5_S5_,comdat
	.globl	_ZL33flash_attn_stream_k_fixup_uniformILi112ELi2ELi1EEvPfPK15HIP_vector_typeIfLj2EEiiiiiiS1_IjLj3EES5_S5_ ; -- Begin function _ZL33flash_attn_stream_k_fixup_uniformILi112ELi2ELi1EEvPfPK15HIP_vector_typeIfLj2EEiiiiiiS1_IjLj3EES5_S5_
	.p2align	8
	.type	_ZL33flash_attn_stream_k_fixup_uniformILi112ELi2ELi1EEvPfPK15HIP_vector_typeIfLj2EEiiiiiiS1_IjLj3EES5_S5_,@function
_ZL33flash_attn_stream_k_fixup_uniformILi112ELi2ELi1EEvPfPK15HIP_vector_typeIfLj2EEiiiiiiS1_IjLj3EES5_S5_: ; @_ZL33flash_attn_stream_k_fixup_uniformILi112ELi2ELi1EEvPfPK15HIP_vector_typeIfLj2EEiiiiiiS1_IjLj3EES5_S5_
; %bb.0:
	s_load_dwordx8 s[8:15], s[0:1], 0x1c
	s_load_dwordx2 s[6:7], s[0:1], 0x10
	s_load_dwordx4 s[16:19], s[0:1], 0x3c
	s_waitcnt lgkmcnt(0)
	s_mul_hi_u32 s5, s11, s2
	s_add_i32 s5, s2, s5
	s_lshr_b32 s5, s5, s12
	s_mul_i32 s11, s5, s13
	s_sub_i32 s12, s2, s11
	s_mul_hi_u32 s11, s12, s14
	s_add_i32 s11, s12, s11
	s_lshr_b32 s11, s11, s15
	s_mul_i32 s13, s11, s16
	s_sub_i32 s12, s12, s13
	;; [unrolled: 5-line block ×3, first 2 shown]
	s_lshl_b32 s12, s17, 1
	s_add_i32 s12, s12, s3
	s_cmp_lt_i32 s12, s6
	s_cselect_b64 s[12:13], -1, 0
	s_add_i32 s16, s16, s4
	s_cmp_lt_i32 s16, s9
	s_cselect_b64 s[14:15], -1, 0
	s_and_b64 s[12:13], s[12:13], s[14:15]
	s_andn2_b64 vcc, exec, s[12:13]
	s_cbranch_vccnz .LBB69_6
; %bb.1:
	s_load_dwordx4 s[12:15], s[0:1], 0x0
	s_mul_i32 s0, s5, s6
	s_mul_i32 s11, s11, s9
	s_add_i32 s0, s0, s3
	s_mul_i32 s0, s0, s7
	s_add_i32 s5, s16, s11
	;; [unrolled: 2-line block ×3, first 2 shown]
	s_mulk_i32 s1, 0xe0
	s_mulk_i32 s0, 0x70
	s_add_i32 s0, s0, s1
	v_add_u32_e32 v4, s0, v0
	s_waitcnt lgkmcnt(0)
	v_mov_b32_e32 v2, s12
	v_mov_b32_e32 v3, s13
	v_ashrrev_i32_e32 v5, 31, v4
	v_lshl_add_u64 v[2:3], v[4:5], 2, v[2:3]
	global_load_dword v7, v[2:3], off
	s_mul_i32 s6, s2, s10
	s_add_i32 s7, s6, s10
	s_add_i32 s3, s3, s4
	s_lshl_b32 s0, s7, 1
	s_add_i32 s0, s3, s0
	s_add_i32 s0, s0, -2
	s_ashr_i32 s1, s0, 31
	s_lshl_b64 s[0:1], s[0:1], 3
	s_add_u32 s0, s14, s0
	s_addc_u32 s1, s15, s1
	s_load_dword s9, s[0:1], 0x4
	s_add_i32 s4, s7, -2
	s_cmp_lt_i32 s4, s6
	s_cbranch_scc1 .LBB69_4
; %bb.2:
	s_lshl_b32 s4, s8, 3
	s_ashr_i32 s5, s4, 31
	s_lshl_b64 s[4:5], s[4:5], 2
	s_add_u32 s4, s14, s4
	s_addc_u32 s5, s15, s5
	s_load_dword s0, s[0:1], 0x0
	s_add_i32 s2, s2, 1
	s_mul_i32 s10, s10, s2
	s_mul_i32 s1, s3, 0x70
	s_lshl_b32 s2, s10, 1
	s_mulk_i32 s10, 0xe0
	s_add_i32 s2, s3, s2
	s_lshl_b32 s3, s8, 1
	s_add_i32 s1, s1, s10
	s_add_i32 s2, s2, s3
	v_add_u32_e32 v0, s1, v0
	s_add_i32 s7, s7, -1
	s_add_i32 s2, s2, -4
	v_add_u32_e32 v0, 0xfffffe40, v0
	s_waitcnt lgkmcnt(0)
	v_mov_b32_e32 v6, s9
	v_mov_b32_e32 v5, s0
	s_mov_b32 s8, 0x3fb8aa3b
	s_mov_b32 s9, 0xc2ce8ed0
	;; [unrolled: 1-line block ×3, first 2 shown]
	v_mov_b32_e32 v4, 0x7f800000
	s_mov_b32 s11, 0xc1a00000
.LBB69_3:                               ; =>This Inner Loop Header: Depth=1
	v_ashrrev_i32_e32 v1, 31, v0
	v_lshl_add_u64 v[8:9], v[0:1], 2, s[4:5]
	global_load_dword v1, v[8:9], off
	s_ashr_i32 s3, s2, 31
	s_lshl_b64 s[0:1], s[2:3], 3
	s_add_u32 s0, s14, s0
	s_addc_u32 s1, s15, s1
	s_load_dwordx2 s[12:13], s[0:1], 0x0
	s_waitcnt vmcnt(1)
	v_mov_b32_e32 v8, v7
	v_max_f32_e32 v7, v5, v5
	v_mov_b32_e32 v9, v6
	s_add_i32 s7, s7, -1
	s_waitcnt lgkmcnt(0)
	v_max_f32_e64 v6, s12, s12
	v_max_f32_e32 v6, v7, v6
	v_sub_f32_e32 v10, s12, v6
	v_sub_f32_e32 v7, v5, v6
	v_mul_f32_e32 v11, 0x3fb8aa3b, v10
	v_mov_b32_e32 v5, v6
	v_mul_f32_e32 v6, 0x3fb8aa3b, v7
	v_fma_f32 v14, v10, s8, -v11
	v_rndne_f32_e32 v15, v11
	v_fma_f32 v12, v7, s8, -v6
	v_rndne_f32_e32 v13, v6
	v_fmac_f32_e32 v14, 0x32a5705f, v10
	v_sub_f32_e32 v11, v11, v15
	v_fmac_f32_e32 v12, 0x32a5705f, v7
	v_sub_f32_e32 v6, v6, v13
	v_add_f32_e32 v11, v11, v14
	v_cvt_i32_f32_e32 v15, v15
	v_add_f32_e32 v6, v6, v12
	v_exp_f32_e32 v11, v11
	v_cvt_i32_f32_e32 v13, v13
	v_exp_f32_e32 v6, v6
	v_cmp_ngt_f32_e32 vcc, s9, v10
	v_ldexp_f32 v11, v11, v15
	v_cmp_ngt_f32_e64 s[0:1], s9, v7
	v_ldexp_f32 v6, v6, v13
	v_cndmask_b32_e32 v11, 0, v11, vcc
	v_cmp_nlt_f32_e32 vcc, s10, v10
	v_cndmask_b32_e64 v6, 0, v6, s[0:1]
	v_cmp_nlt_f32_e64 s[0:1], s10, v7
	v_cndmask_b32_e32 v11, v4, v11, vcc
	v_cmp_le_f32_e32 vcc, s11, v10
	v_cndmask_b32_e64 v6, v4, v6, s[0:1]
	v_cmp_le_f32_e64 s[0:1], s11, v7
	v_cndmask_b32_e32 v7, 0, v11, vcc
	s_add_i32 s2, s2, -2
	v_cndmask_b32_e64 v10, 0, v6, s[0:1]
	v_mul_f32_e32 v6, s13, v7
	v_add_u32_e32 v0, 0xffffff20, v0
	s_cmp_le_i32 s7, s6
	v_fmac_f32_e32 v6, v9, v10
	s_waitcnt vmcnt(0)
	v_mul_f32_e32 v7, v1, v7
	v_fmac_f32_e32 v7, v8, v10
	s_cbranch_scc0 .LBB69_3
	s_branch .LBB69_5
.LBB69_4:
	s_waitcnt lgkmcnt(0)
	v_mov_b32_e32 v6, s9
.LBB69_5:
	s_waitcnt vmcnt(0)
	v_div_scale_f32 v0, s[0:1], v6, v6, v7
	v_rcp_f32_e32 v1, v0
	v_div_scale_f32 v4, vcc, v7, v6, v7
	v_fma_f32 v5, -v0, v1, 1.0
	v_fmac_f32_e32 v1, v5, v1
	v_mul_f32_e32 v5, v4, v1
	v_fma_f32 v8, -v0, v5, v4
	v_fmac_f32_e32 v5, v8, v1
	v_fma_f32 v0, -v0, v5, v4
	v_div_fmas_f32 v0, v0, v1, v5
	v_div_fixup_f32 v0, v0, v6, v7
	global_store_dword v[2:3], v0, off
.LBB69_6:
	s_endpgm
	.section	.rodata,"a",@progbits
	.p2align	6, 0x0
	.amdhsa_kernel _ZL33flash_attn_stream_k_fixup_uniformILi112ELi2ELi1EEvPfPK15HIP_vector_typeIfLj2EEiiiiiiS1_IjLj3EES5_S5_
		.amdhsa_group_segment_fixed_size 0
		.amdhsa_private_segment_fixed_size 0
		.amdhsa_kernarg_size 76
		.amdhsa_user_sgpr_count 2
		.amdhsa_user_sgpr_dispatch_ptr 0
		.amdhsa_user_sgpr_queue_ptr 0
		.amdhsa_user_sgpr_kernarg_segment_ptr 1
		.amdhsa_user_sgpr_dispatch_id 0
		.amdhsa_user_sgpr_kernarg_preload_length 0
		.amdhsa_user_sgpr_kernarg_preload_offset 0
		.amdhsa_user_sgpr_private_segment_size 0
		.amdhsa_uses_dynamic_stack 0
		.amdhsa_enable_private_segment 0
		.amdhsa_system_sgpr_workgroup_id_x 1
		.amdhsa_system_sgpr_workgroup_id_y 1
		.amdhsa_system_sgpr_workgroup_id_z 1
		.amdhsa_system_sgpr_workgroup_info 0
		.amdhsa_system_vgpr_workitem_id 0
		.amdhsa_next_free_vgpr 16
		.amdhsa_next_free_sgpr 20
		.amdhsa_accum_offset 16
		.amdhsa_reserve_vcc 1
		.amdhsa_float_round_mode_32 0
		.amdhsa_float_round_mode_16_64 0
		.amdhsa_float_denorm_mode_32 3
		.amdhsa_float_denorm_mode_16_64 3
		.amdhsa_dx10_clamp 1
		.amdhsa_ieee_mode 1
		.amdhsa_fp16_overflow 0
		.amdhsa_tg_split 0
		.amdhsa_exception_fp_ieee_invalid_op 0
		.amdhsa_exception_fp_denorm_src 0
		.amdhsa_exception_fp_ieee_div_zero 0
		.amdhsa_exception_fp_ieee_overflow 0
		.amdhsa_exception_fp_ieee_underflow 0
		.amdhsa_exception_fp_ieee_inexact 0
		.amdhsa_exception_int_div_zero 0
	.end_amdhsa_kernel
	.section	.text._ZL33flash_attn_stream_k_fixup_uniformILi112ELi2ELi1EEvPfPK15HIP_vector_typeIfLj2EEiiiiiiS1_IjLj3EES5_S5_,"axG",@progbits,_ZL33flash_attn_stream_k_fixup_uniformILi112ELi2ELi1EEvPfPK15HIP_vector_typeIfLj2EEiiiiiiS1_IjLj3EES5_S5_,comdat
.Lfunc_end69:
	.size	_ZL33flash_attn_stream_k_fixup_uniformILi112ELi2ELi1EEvPfPK15HIP_vector_typeIfLj2EEiiiiiiS1_IjLj3EES5_S5_, .Lfunc_end69-_ZL33flash_attn_stream_k_fixup_uniformILi112ELi2ELi1EEvPfPK15HIP_vector_typeIfLj2EEiiiiiiS1_IjLj3EES5_S5_
                                        ; -- End function
	.section	.AMDGPU.csdata,"",@progbits
; Kernel info:
; codeLenInByte = 820
; NumSgprs: 26
; NumVgprs: 16
; NumAgprs: 0
; TotalNumVgprs: 16
; ScratchSize: 0
; MemoryBound: 0
; FloatMode: 240
; IeeeMode: 1
; LDSByteSize: 0 bytes/workgroup (compile time only)
; SGPRBlocks: 3
; VGPRBlocks: 1
; NumSGPRsForWavesPerEU: 26
; NumVGPRsForWavesPerEU: 16
; AccumOffset: 16
; Occupancy: 8
; WaveLimiterHint : 0
; COMPUTE_PGM_RSRC2:SCRATCH_EN: 0
; COMPUTE_PGM_RSRC2:USER_SGPR: 2
; COMPUTE_PGM_RSRC2:TRAP_HANDLER: 0
; COMPUTE_PGM_RSRC2:TGID_X_EN: 1
; COMPUTE_PGM_RSRC2:TGID_Y_EN: 1
; COMPUTE_PGM_RSRC2:TGID_Z_EN: 1
; COMPUTE_PGM_RSRC2:TIDIG_COMP_CNT: 0
; COMPUTE_PGM_RSRC3_GFX90A:ACCUM_OFFSET: 3
; COMPUTE_PGM_RSRC3_GFX90A:TG_SPLIT: 0
	.section	.text._ZL33flash_attn_stream_k_fixup_generalILi112ELi2ELi1EEvPfPK15HIP_vector_typeIfLj2EEiiiiS1_IjLj3EES5_S5_S5_,"axG",@progbits,_ZL33flash_attn_stream_k_fixup_generalILi112ELi2ELi1EEvPfPK15HIP_vector_typeIfLj2EEiiiiS1_IjLj3EES5_S5_S5_,comdat
	.globl	_ZL33flash_attn_stream_k_fixup_generalILi112ELi2ELi1EEvPfPK15HIP_vector_typeIfLj2EEiiiiS1_IjLj3EES5_S5_S5_ ; -- Begin function _ZL33flash_attn_stream_k_fixup_generalILi112ELi2ELi1EEvPfPK15HIP_vector_typeIfLj2EEiiiiS1_IjLj3EES5_S5_S5_
	.p2align	8
	.type	_ZL33flash_attn_stream_k_fixup_generalILi112ELi2ELi1EEvPfPK15HIP_vector_typeIfLj2EEiiiiS1_IjLj3EES5_S5_S5_,@function
_ZL33flash_attn_stream_k_fixup_generalILi112ELi2ELi1EEvPfPK15HIP_vector_typeIfLj2EEiiiiS1_IjLj3EES5_S5_S5_: ; @_ZL33flash_attn_stream_k_fixup_generalILi112ELi2ELi1EEvPfPK15HIP_vector_typeIfLj2EEiiiiS1_IjLj3EES5_S5_S5_
; %bb.0:
	s_load_dwordx4 s[12:15], s[0:1], 0x10
	s_load_dword s22, s[0:1], 0x50
	s_mov_b32 s8, 0
	s_waitcnt lgkmcnt(0)
	s_mul_hi_i32 s9, s15, s2
	s_cmp_lg_u64 s[8:9], 0
	s_mul_i32 s5, s15, s2
	s_cbranch_scc0 .LBB70_21
; %bb.1:
	v_cvt_f32_u32_e32 v1, s22
	v_cvt_f32_ubyte0_e32 v2, 0
	s_sub_u32 s8, 0, s22
	s_subb_u32 s10, 0, 0
	v_fmamk_f32 v1, v2, 0x4f800000, v1
	v_rcp_f32_e32 v1, v1
	s_nop 0
	v_mul_f32_e32 v1, 0x5f7ffffc, v1
	v_mul_f32_e32 v2, 0x2f800000, v1
	v_trunc_f32_e32 v2, v2
	v_fmamk_f32 v1, v2, 0xcf800000, v1
	v_cvt_u32_f32_e32 v2, v2
	v_cvt_u32_f32_e32 v1, v1
	v_readfirstlane_b32 s11, v2
	v_readfirstlane_b32 s16, v1
	s_mul_i32 s17, s8, s11
	s_mul_hi_u32 s19, s8, s16
	s_mul_i32 s18, s10, s16
	s_add_i32 s17, s19, s17
	s_add_i32 s17, s17, s18
	s_mul_i32 s20, s8, s16
	s_mul_hi_u32 s18, s16, s17
	s_mul_i32 s19, s16, s17
	s_mul_hi_u32 s16, s16, s20
	s_add_u32 s16, s16, s19
	s_addc_u32 s18, 0, s18
	s_mul_hi_u32 s21, s11, s20
	s_mul_i32 s20, s11, s20
	s_add_u32 s16, s16, s20
	s_mul_hi_u32 s19, s11, s17
	s_addc_u32 s16, s18, s21
	s_addc_u32 s18, s19, 0
	s_mul_i32 s17, s11, s17
	s_add_u32 s16, s16, s17
	s_addc_u32 s17, 0, s18
	v_add_co_u32_e32 v1, vcc, s16, v1
	s_cmp_lg_u64 vcc, 0
	s_addc_u32 s11, s11, s17
	v_readfirstlane_b32 s17, v1
	s_mul_i32 s16, s8, s11
	s_mul_hi_u32 s18, s8, s17
	s_add_i32 s16, s18, s16
	s_mul_i32 s10, s10, s17
	s_add_i32 s16, s16, s10
	s_mul_i32 s8, s8, s17
	s_mul_hi_u32 s18, s11, s8
	s_mul_i32 s19, s11, s8
	s_mul_i32 s21, s17, s16
	s_mul_hi_u32 s8, s17, s8
	s_mul_hi_u32 s20, s17, s16
	s_add_u32 s8, s8, s21
	s_addc_u32 s17, 0, s20
	s_add_u32 s8, s8, s19
	s_mul_hi_u32 s10, s11, s16
	s_addc_u32 s8, s17, s18
	s_addc_u32 s10, s10, 0
	s_mul_i32 s16, s11, s16
	s_add_u32 s8, s8, s16
	s_addc_u32 s10, 0, s10
	v_add_co_u32_e32 v1, vcc, s8, v1
	s_cmp_lg_u64 vcc, 0
	s_addc_u32 s16, s11, s10
	s_ashr_i32 s10, s9, 31
	s_add_u32 s8, s5, s10
	s_mov_b32 s11, s10
	s_addc_u32 s9, s9, s10
	s_xor_b64 s[8:9], s[8:9], s[10:11]
	v_readfirstlane_b32 s19, v1
	s_mul_i32 s18, s8, s16
	s_mul_hi_u32 s20, s8, s19
	s_mul_hi_u32 s17, s8, s16
	s_add_u32 s18, s20, s18
	s_addc_u32 s17, 0, s17
	s_mul_hi_u32 s21, s9, s19
	s_mul_i32 s19, s9, s19
	s_add_u32 s18, s18, s19
	s_mul_hi_u32 s20, s9, s16
	s_addc_u32 s17, s17, s21
	s_addc_u32 s18, s20, 0
	s_mul_i32 s16, s9, s16
	s_add_u32 s16, s17, s16
	s_addc_u32 s17, 0, s18
	s_add_u32 s18, s16, 1
	s_addc_u32 s19, s17, 0
	s_add_u32 s20, s16, 2
	s_mul_i32 s23, s22, s17
	s_mul_hi_u32 s24, s22, s16
	s_addc_u32 s21, s17, 0
	s_add_i32 s24, s24, s23
	s_mul_i32 s23, s22, s16
	v_mov_b32_e32 v1, s23
	v_sub_co_u32_e32 v1, vcc, s8, v1
	s_cmp_lg_u64 vcc, 0
	s_subb_u32 s8, s9, s24
	v_subrev_co_u32_e32 v2, vcc, s22, v1
	s_cmp_lg_u64 vcc, 0
	s_subb_u32 s9, s8, 0
	v_readfirstlane_b32 s23, v2
	s_cmp_ge_u32 s23, s22
	s_cselect_b32 s23, -1, 0
	s_cmp_eq_u32 s9, 0
	s_cselect_b32 s9, s23, -1
	s_cmp_lg_u32 s9, 0
	s_cselect_b32 s9, s21, s19
	v_readfirstlane_b32 s19, v1
	s_cselect_b32 s18, s20, s18
	s_cmp_ge_u32 s19, s22
	s_cselect_b32 s19, -1, 0
	s_cmp_eq_u32 s8, 0
	s_cselect_b32 s8, s19, -1
	s_cmp_lg_u32 s8, 0
	s_cselect_b32 s9, s9, s17
	s_cselect_b32 s8, s18, s16
	s_xor_b64 s[8:9], s[8:9], s[10:11]
	s_sub_u32 s20, s8, s10
	s_load_dwordx4 s[16:19], s[0:1], 0x44
	s_cbranch_execnz .LBB70_3
.LBB70_2:
	v_cvt_f32_u32_e32 v1, s22
	s_sub_i32 s6, 0, s22
	v_rcp_iflag_f32_e32 v1, v1
	s_nop 0
	v_mul_f32_e32 v1, 0x4f7ffffe, v1
	v_cvt_u32_f32_e32 v1, v1
	s_nop 0
	v_readfirstlane_b32 s7, v1
	s_mul_i32 s6, s6, s7
	s_mul_hi_u32 s6, s7, s6
	s_add_i32 s7, s7, s6
	s_mul_hi_u32 s6, s5, s7
	s_mul_i32 s8, s6, s22
	s_sub_i32 s5, s5, s8
	s_add_i32 s7, s6, 1
	s_sub_i32 s8, s5, s22
	s_cmp_ge_u32 s5, s22
	s_cselect_b32 s6, s7, s6
	s_cselect_b32 s5, s8, s5
	s_add_i32 s7, s6, 1
	s_cmp_ge_u32 s5, s22
	s_cselect_b32 s20, s7, s6
.LBB70_3:
	s_add_i32 s5, s2, 1
	s_mul_hi_i32 s9, s15, s5
	s_mov_b32 s8, 0
	s_cmp_lg_u64 s[8:9], 0
	s_mul_i32 s5, s15, s5
	s_cbranch_scc0 .LBB70_22
; %bb.4:
	v_cvt_f32_u32_e32 v1, s22
	v_cvt_f32_ubyte0_e32 v2, 0
	s_sub_u32 s8, 0, s22
	s_subb_u32 s10, 0, 0
	v_fmamk_f32 v1, v2, 0x4f800000, v1
	v_rcp_f32_e32 v1, v1
	s_nop 0
	v_mul_f32_e32 v1, 0x5f7ffffc, v1
	v_mul_f32_e32 v2, 0x2f800000, v1
	v_trunc_f32_e32 v2, v2
	v_fmamk_f32 v1, v2, 0xcf800000, v1
	v_cvt_u32_f32_e32 v2, v2
	v_cvt_u32_f32_e32 v1, v1
	v_readfirstlane_b32 s11, v2
	s_waitcnt lgkmcnt(0)
	v_readfirstlane_b32 s19, v1
	s_mul_i32 s21, s8, s11
	s_mul_hi_u32 s24, s8, s19
	s_mul_i32 s23, s10, s19
	s_add_i32 s21, s24, s21
	s_add_i32 s21, s21, s23
	s_mul_i32 s25, s8, s19
	s_mul_hi_u32 s23, s19, s21
	s_mul_i32 s24, s19, s21
	s_mul_hi_u32 s19, s19, s25
	s_add_u32 s19, s19, s24
	s_addc_u32 s23, 0, s23
	s_mul_hi_u32 s26, s11, s25
	s_mul_i32 s25, s11, s25
	s_add_u32 s19, s19, s25
	s_mul_hi_u32 s24, s11, s21
	s_addc_u32 s19, s23, s26
	s_addc_u32 s23, s24, 0
	s_mul_i32 s21, s11, s21
	s_add_u32 s19, s19, s21
	s_addc_u32 s21, 0, s23
	v_add_co_u32_e32 v1, vcc, s19, v1
	s_cmp_lg_u64 vcc, 0
	s_addc_u32 s11, s11, s21
	v_readfirstlane_b32 s21, v1
	s_mul_i32 s19, s8, s11
	s_mul_hi_u32 s23, s8, s21
	s_add_i32 s19, s23, s19
	s_mul_i32 s10, s10, s21
	s_add_i32 s19, s19, s10
	s_mul_i32 s8, s8, s21
	s_mul_hi_u32 s23, s11, s8
	s_mul_i32 s24, s11, s8
	s_mul_i32 s26, s21, s19
	s_mul_hi_u32 s8, s21, s8
	s_mul_hi_u32 s25, s21, s19
	s_add_u32 s8, s8, s26
	s_addc_u32 s21, 0, s25
	s_add_u32 s8, s8, s24
	s_mul_hi_u32 s10, s11, s19
	s_addc_u32 s8, s21, s23
	s_addc_u32 s10, s10, 0
	s_mul_i32 s19, s11, s19
	s_add_u32 s8, s8, s19
	s_addc_u32 s10, 0, s10
	v_add_co_u32_e32 v1, vcc, s8, v1
	s_cmp_lg_u64 vcc, 0
	s_addc_u32 s19, s11, s10
	s_ashr_i32 s10, s9, 31
	s_add_u32 s8, s5, s10
	s_mov_b32 s11, s10
	s_addc_u32 s9, s9, s10
	s_xor_b64 s[8:9], s[8:9], s[10:11]
	v_readfirstlane_b32 s23, v1
	s_mul_i32 s21, s8, s19
	s_mul_hi_u32 s24, s8, s23
	s_mul_hi_u32 s11, s8, s19
	s_add_u32 s21, s24, s21
	s_addc_u32 s11, 0, s11
	s_mul_hi_u32 s25, s9, s23
	s_mul_i32 s23, s9, s23
	s_add_u32 s21, s21, s23
	s_mul_hi_u32 s24, s9, s19
	s_addc_u32 s11, s11, s25
	s_addc_u32 s21, s24, 0
	s_mul_i32 s19, s9, s19
	s_add_u32 s11, s11, s19
	s_addc_u32 s19, 0, s21
	s_mul_i32 s19, s22, s19
	s_mul_hi_u32 s24, s22, s11
	s_add_i32 s24, s24, s19
	s_mul_i32 s19, s22, s11
	v_mov_b32_e32 v1, s19
	s_add_u32 s21, s11, 1
	s_add_u32 s23, s11, 2
	v_sub_co_u32_e32 v1, vcc, s8, v1
	s_cmp_lg_u64 vcc, 0
	s_subb_u32 s8, s9, s24
	v_subrev_co_u32_e32 v2, vcc, s22, v1
	s_cmp_lg_u64 vcc, 0
	s_subb_u32 s9, s8, 0
	v_cmp_le_u32_e32 vcc, s22, v2
	s_cmp_eq_u32 s9, 0
	v_mov_b32_e32 v3, s21
	v_cndmask_b32_e64 v2, 0, -1, vcc
	s_cselect_b64 vcc, -1, 0
	v_cndmask_b32_e32 v2, -1, v2, vcc
	v_mov_b32_e32 v4, s23
	v_cmp_ne_u32_e32 vcc, 0, v2
	s_cmp_eq_u32 s8, 0
	s_nop 0
	v_cndmask_b32_e32 v2, v3, v4, vcc
	v_cmp_le_u32_e32 vcc, s22, v1
	v_mov_b32_e32 v3, s11
	s_nop 0
	v_cndmask_b32_e64 v1, 0, -1, vcc
	s_cselect_b64 vcc, -1, 0
	v_cndmask_b32_e32 v1, -1, v1, vcc
	v_cmp_ne_u32_e32 vcc, 0, v1
	s_nop 1
	v_cndmask_b32_e32 v1, v3, v2, vcc
	v_xor_b32_e32 v1, s10, v1
	v_subrev_co_u32_e32 v2, vcc, s10, v1
	s_cbranch_execnz .LBB70_6
.LBB70_5:
	v_cvt_f32_u32_e32 v1, s22
	s_sub_i32 s6, 0, s22
	s_mov_b32 s7, 0
	v_rcp_iflag_f32_e32 v1, v1
	s_nop 0
	v_mul_f32_e32 v1, 0x4f7ffffe, v1
	v_cvt_u32_f32_e32 v1, v1
	s_nop 0
	v_readfirstlane_b32 s8, v1
	s_mul_i32 s6, s6, s8
	s_mul_hi_u32 s6, s8, s6
	s_add_i32 s8, s8, s6
	s_mul_hi_u32 s6, s5, s8
	s_mul_i32 s9, s6, s22
	s_sub_i32 s5, s5, s9
	s_add_i32 s8, s6, 1
	s_sub_i32 s9, s5, s22
	s_cmp_ge_u32 s5, s22
	s_cselect_b32 s6, s8, s6
	s_cselect_b32 s5, s9, s5
	s_add_i32 s8, s6, 1
	s_cmp_ge_u32 s5, s22
	s_cselect_b32 s6, s8, s6
	v_mov_b64_e32 v[2:3], s[6:7]
.LBB70_6:
	s_waitcnt lgkmcnt(0)
	s_mul_hi_u32 s5, s20, s16
	s_add_i32 s5, s5, s20
	v_mul_hi_u32 v1, v2, s16
	s_lshr_b32 s19, s5, s17
	v_add_u32_e32 v1, v1, v2
	s_mul_i32 s5, s19, s18
	v_lshrrev_b32_e32 v1, s17, v1
	s_cmp_eq_u32 s5, s20
	v_cmp_eq_u32_e64 s[6:7], s19, v1
	v_mul_lo_u32 v1, v1, s18
	v_cmp_eq_u32_e32 vcc, s20, v2
	s_cselect_b64 s[10:11], -1, 0
	v_cmp_ne_u32_e64 s[8:9], v1, v2
	s_and_b64 s[6:7], s[6:7], s[8:9]
	s_or_b64 s[8:9], vcc, s[10:11]
	s_or_b64 s[6:7], s[8:9], s[6:7]
	s_and_b64 vcc, exec, s[6:7]
	s_cbranch_vccnz .LBB70_24
; %bb.7:
	s_load_dwordx8 s[24:31], s[0:1], 0x20
	s_load_dword s5, s[0:1], 0x40
	s_waitcnt lgkmcnt(0)
	s_mul_hi_u32 s6, s20, s24
	s_add_i32 s6, s6, s20
	s_lshr_b32 s7, s6, s25
	s_mul_i32 s6, s7, s26
	s_sub_i32 s6, s20, s6
	s_mul_hi_u32 s8, s6, s27
	s_add_i32 s8, s6, s8
	s_lshr_b32 s23, s8, s28
	s_mul_i32 s8, s23, s29
	s_sub_i32 s6, s6, s8
	;; [unrolled: 5-line block ×3, first 2 shown]
	s_mul_hi_u32 s6, s5, s16
	s_add_i32 s5, s5, s6
	s_lshr_b32 s24, s5, s17
	s_lshl_b32 s5, s24, 1
	s_add_i32 s5, s5, s3
	s_cmp_lt_i32 s5, s12
	s_cselect_b64 s[8:9], -1, 0
	s_add_i32 s25, s25, s4
	s_cmp_lt_i32 s25, s14
	s_cselect_b64 s[10:11], -1, 0
	s_and_b64 s[8:9], s[8:9], s[10:11]
	s_andn2_b64 vcc, exec, s[8:9]
	s_mov_b32 s6, 0
	s_cbranch_vccnz .LBB70_24
; %bb.8:
	s_load_dwordx4 s[8:11], s[0:1], 0x0
	s_lshl_b32 s0, s22, 3
	s_mov_b32 s1, s6
	s_add_i32 s21, s3, s4
	s_lshl_b64 s[0:1], s[0:1], 2
	s_waitcnt lgkmcnt(0)
	s_add_u32 s4, s10, s0
	s_mul_i32 s0, s7, s12
	s_addc_u32 s5, s11, s1
	s_mul_i32 s23, s23, s14
	s_add_i32 s0, s0, s3
	s_mul_i32 s0, s0, s13
	s_add_i32 s3, s25, s23
	;; [unrolled: 2-line block ×3, first 2 shown]
	s_mulk_i32 s1, 0xe0
	s_mulk_i32 s0, 0x70
	s_add_i32 s1, s1, s0
	v_add_u32_e32 v4, s1, v0
	v_mov_b32_e32 v2, s8
	v_mov_b32_e32 v3, s9
	v_ashrrev_i32_e32 v5, 31, v4
	v_lshl_add_u64 v[2:3], v[4:5], 2, v[2:3]
	global_load_dword v5, v[2:3], off
	s_lshl_b32 s0, s2, 1
	s_add_i32 s0, s0, s21
	s_ashr_i32 s1, s0, 31
	s_lshl_b64 s[0:1], s[0:1], 3
	s_add_u32 s0, s10, s0
	s_addc_u32 s1, s11, s1
	s_add_i32 s12, s2, -1
	s_mul_i32 s2, s21, 0x70
	v_add_u32_e32 v4, s2, v0
	v_cvt_f32_u32_e32 v0, s22
	v_cvt_f32_ubyte0_e32 v1, 0
	s_load_dwordx2 s[0:1], s[0:1], 0x0
	v_mov_b32_e32 v8, s20
	v_fmac_f32_e32 v0, 0x4f800000, v1
	v_rcp_f32_e32 v0, v0
	v_cvt_f32_u32_e32 v1, s22
	s_waitcnt lgkmcnt(0)
	v_mov_b32_e32 v6, s1
	v_mov_b32_e32 v7, s0
	v_mul_f32_e32 v0, 0x5f7ffffc, v0
	v_rcp_iflag_f32_e32 v1, v1
	v_mul_f32_e32 v9, 0x2f800000, v0
	v_trunc_f32_e32 v10, v9
	v_fmac_f32_e32 v0, 0xcf800000, v10
	v_cvt_u32_f32_e32 v9, v0
	v_mul_f32_e32 v0, 0x4f7ffffe, v1
	v_cvt_u32_f32_e32 v10, v10
	v_cvt_u32_f32_e32 v11, v0
	s_mov_b32 s8, 0x3fb8aa3b
	s_mov_b32 s9, 0xc2ce8ed0
	;; [unrolled: 1-line block ×4, first 2 shown]
	v_mov_b32_e32 v12, 0x7f800000
	s_mul_hi_i32 s7, s12, s15
	s_cmp_lg_u64 s[6:7], 0
	s_mul_i32 s2, s12, s15
	s_cbranch_scc0 .LBB70_15
.LBB70_9:
	s_sub_u32 s0, 0, s22
	v_readfirstlane_b32 s3, v9
	v_readfirstlane_b32 s24, v10
	s_subb_u32 s1, 0, 0
	s_mul_hi_u32 s23, s0, s3
	s_mul_i32 s25, s0, s24
	s_mul_i32 s20, s1, s3
	s_add_i32 s23, s23, s25
	s_add_i32 s23, s23, s20
	s_mul_i32 s26, s0, s3
	s_mul_hi_u32 s20, s3, s23
	s_mul_i32 s25, s3, s23
	s_mul_hi_u32 s3, s3, s26
	s_add_u32 s3, s3, s25
	s_addc_u32 s20, 0, s20
	s_mul_hi_u32 s27, s24, s26
	s_mul_i32 s26, s24, s26
	s_add_u32 s3, s3, s26
	s_mul_hi_u32 s25, s24, s23
	s_addc_u32 s3, s20, s27
	s_addc_u32 s20, s25, 0
	s_mul_i32 s23, s24, s23
	s_add_u32 s3, s3, s23
	s_addc_u32 s20, 0, s20
	v_add_co_u32_e32 v0, vcc, s3, v9
	s_cmp_lg_u64 vcc, 0
	s_addc_u32 s3, s24, s20
	v_readfirstlane_b32 s23, v0
	s_mul_i32 s20, s0, s3
	s_mul_hi_u32 s24, s0, s23
	s_add_i32 s20, s24, s20
	s_mul_i32 s1, s1, s23
	s_add_i32 s20, s20, s1
	s_mul_i32 s0, s0, s23
	s_mul_hi_u32 s24, s3, s0
	s_mul_i32 s25, s3, s0
	s_mul_i32 s27, s23, s20
	s_mul_hi_u32 s0, s23, s0
	s_mul_hi_u32 s26, s23, s20
	s_add_u32 s0, s0, s27
	s_addc_u32 s23, 0, s26
	s_add_u32 s0, s0, s25
	s_mul_hi_u32 s1, s3, s20
	s_addc_u32 s0, s23, s24
	s_addc_u32 s1, s1, 0
	s_mul_i32 s20, s3, s20
	s_add_u32 s0, s0, s20
	s_addc_u32 s1, 0, s1
	v_add_co_u32_e32 v0, vcc, s0, v0
	s_cmp_lg_u64 vcc, 0
	s_addc_u32 s3, s3, s1
	s_ashr_i32 s0, s7, 31
	s_add_u32 s24, s2, s0
	s_mov_b32 s1, s0
	s_addc_u32 s25, s7, s0
	s_xor_b64 s[24:25], s[24:25], s[0:1]
	v_readfirstlane_b32 s20, v0
	s_mul_i32 s7, s24, s3
	s_mul_hi_u32 s23, s24, s20
	s_mul_hi_u32 s1, s24, s3
	s_add_u32 s7, s23, s7
	s_addc_u32 s1, 0, s1
	s_mul_hi_u32 s26, s25, s20
	s_mul_i32 s20, s25, s20
	s_add_u32 s7, s7, s20
	s_mul_hi_u32 s23, s25, s3
	s_addc_u32 s1, s1, s26
	s_addc_u32 s7, s23, 0
	s_mul_i32 s3, s25, s3
	s_add_u32 s1, s1, s3
	s_addc_u32 s3, 0, s7
	s_mul_i32 s3, s22, s3
	s_mul_hi_u32 s23, s22, s1
	s_add_i32 s23, s23, s3
	s_mul_i32 s3, s22, s1
	v_mov_b32_e32 v0, s3
	s_add_u32 s7, s1, 1
	s_add_u32 s20, s1, 2
	v_sub_co_u32_e32 v0, vcc, s24, v0
	s_cmp_lg_u64 vcc, 0
	s_subb_u32 s3, s25, s23
	v_subrev_co_u32_e32 v1, vcc, s22, v0
	s_cmp_lg_u64 vcc, 0
	s_subb_u32 s23, s3, 0
	v_cmp_le_u32_e32 vcc, s22, v1
	s_cmp_eq_u32 s23, 0
	v_mov_b32_e32 v13, s7
	v_cndmask_b32_e64 v1, 0, -1, vcc
	s_cselect_b64 vcc, -1, 0
	v_cndmask_b32_e32 v1, -1, v1, vcc
	v_mov_b32_e32 v14, s20
	v_cmp_ne_u32_e32 vcc, 0, v1
	s_cmp_eq_u32 s3, 0
	s_nop 0
	v_cndmask_b32_e32 v1, v13, v14, vcc
	v_cmp_le_u32_e32 vcc, s22, v0
	v_mov_b32_e32 v13, s1
	s_nop 0
	v_cndmask_b32_e64 v0, 0, -1, vcc
	s_cselect_b64 vcc, -1, 0
	v_cndmask_b32_e32 v0, -1, v0, vcc
	v_cmp_ne_u32_e32 vcc, 0, v0
	s_nop 1
	v_cndmask_b32_e32 v0, v13, v1, vcc
	v_xor_b32_e32 v0, s0, v0
	v_subrev_co_u32_e32 v0, vcc, s0, v0
	s_cbranch_execnz .LBB70_11
.LBB70_10:
	s_sub_i32 s0, 0, s22
	v_mul_lo_u32 v0, s0, v11
	v_mul_hi_u32 v0, v11, v0
	v_add_u32_e32 v0, v11, v0
	v_mul_hi_u32 v0, s2, v0
	v_mul_lo_u32 v13, v0, s22
	v_sub_u32_e32 v13, s2, v13
	v_add_u32_e32 v1, 1, v0
	v_subrev_u32_e32 v14, s22, v13
	v_cmp_le_u32_e32 vcc, s22, v13
	s_nop 1
	v_cndmask_b32_e32 v13, v13, v14, vcc
	v_cndmask_b32_e32 v0, v0, v1, vcc
	v_add_u32_e32 v1, 1, v0
	v_cmp_le_u32_e32 vcc, s22, v13
	s_nop 1
	v_cndmask_b32_e32 v0, v0, v1, vcc
.LBB70_11:
	v_cmp_ne_u32_e32 vcc, v8, v0
	s_cbranch_vccz .LBB70_14
; %bb.12:
	s_add_i32 s0, s12, s22
	s_lshl_b32 s0, s0, 1
	v_mul_hi_u32 v1, v0, s16
	s_add_i32 s0, s0, s21
	s_mov_b32 s1, s6
	v_add_u32_e32 v1, v1, v0
	s_lshl_b64 s[0:1], s[0:1], 3
	v_lshrrev_b32_e32 v1, s17, v1
	s_add_u32 s2, s10, s0
	v_mul_lo_u32 v13, v1, s18
	s_addc_u32 s3, s11, s1
	v_cmp_eq_u32_e32 vcc, v13, v0
	v_cmp_gt_u32_e64 s[0:1], s19, v1
	s_or_b64 s[0:1], s[0:1], vcc
	s_and_b64 vcc, exec, s[0:1]
	s_cbranch_vccnz .LBB70_16
; %bb.13:
	s_add_i32 s7, s12, -1
	s_mov_b64 s[0:1], 0
	s_branch .LBB70_17
.LBB70_14:
                                        ; implicit-def: $sgpr0_sgpr1
                                        ; implicit-def: $vgpr14
                                        ; implicit-def: $vgpr1
                                        ; implicit-def: $vgpr13
                                        ; implicit-def: $sgpr7
                                        ; implicit-def: $vgpr0
	s_branch .LBB70_18
.LBB70_15:
                                        ; implicit-def: $vgpr0_vgpr1
	s_branch .LBB70_10
.LBB70_16:
	s_mov_b64 s[0:1], -1
	s_mov_b32 s7, s12
	v_mov_b32_e32 v0, v8
.LBB70_17:
	s_mul_i32 s20, s12, 0xe0
	v_add_u32_e32 v14, s20, v4
	v_ashrrev_i32_e32 v15, 31, v14
	v_lshl_add_u64 v[14:15], v[14:15], 2, s[4:5]
	global_load_dword v14, v[14:15], off
	s_load_dwordx2 s[2:3], s[2:3], 0x0
	v_max_f32_e32 v1, v7, v7
	s_waitcnt lgkmcnt(0)
	v_max_f32_e64 v13, s2, s2
	v_max_f32_e32 v1, v1, v13
	v_sub_f32_e32 v13, v7, v1
	v_sub_f32_e32 v15, s2, v1
	v_mul_f32_e32 v16, 0x3fb8aa3b, v13
	v_mul_f32_e32 v17, 0x3fb8aa3b, v15
	v_fma_f32 v18, v13, s8, -v16
	v_rndne_f32_e32 v19, v16
	v_fma_f32 v20, v15, s8, -v17
	v_rndne_f32_e32 v21, v17
	v_fmac_f32_e32 v18, 0x32a5705f, v13
	v_sub_f32_e32 v16, v16, v19
	v_fmac_f32_e32 v20, 0x32a5705f, v15
	v_sub_f32_e32 v17, v17, v21
	v_add_f32_e32 v16, v16, v18
	v_cvt_i32_f32_e32 v19, v19
	v_add_f32_e32 v17, v17, v20
	v_exp_f32_e32 v16, v16
	v_cvt_i32_f32_e32 v21, v21
	v_exp_f32_e32 v17, v17
	v_cmp_ngt_f32_e32 vcc, s9, v13
	v_ldexp_f32 v16, v16, v19
	v_ldexp_f32 v17, v17, v21
	v_cndmask_b32_e32 v16, 0, v16, vcc
	v_cmp_ngt_f32_e32 vcc, s9, v15
	s_nop 1
	v_cndmask_b32_e32 v17, 0, v17, vcc
	v_cmp_nlt_f32_e32 vcc, s13, v13
	s_nop 1
	v_cndmask_b32_e32 v16, v12, v16, vcc
	v_cmp_nlt_f32_e32 vcc, s13, v15
	s_nop 1
	v_cndmask_b32_e32 v17, v12, v17, vcc
	v_cmp_le_f32_e32 vcc, s14, v13
	s_nop 1
	v_cndmask_b32_e32 v16, 0, v16, vcc
	v_cmp_le_f32_e32 vcc, s14, v15
	s_nop 1
	v_cndmask_b32_e32 v15, 0, v17, vcc
	v_mul_f32_e32 v13, s3, v15
	v_fmac_f32_e32 v13, v6, v16
	s_waitcnt vmcnt(0)
	v_mul_f32_e32 v14, v14, v15
	v_fmac_f32_e32 v14, v5, v16
	s_cbranch_execnz .LBB70_19
.LBB70_18:
	s_add_i32 s7, s12, -1
	s_mov_b64 s[0:1], 0
	v_mov_b32_e32 v0, v8
	v_mov_b32_e32 v13, v6
	;; [unrolled: 1-line block ×3, first 2 shown]
	s_waitcnt vmcnt(0)
	v_mov_b32_e32 v14, v5
.LBB70_19:
	s_andn2_b64 vcc, exec, s[0:1]
	s_cbranch_vccz .LBB70_23
; %bb.20:
	v_mov_b32_e32 v8, v0
	s_mov_b32 s12, s7
	v_mov_b32_e32 v6, v13
	v_mov_b32_e32 v7, v1
	s_waitcnt vmcnt(0)
	v_mov_b32_e32 v5, v14
	s_mul_hi_i32 s7, s12, s15
	s_cmp_lg_u64 s[6:7], 0
	s_mul_i32 s2, s12, s15
	s_cbranch_scc1 .LBB70_9
	s_branch .LBB70_15
.LBB70_21:
                                        ; implicit-def: $sgpr20_sgpr21
	s_load_dwordx4 s[16:19], s[0:1], 0x44
	s_branch .LBB70_2
.LBB70_22:
                                        ; implicit-def: $vgpr2_vgpr3
	s_branch .LBB70_5
.LBB70_23:
	v_div_scale_f32 v0, s[0:1], v13, v13, v14
	v_rcp_f32_e32 v1, v0
	v_div_scale_f32 v4, vcc, v14, v13, v14
	s_waitcnt vmcnt(0)
	v_fma_f32 v5, -v0, v1, 1.0
	v_fmac_f32_e32 v1, v5, v1
	v_mul_f32_e32 v5, v4, v1
	v_fma_f32 v6, -v0, v5, v4
	v_fmac_f32_e32 v5, v6, v1
	v_fma_f32 v0, -v0, v5, v4
	v_div_fmas_f32 v0, v0, v1, v5
	v_div_fixup_f32 v0, v0, v13, v14
	global_store_dword v[2:3], v0, off
.LBB70_24:
	s_endpgm
	.section	.rodata,"a",@progbits
	.p2align	6, 0x0
	.amdhsa_kernel _ZL33flash_attn_stream_k_fixup_generalILi112ELi2ELi1EEvPfPK15HIP_vector_typeIfLj2EEiiiiS1_IjLj3EES5_S5_S5_
		.amdhsa_group_segment_fixed_size 0
		.amdhsa_private_segment_fixed_size 0
		.amdhsa_kernarg_size 336
		.amdhsa_user_sgpr_count 2
		.amdhsa_user_sgpr_dispatch_ptr 0
		.amdhsa_user_sgpr_queue_ptr 0
		.amdhsa_user_sgpr_kernarg_segment_ptr 1
		.amdhsa_user_sgpr_dispatch_id 0
		.amdhsa_user_sgpr_kernarg_preload_length 0
		.amdhsa_user_sgpr_kernarg_preload_offset 0
		.amdhsa_user_sgpr_private_segment_size 0
		.amdhsa_uses_dynamic_stack 0
		.amdhsa_enable_private_segment 0
		.amdhsa_system_sgpr_workgroup_id_x 1
		.amdhsa_system_sgpr_workgroup_id_y 1
		.amdhsa_system_sgpr_workgroup_id_z 1
		.amdhsa_system_sgpr_workgroup_info 0
		.amdhsa_system_vgpr_workitem_id 0
		.amdhsa_next_free_vgpr 22
		.amdhsa_next_free_sgpr 32
		.amdhsa_accum_offset 24
		.amdhsa_reserve_vcc 1
		.amdhsa_float_round_mode_32 0
		.amdhsa_float_round_mode_16_64 0
		.amdhsa_float_denorm_mode_32 3
		.amdhsa_float_denorm_mode_16_64 3
		.amdhsa_dx10_clamp 1
		.amdhsa_ieee_mode 1
		.amdhsa_fp16_overflow 0
		.amdhsa_tg_split 0
		.amdhsa_exception_fp_ieee_invalid_op 0
		.amdhsa_exception_fp_denorm_src 0
		.amdhsa_exception_fp_ieee_div_zero 0
		.amdhsa_exception_fp_ieee_overflow 0
		.amdhsa_exception_fp_ieee_underflow 0
		.amdhsa_exception_fp_ieee_inexact 0
		.amdhsa_exception_int_div_zero 0
	.end_amdhsa_kernel
	.section	.text._ZL33flash_attn_stream_k_fixup_generalILi112ELi2ELi1EEvPfPK15HIP_vector_typeIfLj2EEiiiiS1_IjLj3EES5_S5_S5_,"axG",@progbits,_ZL33flash_attn_stream_k_fixup_generalILi112ELi2ELi1EEvPfPK15HIP_vector_typeIfLj2EEiiiiS1_IjLj3EES5_S5_S5_,comdat
.Lfunc_end70:
	.size	_ZL33flash_attn_stream_k_fixup_generalILi112ELi2ELi1EEvPfPK15HIP_vector_typeIfLj2EEiiiiS1_IjLj3EES5_S5_S5_, .Lfunc_end70-_ZL33flash_attn_stream_k_fixup_generalILi112ELi2ELi1EEvPfPK15HIP_vector_typeIfLj2EEiiiiS1_IjLj3EES5_S5_S5_
                                        ; -- End function
	.section	.AMDGPU.csdata,"",@progbits
; Kernel info:
; codeLenInByte = 2860
; NumSgprs: 38
; NumVgprs: 22
; NumAgprs: 0
; TotalNumVgprs: 22
; ScratchSize: 0
; MemoryBound: 0
; FloatMode: 240
; IeeeMode: 1
; LDSByteSize: 0 bytes/workgroup (compile time only)
; SGPRBlocks: 4
; VGPRBlocks: 2
; NumSGPRsForWavesPerEU: 38
; NumVGPRsForWavesPerEU: 22
; AccumOffset: 24
; Occupancy: 8
; WaveLimiterHint : 0
; COMPUTE_PGM_RSRC2:SCRATCH_EN: 0
; COMPUTE_PGM_RSRC2:USER_SGPR: 2
; COMPUTE_PGM_RSRC2:TRAP_HANDLER: 0
; COMPUTE_PGM_RSRC2:TGID_X_EN: 1
; COMPUTE_PGM_RSRC2:TGID_Y_EN: 1
; COMPUTE_PGM_RSRC2:TGID_Z_EN: 1
; COMPUTE_PGM_RSRC2:TIDIG_COMP_CNT: 0
; COMPUTE_PGM_RSRC3_GFX90A:ACCUM_OFFSET: 5
; COMPUTE_PGM_RSRC3_GFX90A:TG_SPLIT: 0
	.text
	.p2align	2                               ; -- Begin function __ockl_printf_append_string_n
	.type	__ockl_printf_append_string_n,@function
__ockl_printf_append_string_n:          ; @__ockl_printf_append_string_n
; %bb.0:
	s_waitcnt vmcnt(0) expcnt(0) lgkmcnt(0)
	v_mov_b32_e32 v7, v3
	v_mov_b32_e32 v6, v2
	;; [unrolled: 1-line block ×3, first 2 shown]
	s_mov_b64 s[2:3], 0
	v_cmp_ne_u64_e32 vcc, 0, v[6:7]
	v_mbcnt_lo_u32_b32 v3, -1, 0
	s_and_saveexec_b64 s[0:1], vcc
	s_xor_b64 s[4:5], exec, s[0:1]
	s_cbranch_execz .LBB71_86
; %bb.1:
	s_load_dwordx2 s[6:7], s[8:9], 0x50
	v_and_b32_e32 v28, 2, v2
	s_mov_b32 s18, 0
	v_mov_b32_e32 v31, 0
	v_and_b32_e32 v0, -3, v2
	v_mbcnt_hi_u32_b32 v32, -1, v3
	s_movk_i32 s19, 0xff1f
	v_mov_b32_e32 v10, 2
	v_mov_b32_e32 v11, 1
	s_branch .LBB71_3
.LBB71_2:                               ;   in Loop: Header=BB71_3 Depth=1
	s_or_b64 exec, exec, s[12:13]
	v_sub_co_u32_e32 v4, vcc, v4, v34
	v_lshl_add_u64 v[6:7], v[6:7], 0, v[34:35]
	s_nop 0
	v_subb_co_u32_e32 v5, vcc, v5, v35, vcc
	v_cmp_eq_u64_e32 vcc, 0, v[4:5]
	s_or_b64 s[2:3], vcc, s[2:3]
	s_andn2_b64 exec, exec, s[2:3]
	s_cbranch_execz .LBB71_85
.LBB71_3:                               ; =>This Loop Header: Depth=1
                                        ;     Child Loop BB71_6 Depth 2
                                        ;     Child Loop BB71_14 Depth 2
	;; [unrolled: 1-line block ×11, first 2 shown]
	v_cmp_gt_u64_e32 vcc, 56, v[4:5]
                                        ; implicit-def: $vgpr2_vgpr3
                                        ; implicit-def: $sgpr10
	s_nop 1
	v_cndmask_b32_e32 v35, 0, v5, vcc
	v_cndmask_b32_e32 v34, 56, v4, vcc
	v_cmp_gt_u64_e32 vcc, 8, v[4:5]
	s_and_saveexec_b64 s[0:1], vcc
	s_xor_b64 s[0:1], exec, s[0:1]
	s_cbranch_execz .LBB71_9
; %bb.4:                                ;   in Loop: Header=BB71_3 Depth=1
	s_mov_b64 s[12:13], 0
	v_cmp_ne_u64_e32 vcc, 0, v[4:5]
	s_waitcnt vmcnt(0)
	v_mov_b64_e32 v[2:3], 0
	s_and_saveexec_b64 s[10:11], vcc
	s_cbranch_execz .LBB71_8
; %bb.5:                                ;   in Loop: Header=BB71_3 Depth=1
	v_lshlrev_b64 v[8:9], 3, v[34:35]
	v_mov_b64_e32 v[2:3], 0
	v_mov_b64_e32 v[12:13], v[6:7]
	s_mov_b64 s[14:15], 0
.LBB71_6:                               ;   Parent Loop BB71_3 Depth=1
                                        ; =>  This Inner Loop Header: Depth=2
	flat_load_ubyte v9, v[12:13]
	v_mov_b32_e32 v15, s18
	v_lshl_add_u64 v[12:13], v[12:13], 0, 1
	s_waitcnt vmcnt(0) lgkmcnt(0)
	v_and_b32_e32 v14, 0xffff, v9
	v_lshlrev_b64 v[14:15], s14, v[14:15]
	s_add_u32 s14, s14, 8
	s_addc_u32 s15, s15, 0
	v_cmp_eq_u32_e32 vcc, s14, v8
	v_or_b32_e32 v3, v15, v3
	s_or_b64 s[12:13], vcc, s[12:13]
	v_or_b32_e32 v2, v14, v2
	s_andn2_b64 exec, exec, s[12:13]
	s_cbranch_execnz .LBB71_6
; %bb.7:                                ;   in Loop: Header=BB71_3 Depth=1
	s_or_b64 exec, exec, s[12:13]
.LBB71_8:                               ;   in Loop: Header=BB71_3 Depth=1
	s_or_b64 exec, exec, s[10:11]
	s_mov_b32 s10, 0
.LBB71_9:                               ;   in Loop: Header=BB71_3 Depth=1
	s_or_saveexec_b64 s[0:1], s[0:1]
	v_mov_b32_e32 v14, s10
	v_mov_b64_e32 v[8:9], v[6:7]
	s_xor_b64 exec, exec, s[0:1]
	s_cbranch_execz .LBB71_11
; %bb.10:                               ;   in Loop: Header=BB71_3 Depth=1
	s_waitcnt vmcnt(0)
	flat_load_dwordx2 v[2:3], v[6:7]
	v_add_u32_e32 v14, -8, v34
	s_waitcnt vmcnt(0) lgkmcnt(0)
	v_and_b32_e32 v8, 0xff, v3
	v_and_b32_e32 v9, 0xff00, v3
	v_and_b32_e32 v12, 0xff0000, v3
	v_and_b32_e32 v3, 0xff000000, v3
	v_or_b32_e32 v8, v8, v9
	v_or3_b32 v2, v2, 0, 0
	v_or3_b32 v3, v8, v12, v3
	v_lshl_add_u64 v[8:9], v[6:7], 0, 8
.LBB71_11:                              ;   in Loop: Header=BB71_3 Depth=1
	s_or_b64 exec, exec, s[0:1]
	v_cmp_gt_u32_e32 vcc, 8, v14
                                        ; implicit-def: $vgpr12_vgpr13
                                        ; implicit-def: $sgpr10
	s_and_saveexec_b64 s[0:1], vcc
	s_xor_b64 s[0:1], exec, s[0:1]
	s_cbranch_execz .LBB71_17
; %bb.12:                               ;   in Loop: Header=BB71_3 Depth=1
	v_cmp_ne_u32_e32 vcc, 0, v14
	v_mov_b64_e32 v[12:13], 0
	s_and_saveexec_b64 s[10:11], vcc
	s_cbranch_execz .LBB71_16
; %bb.13:                               ;   in Loop: Header=BB71_3 Depth=1
	s_mov_b64 s[12:13], 0
	v_mov_b64_e32 v[12:13], 0
	s_mov_b64 s[14:15], 0
	s_mov_b64 s[16:17], 0
.LBB71_14:                              ;   Parent Loop BB71_3 Depth=1
                                        ; =>  This Inner Loop Header: Depth=2
	v_lshl_add_u64 v[16:17], v[8:9], 0, s[16:17]
	flat_load_ubyte v15, v[16:17]
	s_add_u32 s16, s16, 1
	v_mov_b32_e32 v17, s18
	s_addc_u32 s17, s17, 0
	v_cmp_eq_u32_e32 vcc, s16, v14
	s_waitcnt vmcnt(0) lgkmcnt(0)
	v_and_b32_e32 v16, 0xffff, v15
	v_lshlrev_b64 v[16:17], s14, v[16:17]
	s_add_u32 s14, s14, 8
	s_addc_u32 s15, s15, 0
	v_or_b32_e32 v13, v17, v13
	s_or_b64 s[12:13], vcc, s[12:13]
	v_or_b32_e32 v12, v16, v12
	s_andn2_b64 exec, exec, s[12:13]
	s_cbranch_execnz .LBB71_14
; %bb.15:                               ;   in Loop: Header=BB71_3 Depth=1
	s_or_b64 exec, exec, s[12:13]
.LBB71_16:                              ;   in Loop: Header=BB71_3 Depth=1
	s_or_b64 exec, exec, s[10:11]
	s_mov_b32 s10, 0
                                        ; implicit-def: $vgpr14
.LBB71_17:                              ;   in Loop: Header=BB71_3 Depth=1
	s_or_saveexec_b64 s[0:1], s[0:1]
	v_mov_b32_e32 v16, s10
	s_xor_b64 exec, exec, s[0:1]
	s_cbranch_execz .LBB71_19
; %bb.18:                               ;   in Loop: Header=BB71_3 Depth=1
	flat_load_dwordx2 v[12:13], v[8:9]
	v_add_u32_e32 v16, -8, v14
	v_lshl_add_u64 v[8:9], v[8:9], 0, 8
	s_waitcnt vmcnt(0) lgkmcnt(0)
	v_and_b32_e32 v14, 0xff, v13
	v_and_b32_e32 v15, 0xff00, v13
	;; [unrolled: 1-line block ×4, first 2 shown]
	v_or_b32_e32 v14, v14, v15
	v_or3_b32 v12, v12, 0, 0
	v_or3_b32 v13, v14, v17, v13
.LBB71_19:                              ;   in Loop: Header=BB71_3 Depth=1
	s_or_b64 exec, exec, s[0:1]
	v_cmp_gt_u32_e32 vcc, 8, v16
                                        ; implicit-def: $sgpr10
	s_and_saveexec_b64 s[0:1], vcc
	s_xor_b64 s[0:1], exec, s[0:1]
	s_cbranch_execz .LBB71_25
; %bb.20:                               ;   in Loop: Header=BB71_3 Depth=1
	v_cmp_ne_u32_e32 vcc, 0, v16
	v_mov_b64_e32 v[14:15], 0
	s_and_saveexec_b64 s[10:11], vcc
	s_cbranch_execz .LBB71_24
; %bb.21:                               ;   in Loop: Header=BB71_3 Depth=1
	s_mov_b64 s[12:13], 0
	v_mov_b64_e32 v[14:15], 0
	s_mov_b64 s[14:15], 0
	s_mov_b64 s[16:17], 0
.LBB71_22:                              ;   Parent Loop BB71_3 Depth=1
                                        ; =>  This Inner Loop Header: Depth=2
	v_lshl_add_u64 v[18:19], v[8:9], 0, s[16:17]
	flat_load_ubyte v17, v[18:19]
	s_add_u32 s16, s16, 1
	v_mov_b32_e32 v19, s18
	s_addc_u32 s17, s17, 0
	v_cmp_eq_u32_e32 vcc, s16, v16
	s_waitcnt vmcnt(0) lgkmcnt(0)
	v_and_b32_e32 v18, 0xffff, v17
	v_lshlrev_b64 v[18:19], s14, v[18:19]
	s_add_u32 s14, s14, 8
	s_addc_u32 s15, s15, 0
	v_or_b32_e32 v15, v19, v15
	s_or_b64 s[12:13], vcc, s[12:13]
	v_or_b32_e32 v14, v18, v14
	s_andn2_b64 exec, exec, s[12:13]
	s_cbranch_execnz .LBB71_22
; %bb.23:                               ;   in Loop: Header=BB71_3 Depth=1
	s_or_b64 exec, exec, s[12:13]
.LBB71_24:                              ;   in Loop: Header=BB71_3 Depth=1
	s_or_b64 exec, exec, s[10:11]
	s_mov_b32 s10, 0
                                        ; implicit-def: $vgpr16
.LBB71_25:                              ;   in Loop: Header=BB71_3 Depth=1
	s_or_saveexec_b64 s[0:1], s[0:1]
	v_mov_b32_e32 v18, s10
	s_xor_b64 exec, exec, s[0:1]
	s_cbranch_execz .LBB71_27
; %bb.26:                               ;   in Loop: Header=BB71_3 Depth=1
	flat_load_dwordx2 v[14:15], v[8:9]
	v_add_u32_e32 v18, -8, v16
	v_lshl_add_u64 v[8:9], v[8:9], 0, 8
	s_waitcnt vmcnt(0) lgkmcnt(0)
	v_and_b32_e32 v16, 0xff, v15
	v_and_b32_e32 v17, 0xff00, v15
	;; [unrolled: 1-line block ×4, first 2 shown]
	v_or_b32_e32 v16, v16, v17
	v_or3_b32 v14, v14, 0, 0
	v_or3_b32 v15, v16, v19, v15
.LBB71_27:                              ;   in Loop: Header=BB71_3 Depth=1
	s_or_b64 exec, exec, s[0:1]
	v_cmp_gt_u32_e32 vcc, 8, v18
                                        ; implicit-def: $vgpr16_vgpr17
                                        ; implicit-def: $sgpr10
	s_and_saveexec_b64 s[0:1], vcc
	s_xor_b64 s[0:1], exec, s[0:1]
	s_cbranch_execz .LBB71_33
; %bb.28:                               ;   in Loop: Header=BB71_3 Depth=1
	v_cmp_ne_u32_e32 vcc, 0, v18
	v_mov_b64_e32 v[16:17], 0
	s_and_saveexec_b64 s[10:11], vcc
	s_cbranch_execz .LBB71_32
; %bb.29:                               ;   in Loop: Header=BB71_3 Depth=1
	s_mov_b64 s[12:13], 0
	v_mov_b64_e32 v[16:17], 0
	s_mov_b64 s[14:15], 0
	s_mov_b64 s[16:17], 0
.LBB71_30:                              ;   Parent Loop BB71_3 Depth=1
                                        ; =>  This Inner Loop Header: Depth=2
	v_lshl_add_u64 v[20:21], v[8:9], 0, s[16:17]
	flat_load_ubyte v19, v[20:21]
	s_add_u32 s16, s16, 1
	v_mov_b32_e32 v21, s18
	s_addc_u32 s17, s17, 0
	v_cmp_eq_u32_e32 vcc, s16, v18
	s_waitcnt vmcnt(0) lgkmcnt(0)
	v_and_b32_e32 v20, 0xffff, v19
	v_lshlrev_b64 v[20:21], s14, v[20:21]
	s_add_u32 s14, s14, 8
	s_addc_u32 s15, s15, 0
	v_or_b32_e32 v17, v21, v17
	s_or_b64 s[12:13], vcc, s[12:13]
	v_or_b32_e32 v16, v20, v16
	s_andn2_b64 exec, exec, s[12:13]
	s_cbranch_execnz .LBB71_30
; %bb.31:                               ;   in Loop: Header=BB71_3 Depth=1
	s_or_b64 exec, exec, s[12:13]
.LBB71_32:                              ;   in Loop: Header=BB71_3 Depth=1
	s_or_b64 exec, exec, s[10:11]
	s_mov_b32 s10, 0
                                        ; implicit-def: $vgpr18
.LBB71_33:                              ;   in Loop: Header=BB71_3 Depth=1
	s_or_saveexec_b64 s[0:1], s[0:1]
	v_mov_b32_e32 v20, s10
	s_xor_b64 exec, exec, s[0:1]
	s_cbranch_execz .LBB71_35
; %bb.34:                               ;   in Loop: Header=BB71_3 Depth=1
	flat_load_dwordx2 v[16:17], v[8:9]
	v_add_u32_e32 v20, -8, v18
	v_lshl_add_u64 v[8:9], v[8:9], 0, 8
	s_waitcnt vmcnt(0) lgkmcnt(0)
	v_and_b32_e32 v18, 0xff, v17
	v_and_b32_e32 v19, 0xff00, v17
	;; [unrolled: 1-line block ×4, first 2 shown]
	v_or_b32_e32 v18, v18, v19
	v_or3_b32 v16, v16, 0, 0
	v_or3_b32 v17, v18, v21, v17
.LBB71_35:                              ;   in Loop: Header=BB71_3 Depth=1
	s_or_b64 exec, exec, s[0:1]
	v_cmp_gt_u32_e32 vcc, 8, v20
                                        ; implicit-def: $sgpr10
	s_and_saveexec_b64 s[0:1], vcc
	s_xor_b64 s[0:1], exec, s[0:1]
	s_cbranch_execz .LBB71_41
; %bb.36:                               ;   in Loop: Header=BB71_3 Depth=1
	v_cmp_ne_u32_e32 vcc, 0, v20
	v_mov_b64_e32 v[18:19], 0
	s_and_saveexec_b64 s[10:11], vcc
	s_cbranch_execz .LBB71_40
; %bb.37:                               ;   in Loop: Header=BB71_3 Depth=1
	s_mov_b64 s[12:13], 0
	v_mov_b64_e32 v[18:19], 0
	s_mov_b64 s[14:15], 0
	s_mov_b64 s[16:17], 0
.LBB71_38:                              ;   Parent Loop BB71_3 Depth=1
                                        ; =>  This Inner Loop Header: Depth=2
	v_lshl_add_u64 v[22:23], v[8:9], 0, s[16:17]
	flat_load_ubyte v21, v[22:23]
	s_add_u32 s16, s16, 1
	v_mov_b32_e32 v23, s18
	s_addc_u32 s17, s17, 0
	v_cmp_eq_u32_e32 vcc, s16, v20
	s_waitcnt vmcnt(0) lgkmcnt(0)
	v_and_b32_e32 v22, 0xffff, v21
	v_lshlrev_b64 v[22:23], s14, v[22:23]
	s_add_u32 s14, s14, 8
	s_addc_u32 s15, s15, 0
	v_or_b32_e32 v19, v23, v19
	s_or_b64 s[12:13], vcc, s[12:13]
	v_or_b32_e32 v18, v22, v18
	s_andn2_b64 exec, exec, s[12:13]
	s_cbranch_execnz .LBB71_38
; %bb.39:                               ;   in Loop: Header=BB71_3 Depth=1
	s_or_b64 exec, exec, s[12:13]
.LBB71_40:                              ;   in Loop: Header=BB71_3 Depth=1
	s_or_b64 exec, exec, s[10:11]
	s_mov_b32 s10, 0
                                        ; implicit-def: $vgpr20
.LBB71_41:                              ;   in Loop: Header=BB71_3 Depth=1
	s_or_saveexec_b64 s[0:1], s[0:1]
	v_mov_b32_e32 v22, s10
	s_xor_b64 exec, exec, s[0:1]
	s_cbranch_execz .LBB71_43
; %bb.42:                               ;   in Loop: Header=BB71_3 Depth=1
	flat_load_dwordx2 v[18:19], v[8:9]
	v_add_u32_e32 v22, -8, v20
	v_lshl_add_u64 v[8:9], v[8:9], 0, 8
	s_waitcnt vmcnt(0) lgkmcnt(0)
	v_and_b32_e32 v20, 0xff, v19
	v_and_b32_e32 v21, 0xff00, v19
	;; [unrolled: 1-line block ×4, first 2 shown]
	v_or_b32_e32 v20, v20, v21
	v_or3_b32 v18, v18, 0, 0
	v_or3_b32 v19, v20, v23, v19
.LBB71_43:                              ;   in Loop: Header=BB71_3 Depth=1
	s_or_b64 exec, exec, s[0:1]
	v_cmp_gt_u32_e32 vcc, 8, v22
                                        ; implicit-def: $vgpr20_vgpr21
                                        ; implicit-def: $sgpr10
	s_and_saveexec_b64 s[0:1], vcc
	s_xor_b64 s[0:1], exec, s[0:1]
	s_cbranch_execz .LBB71_49
; %bb.44:                               ;   in Loop: Header=BB71_3 Depth=1
	v_cmp_ne_u32_e32 vcc, 0, v22
	v_mov_b64_e32 v[20:21], 0
	s_and_saveexec_b64 s[10:11], vcc
	s_cbranch_execz .LBB71_48
; %bb.45:                               ;   in Loop: Header=BB71_3 Depth=1
	s_mov_b64 s[12:13], 0
	v_mov_b64_e32 v[20:21], 0
	s_mov_b64 s[14:15], 0
	s_mov_b64 s[16:17], 0
.LBB71_46:                              ;   Parent Loop BB71_3 Depth=1
                                        ; =>  This Inner Loop Header: Depth=2
	v_lshl_add_u64 v[24:25], v[8:9], 0, s[16:17]
	flat_load_ubyte v23, v[24:25]
	s_add_u32 s16, s16, 1
	v_mov_b32_e32 v25, s18
	s_addc_u32 s17, s17, 0
	v_cmp_eq_u32_e32 vcc, s16, v22
	s_waitcnt vmcnt(0) lgkmcnt(0)
	v_and_b32_e32 v24, 0xffff, v23
	v_lshlrev_b64 v[24:25], s14, v[24:25]
	s_add_u32 s14, s14, 8
	s_addc_u32 s15, s15, 0
	v_or_b32_e32 v21, v25, v21
	s_or_b64 s[12:13], vcc, s[12:13]
	v_or_b32_e32 v20, v24, v20
	s_andn2_b64 exec, exec, s[12:13]
	s_cbranch_execnz .LBB71_46
; %bb.47:                               ;   in Loop: Header=BB71_3 Depth=1
	s_or_b64 exec, exec, s[12:13]
.LBB71_48:                              ;   in Loop: Header=BB71_3 Depth=1
	s_or_b64 exec, exec, s[10:11]
	s_mov_b32 s10, 0
                                        ; implicit-def: $vgpr22
.LBB71_49:                              ;   in Loop: Header=BB71_3 Depth=1
	s_or_saveexec_b64 s[0:1], s[0:1]
	v_mov_b32_e32 v24, s10
	s_xor_b64 exec, exec, s[0:1]
	s_cbranch_execz .LBB71_51
; %bb.50:                               ;   in Loop: Header=BB71_3 Depth=1
	flat_load_dwordx2 v[20:21], v[8:9]
	v_add_u32_e32 v24, -8, v22
	v_lshl_add_u64 v[8:9], v[8:9], 0, 8
	s_waitcnt vmcnt(0) lgkmcnt(0)
	v_and_b32_e32 v22, 0xff, v21
	v_and_b32_e32 v23, 0xff00, v21
	;; [unrolled: 1-line block ×4, first 2 shown]
	v_or_b32_e32 v22, v22, v23
	v_or3_b32 v20, v20, 0, 0
	v_or3_b32 v21, v22, v25, v21
.LBB71_51:                              ;   in Loop: Header=BB71_3 Depth=1
	s_or_b64 exec, exec, s[0:1]
	v_cmp_gt_u32_e32 vcc, 8, v24
	s_and_saveexec_b64 s[0:1], vcc
	s_xor_b64 s[0:1], exec, s[0:1]
	s_cbranch_execz .LBB71_57
; %bb.52:                               ;   in Loop: Header=BB71_3 Depth=1
	v_cmp_ne_u32_e32 vcc, 0, v24
	v_mov_b64_e32 v[22:23], 0
	s_and_saveexec_b64 s[10:11], vcc
	s_cbranch_execz .LBB71_56
; %bb.53:                               ;   in Loop: Header=BB71_3 Depth=1
	s_mov_b64 s[12:13], 0
	v_mov_b64_e32 v[22:23], 0
	s_mov_b64 s[14:15], 0
.LBB71_54:                              ;   Parent Loop BB71_3 Depth=1
                                        ; =>  This Inner Loop Header: Depth=2
	flat_load_ubyte v25, v[8:9]
	v_mov_b32_e32 v27, s18
	v_add_u32_e32 v24, -1, v24
	v_cmp_eq_u32_e32 vcc, 0, v24
	v_lshl_add_u64 v[8:9], v[8:9], 0, 1
	s_waitcnt vmcnt(0) lgkmcnt(0)
	v_and_b32_e32 v26, 0xffff, v25
	v_lshlrev_b64 v[26:27], s14, v[26:27]
	s_add_u32 s14, s14, 8
	s_addc_u32 s15, s15, 0
	v_or_b32_e32 v23, v27, v23
	s_or_b64 s[12:13], vcc, s[12:13]
	v_or_b32_e32 v22, v26, v22
	s_andn2_b64 exec, exec, s[12:13]
	s_cbranch_execnz .LBB71_54
; %bb.55:                               ;   in Loop: Header=BB71_3 Depth=1
	s_or_b64 exec, exec, s[12:13]
.LBB71_56:                              ;   in Loop: Header=BB71_3 Depth=1
	s_or_b64 exec, exec, s[10:11]
                                        ; implicit-def: $vgpr8_vgpr9
.LBB71_57:                              ;   in Loop: Header=BB71_3 Depth=1
	s_andn2_saveexec_b64 s[0:1], s[0:1]
	s_cbranch_execz .LBB71_59
; %bb.58:                               ;   in Loop: Header=BB71_3 Depth=1
	flat_load_dwordx2 v[8:9], v[8:9]
	s_waitcnt vmcnt(0) lgkmcnt(0)
	v_and_b32_e32 v22, 0xff, v9
	v_and_b32_e32 v23, 0xff00, v9
	;; [unrolled: 1-line block ×4, first 2 shown]
	v_or_b32_e32 v22, v22, v23
	v_or3_b32 v23, v22, v24, v9
	v_or3_b32 v22, v8, 0, 0
.LBB71_59:                              ;   in Loop: Header=BB71_3 Depth=1
	s_or_b64 exec, exec, s[0:1]
	v_readfirstlane_b32 s0, v32
	v_mov_b64_e32 v[8:9], 0
	s_nop 0
	v_cmp_eq_u32_e64 s[0:1], s0, v32
	s_and_saveexec_b64 s[10:11], s[0:1]
	s_cbranch_execz .LBB71_65
; %bb.60:                               ;   in Loop: Header=BB71_3 Depth=1
	s_waitcnt lgkmcnt(0)
	global_load_dwordx2 v[26:27], v31, s[6:7] offset:24 sc0 sc1
	s_waitcnt vmcnt(0)
	buffer_inv sc0 sc1
	global_load_dwordx2 v[8:9], v31, s[6:7] offset:40
	global_load_dwordx2 v[24:25], v31, s[6:7]
	s_waitcnt vmcnt(1)
	v_and_b32_e32 v8, v8, v26
	v_and_b32_e32 v9, v9, v27
	v_mul_lo_u32 v9, v9, 24
	v_mul_hi_u32 v29, v8, 24
	v_add_u32_e32 v9, v29, v9
	v_mul_lo_u32 v8, v8, 24
	s_waitcnt vmcnt(0)
	v_lshl_add_u64 v[8:9], v[24:25], 0, v[8:9]
	global_load_dwordx2 v[24:25], v[8:9], off sc0 sc1
	s_waitcnt vmcnt(0)
	global_atomic_cmpswap_x2 v[8:9], v31, v[24:27], s[6:7] offset:24 sc0 sc1
	s_waitcnt vmcnt(0)
	buffer_inv sc0 sc1
	v_cmp_ne_u64_e32 vcc, v[8:9], v[26:27]
	s_and_saveexec_b64 s[12:13], vcc
	s_cbranch_execz .LBB71_64
; %bb.61:                               ;   in Loop: Header=BB71_3 Depth=1
	s_mov_b64 s[14:15], 0
.LBB71_62:                              ;   Parent Loop BB71_3 Depth=1
                                        ; =>  This Inner Loop Header: Depth=2
	s_sleep 1
	global_load_dwordx2 v[24:25], v31, s[6:7] offset:40
	global_load_dwordx2 v[36:37], v31, s[6:7]
	v_mov_b64_e32 v[26:27], v[8:9]
	s_waitcnt vmcnt(1)
	v_and_b32_e32 v8, v24, v26
	s_waitcnt vmcnt(0)
	v_mad_u64_u32 v[8:9], s[16:17], v8, 24, v[36:37]
	v_and_b32_e32 v25, v25, v27
	v_mov_b32_e32 v24, v9
	v_mad_u64_u32 v[24:25], s[16:17], v25, 24, v[24:25]
	v_mov_b32_e32 v9, v24
	global_load_dwordx2 v[24:25], v[8:9], off sc0 sc1
	s_waitcnt vmcnt(0)
	global_atomic_cmpswap_x2 v[8:9], v31, v[24:27], s[6:7] offset:24 sc0 sc1
	s_waitcnt vmcnt(0)
	buffer_inv sc0 sc1
	v_cmp_eq_u64_e32 vcc, v[8:9], v[26:27]
	s_or_b64 s[14:15], vcc, s[14:15]
	s_andn2_b64 exec, exec, s[14:15]
	s_cbranch_execnz .LBB71_62
; %bb.63:                               ;   in Loop: Header=BB71_3 Depth=1
	s_or_b64 exec, exec, s[14:15]
.LBB71_64:                              ;   in Loop: Header=BB71_3 Depth=1
	s_or_b64 exec, exec, s[12:13]
.LBB71_65:                              ;   in Loop: Header=BB71_3 Depth=1
	s_or_b64 exec, exec, s[10:11]
	s_waitcnt lgkmcnt(0)
	global_load_dwordx2 v[36:37], v31, s[6:7] offset:40
	global_load_dwordx4 v[24:27], v31, s[6:7]
	v_readfirstlane_b32 s10, v8
	v_readfirstlane_b32 s11, v9
	s_mov_b64 s[12:13], exec
	s_waitcnt vmcnt(1)
	v_readfirstlane_b32 s14, v36
	v_readfirstlane_b32 s15, v37
	s_and_b64 s[14:15], s[10:11], s[14:15]
	s_mul_i32 s16, s15, 24
	s_mul_hi_u32 s17, s14, 24
	s_add_i32 s17, s17, s16
	s_mul_i32 s16, s14, 24
	s_waitcnt vmcnt(0)
	v_lshl_add_u64 v[36:37], v[24:25], 0, s[16:17]
	s_and_saveexec_b64 s[16:17], s[0:1]
	s_cbranch_execz .LBB71_67
; %bb.66:                               ;   in Loop: Header=BB71_3 Depth=1
	v_mov_b64_e32 v[8:9], s[12:13]
	global_store_dwordx4 v[36:37], v[8:11], off offset:8
.LBB71_67:                              ;   in Loop: Header=BB71_3 Depth=1
	s_or_b64 exec, exec, s[16:17]
	s_lshl_b64 s[12:13], s[14:15], 12
	v_lshl_add_u64 v[8:9], v[26:27], 0, s[12:13]
	v_or_b32_e32 v26, 0, v1
	v_cmp_lt_u64_e32 vcc, 56, v[4:5]
	v_or_b32_e32 v27, v0, v28
	v_lshlrev_b32_e32 v30, 6, v32
	v_cndmask_b32_e32 v1, v26, v1, vcc
	v_lshl_add_u32 v26, v34, 2, 28
	v_cndmask_b32_e32 v0, v27, v0, vcc
	v_and_b32_e32 v26, 0x1e0, v26
	v_and_or_b32 v0, v0, s19, v26
	v_readfirstlane_b32 s12, v8
	v_readfirstlane_b32 s13, v9
	s_nop 4
	global_store_dwordx4 v30, v[0:3], s[12:13]
	global_store_dwordx4 v30, v[12:15], s[12:13] offset:16
	global_store_dwordx4 v30, v[16:19], s[12:13] offset:32
	;; [unrolled: 1-line block ×3, first 2 shown]
	s_and_saveexec_b64 s[12:13], s[0:1]
	s_cbranch_execz .LBB71_75
; %bb.68:                               ;   in Loop: Header=BB71_3 Depth=1
	global_load_dwordx2 v[16:17], v31, s[6:7] offset:32 sc0 sc1
	global_load_dwordx2 v[0:1], v31, s[6:7] offset:40
	v_mov_b32_e32 v14, s10
	v_mov_b32_e32 v15, s11
	s_waitcnt vmcnt(0)
	v_readfirstlane_b32 s14, v0
	v_readfirstlane_b32 s15, v1
	s_and_b64 s[14:15], s[14:15], s[10:11]
	s_mul_i32 s15, s15, 24
	s_mul_hi_u32 s16, s14, 24
	s_mul_i32 s14, s14, 24
	s_add_i32 s15, s16, s15
	v_lshl_add_u64 v[12:13], v[24:25], 0, s[14:15]
	global_store_dwordx2 v[12:13], v[16:17], off
	buffer_wbl2 sc0 sc1
	s_waitcnt vmcnt(0)
	global_atomic_cmpswap_x2 v[2:3], v31, v[14:17], s[6:7] offset:32 sc0 sc1
	s_waitcnt vmcnt(0)
	v_cmp_ne_u64_e32 vcc, v[2:3], v[16:17]
	s_and_saveexec_b64 s[14:15], vcc
	s_cbranch_execz .LBB71_71
; %bb.69:                               ;   in Loop: Header=BB71_3 Depth=1
	s_mov_b64 s[16:17], 0
.LBB71_70:                              ;   Parent Loop BB71_3 Depth=1
                                        ; =>  This Inner Loop Header: Depth=2
	s_sleep 1
	global_store_dwordx2 v[12:13], v[2:3], off
	v_mov_b32_e32 v0, s10
	v_mov_b32_e32 v1, s11
	buffer_wbl2 sc0 sc1
	s_waitcnt vmcnt(0)
	global_atomic_cmpswap_x2 v[0:1], v31, v[0:3], s[6:7] offset:32 sc0 sc1
	s_waitcnt vmcnt(0)
	v_cmp_eq_u64_e32 vcc, v[0:1], v[2:3]
	s_or_b64 s[16:17], vcc, s[16:17]
	v_mov_b64_e32 v[2:3], v[0:1]
	s_andn2_b64 exec, exec, s[16:17]
	s_cbranch_execnz .LBB71_70
.LBB71_71:                              ;   in Loop: Header=BB71_3 Depth=1
	s_or_b64 exec, exec, s[14:15]
	global_load_dwordx2 v[0:1], v31, s[6:7] offset:16
	s_mov_b64 s[16:17], exec
	v_mbcnt_lo_u32_b32 v2, s16, 0
	v_mbcnt_hi_u32_b32 v2, s17, v2
	v_cmp_eq_u32_e32 vcc, 0, v2
	s_and_saveexec_b64 s[14:15], vcc
	s_cbranch_execz .LBB71_73
; %bb.72:                               ;   in Loop: Header=BB71_3 Depth=1
	s_bcnt1_i32_b64 s16, s[16:17]
	v_mov_b32_e32 v2, s16
	v_mov_b32_e32 v3, v31
	buffer_wbl2 sc0 sc1
	s_waitcnt vmcnt(0)
	global_atomic_add_x2 v[0:1], v[2:3], off offset:8 sc1
.LBB71_73:                              ;   in Loop: Header=BB71_3 Depth=1
	s_or_b64 exec, exec, s[14:15]
	s_waitcnt vmcnt(0)
	global_load_dwordx2 v[2:3], v[0:1], off offset:16
	s_waitcnt vmcnt(0)
	v_cmp_eq_u64_e32 vcc, 0, v[2:3]
	s_cbranch_vccnz .LBB71_75
; %bb.74:                               ;   in Loop: Header=BB71_3 Depth=1
	global_load_dword v0, v[0:1], off offset:24
	v_mov_b32_e32 v1, v31
	buffer_wbl2 sc0 sc1
	s_waitcnt vmcnt(0)
	global_store_dwordx2 v[2:3], v[0:1], off sc0 sc1
	v_and_b32_e32 v0, 0xffffff, v0
	s_nop 0
	v_readfirstlane_b32 m0, v0
	s_sendmsg sendmsg(MSG_INTERRUPT)
.LBB71_75:                              ;   in Loop: Header=BB71_3 Depth=1
	s_or_b64 exec, exec, s[12:13]
	v_lshl_add_u64 v[0:1], v[8:9], 0, v[30:31]
	s_branch .LBB71_79
.LBB71_76:                              ;   in Loop: Header=BB71_79 Depth=2
	s_or_b64 exec, exec, s[12:13]
	v_readfirstlane_b32 s12, v2
	s_cmp_eq_u32 s12, 0
	s_cbranch_scc1 .LBB71_78
; %bb.77:                               ;   in Loop: Header=BB71_79 Depth=2
	s_sleep 1
	s_cbranch_execnz .LBB71_79
	s_branch .LBB71_81
.LBB71_78:                              ;   in Loop: Header=BB71_3 Depth=1
	s_branch .LBB71_81
.LBB71_79:                              ;   Parent Loop BB71_3 Depth=1
                                        ; =>  This Inner Loop Header: Depth=2
	v_mov_b32_e32 v2, 1
	s_and_saveexec_b64 s[12:13], s[0:1]
	s_cbranch_execz .LBB71_76
; %bb.80:                               ;   in Loop: Header=BB71_79 Depth=2
	global_load_dword v2, v[36:37], off offset:20 sc0 sc1
	s_waitcnt vmcnt(0)
	buffer_inv sc0 sc1
	v_and_b32_e32 v2, 1, v2
	s_branch .LBB71_76
.LBB71_81:                              ;   in Loop: Header=BB71_3 Depth=1
	global_load_dwordx4 v[0:3], v[0:1], off
	s_and_saveexec_b64 s[12:13], s[0:1]
	s_cbranch_execz .LBB71_2
; %bb.82:                               ;   in Loop: Header=BB71_3 Depth=1
	global_load_dwordx2 v[2:3], v31, s[6:7] offset:40
	global_load_dwordx2 v[8:9], v31, s[6:7] offset:24 sc0 sc1
	global_load_dwordx2 v[16:17], v31, s[6:7]
	s_waitcnt vmcnt(2)
	v_lshl_add_u64 v[12:13], v[2:3], 0, 1
	v_lshl_add_u64 v[18:19], v[12:13], 0, s[10:11]
	v_cmp_eq_u64_e32 vcc, 0, v[18:19]
	s_waitcnt vmcnt(1)
	v_mov_b32_e32 v14, v8
	v_cndmask_b32_e32 v13, v19, v13, vcc
	v_cndmask_b32_e32 v12, v18, v12, vcc
	v_and_b32_e32 v3, v13, v3
	v_and_b32_e32 v2, v12, v2
	v_mul_lo_u32 v3, v3, 24
	v_mul_hi_u32 v15, v2, 24
	v_mul_lo_u32 v2, v2, 24
	v_add_u32_e32 v3, v15, v3
	s_waitcnt vmcnt(0)
	v_lshl_add_u64 v[2:3], v[16:17], 0, v[2:3]
	global_store_dwordx2 v[2:3], v[8:9], off
	v_mov_b32_e32 v15, v9
	buffer_wbl2 sc0 sc1
	s_waitcnt vmcnt(0)
	global_atomic_cmpswap_x2 v[14:15], v31, v[12:15], s[6:7] offset:24 sc0 sc1
	s_waitcnt vmcnt(0)
	v_cmp_ne_u64_e32 vcc, v[14:15], v[8:9]
	s_and_b64 exec, exec, vcc
	s_cbranch_execz .LBB71_2
; %bb.83:                               ;   in Loop: Header=BB71_3 Depth=1
	s_mov_b64 s[0:1], 0
.LBB71_84:                              ;   Parent Loop BB71_3 Depth=1
                                        ; =>  This Inner Loop Header: Depth=2
	s_sleep 1
	global_store_dwordx2 v[2:3], v[14:15], off
	buffer_wbl2 sc0 sc1
	s_waitcnt vmcnt(0)
	global_atomic_cmpswap_x2 v[8:9], v31, v[12:15], s[6:7] offset:24 sc0 sc1
	s_waitcnt vmcnt(0)
	v_cmp_eq_u64_e32 vcc, v[8:9], v[14:15]
	s_or_b64 s[0:1], vcc, s[0:1]
	v_mov_b64_e32 v[14:15], v[8:9]
	s_andn2_b64 exec, exec, s[0:1]
	s_cbranch_execnz .LBB71_84
	s_branch .LBB71_2
.LBB71_85:
	s_or_b64 exec, exec, s[2:3]
                                        ; implicit-def: $vgpr2
                                        ; implicit-def: $vgpr3
.LBB71_86:
	s_andn2_saveexec_b64 s[2:3], s[4:5]
	s_cbranch_execz .LBB71_109
; %bb.87:
	s_load_dwordx2 s[4:5], s[8:9], 0x50
	s_waitcnt vmcnt(0)
	v_mbcnt_hi_u32_b32 v3, -1, v3
	v_mov_b64_e32 v[8:9], 0
	v_readfirstlane_b32 s0, v3
	s_nop 1
	v_cmp_eq_u32_e64 s[0:1], s0, v3
	s_and_saveexec_b64 s[6:7], s[0:1]
	s_cbranch_execz .LBB71_93
; %bb.88:
	v_mov_b32_e32 v0, 0
	s_waitcnt lgkmcnt(0)
	global_load_dwordx2 v[6:7], v0, s[4:5] offset:24 sc0 sc1
	s_waitcnt vmcnt(0)
	buffer_inv sc0 sc1
	global_load_dwordx2 v[4:5], v0, s[4:5] offset:40
	global_load_dwordx2 v[8:9], v0, s[4:5]
	s_waitcnt vmcnt(1)
	v_and_b32_e32 v4, v4, v6
	v_and_b32_e32 v5, v5, v7
	v_mul_lo_u32 v5, v5, 24
	v_mul_hi_u32 v10, v4, 24
	v_add_u32_e32 v5, v10, v5
	v_mul_lo_u32 v4, v4, 24
	s_waitcnt vmcnt(0)
	v_lshl_add_u64 v[4:5], v[8:9], 0, v[4:5]
	global_load_dwordx2 v[4:5], v[4:5], off sc0 sc1
	s_waitcnt vmcnt(0)
	global_atomic_cmpswap_x2 v[8:9], v0, v[4:7], s[4:5] offset:24 sc0 sc1
	s_waitcnt vmcnt(0)
	buffer_inv sc0 sc1
	v_cmp_ne_u64_e32 vcc, v[8:9], v[6:7]
	s_and_saveexec_b64 s[8:9], vcc
	s_cbranch_execz .LBB71_92
; %bb.89:
	s_mov_b64 s[10:11], 0
.LBB71_90:                              ; =>This Inner Loop Header: Depth=1
	s_sleep 1
	global_load_dwordx2 v[4:5], v0, s[4:5] offset:40
	global_load_dwordx2 v[10:11], v0, s[4:5]
	v_mov_b64_e32 v[6:7], v[8:9]
	s_waitcnt vmcnt(1)
	v_and_b32_e32 v4, v4, v6
	v_and_b32_e32 v9, v5, v7
	s_waitcnt vmcnt(0)
	v_mad_u64_u32 v[4:5], s[12:13], v4, 24, v[10:11]
	v_mov_b32_e32 v8, v5
	v_mad_u64_u32 v[8:9], s[12:13], v9, 24, v[8:9]
	v_mov_b32_e32 v5, v8
	global_load_dwordx2 v[4:5], v[4:5], off sc0 sc1
	s_waitcnt vmcnt(0)
	global_atomic_cmpswap_x2 v[8:9], v0, v[4:7], s[4:5] offset:24 sc0 sc1
	s_waitcnt vmcnt(0)
	buffer_inv sc0 sc1
	v_cmp_eq_u64_e32 vcc, v[8:9], v[6:7]
	s_or_b64 s[10:11], vcc, s[10:11]
	s_andn2_b64 exec, exec, s[10:11]
	s_cbranch_execnz .LBB71_90
; %bb.91:
	s_or_b64 exec, exec, s[10:11]
.LBB71_92:
	s_or_b64 exec, exec, s[8:9]
.LBB71_93:
	s_or_b64 exec, exec, s[6:7]
	v_mov_b32_e32 v11, 0
	s_waitcnt lgkmcnt(0)
	global_load_dwordx2 v[12:13], v11, s[4:5] offset:40
	global_load_dwordx4 v[4:7], v11, s[4:5]
	v_readfirstlane_b32 s6, v8
	v_readfirstlane_b32 s7, v9
	s_mov_b64 s[8:9], exec
	s_waitcnt vmcnt(1)
	v_readfirstlane_b32 s10, v12
	v_readfirstlane_b32 s11, v13
	s_and_b64 s[10:11], s[6:7], s[10:11]
	s_mul_i32 s12, s11, 24
	s_mul_hi_u32 s13, s10, 24
	s_add_i32 s13, s13, s12
	s_mul_i32 s12, s10, 24
	s_waitcnt vmcnt(0)
	v_lshl_add_u64 v[8:9], v[4:5], 0, s[12:13]
	s_and_saveexec_b64 s[12:13], s[0:1]
	s_cbranch_execz .LBB71_95
; %bb.94:
	v_mov_b64_e32 v[12:13], s[8:9]
	v_mov_b32_e32 v14, 2
	v_mov_b32_e32 v15, 1
	global_store_dwordx4 v[8:9], v[12:15], off offset:8
.LBB71_95:
	s_or_b64 exec, exec, s[12:13]
	s_lshl_b64 s[8:9], s[10:11], 12
	v_lshl_add_u64 v[6:7], v[6:7], 0, s[8:9]
	s_movk_i32 s8, 0xff1f
	v_and_or_b32 v0, v2, s8, 32
	s_mov_b32 s8, 0
	v_lshlrev_b32_e32 v10, 6, v3
	v_mov_b32_e32 v2, v11
	v_mov_b32_e32 v3, v11
	v_readfirstlane_b32 s12, v6
	v_readfirstlane_b32 s13, v7
	s_mov_b32 s9, s8
	s_mov_b32 s10, s8
	;; [unrolled: 1-line block ×3, first 2 shown]
	s_nop 1
	global_store_dwordx4 v10, v[0:3], s[12:13]
	s_nop 1
	v_mov_b64_e32 v[0:1], s[8:9]
	v_mov_b64_e32 v[2:3], s[10:11]
	global_store_dwordx4 v10, v[0:3], s[12:13] offset:16
	global_store_dwordx4 v10, v[0:3], s[12:13] offset:32
	;; [unrolled: 1-line block ×3, first 2 shown]
	s_and_saveexec_b64 s[8:9], s[0:1]
	s_cbranch_execz .LBB71_103
; %bb.96:
	v_mov_b32_e32 v12, 0
	global_load_dwordx2 v[16:17], v12, s[4:5] offset:32 sc0 sc1
	global_load_dwordx2 v[0:1], v12, s[4:5] offset:40
	v_mov_b32_e32 v14, s6
	v_mov_b32_e32 v15, s7
	s_waitcnt vmcnt(0)
	v_and_b32_e32 v0, s6, v0
	v_and_b32_e32 v1, s7, v1
	v_mul_lo_u32 v1, v1, 24
	v_mul_hi_u32 v2, v0, 24
	v_mul_lo_u32 v0, v0, 24
	v_add_u32_e32 v1, v2, v1
	v_lshl_add_u64 v[4:5], v[4:5], 0, v[0:1]
	global_store_dwordx2 v[4:5], v[16:17], off
	buffer_wbl2 sc0 sc1
	s_waitcnt vmcnt(0)
	global_atomic_cmpswap_x2 v[2:3], v12, v[14:17], s[4:5] offset:32 sc0 sc1
	s_waitcnt vmcnt(0)
	v_cmp_ne_u64_e32 vcc, v[2:3], v[16:17]
	s_and_saveexec_b64 s[10:11], vcc
	s_cbranch_execz .LBB71_99
; %bb.97:
	s_mov_b64 s[12:13], 0
.LBB71_98:                              ; =>This Inner Loop Header: Depth=1
	s_sleep 1
	global_store_dwordx2 v[4:5], v[2:3], off
	v_mov_b32_e32 v0, s6
	v_mov_b32_e32 v1, s7
	buffer_wbl2 sc0 sc1
	s_waitcnt vmcnt(0)
	global_atomic_cmpswap_x2 v[0:1], v12, v[0:3], s[4:5] offset:32 sc0 sc1
	s_waitcnt vmcnt(0)
	v_cmp_eq_u64_e32 vcc, v[0:1], v[2:3]
	s_or_b64 s[12:13], vcc, s[12:13]
	v_mov_b64_e32 v[2:3], v[0:1]
	s_andn2_b64 exec, exec, s[12:13]
	s_cbranch_execnz .LBB71_98
.LBB71_99:
	s_or_b64 exec, exec, s[10:11]
	v_mov_b32_e32 v3, 0
	global_load_dwordx2 v[0:1], v3, s[4:5] offset:16
	s_mov_b64 s[10:11], exec
	v_mbcnt_lo_u32_b32 v2, s10, 0
	v_mbcnt_hi_u32_b32 v2, s11, v2
	v_cmp_eq_u32_e32 vcc, 0, v2
	s_and_saveexec_b64 s[12:13], vcc
	s_cbranch_execz .LBB71_101
; %bb.100:
	s_bcnt1_i32_b64 s10, s[10:11]
	v_mov_b32_e32 v2, s10
	buffer_wbl2 sc0 sc1
	s_waitcnt vmcnt(0)
	global_atomic_add_x2 v[0:1], v[2:3], off offset:8 sc1
.LBB71_101:
	s_or_b64 exec, exec, s[12:13]
	s_waitcnt vmcnt(0)
	global_load_dwordx2 v[2:3], v[0:1], off offset:16
	s_waitcnt vmcnt(0)
	v_cmp_eq_u64_e32 vcc, 0, v[2:3]
	s_cbranch_vccnz .LBB71_103
; %bb.102:
	global_load_dword v0, v[0:1], off offset:24
	v_mov_b32_e32 v1, 0
	buffer_wbl2 sc0 sc1
	s_waitcnt vmcnt(0)
	global_store_dwordx2 v[2:3], v[0:1], off sc0 sc1
	v_and_b32_e32 v0, 0xffffff, v0
	s_nop 0
	v_readfirstlane_b32 m0, v0
	s_sendmsg sendmsg(MSG_INTERRUPT)
.LBB71_103:
	s_or_b64 exec, exec, s[8:9]
	v_lshl_add_u64 v[0:1], v[6:7], 0, v[10:11]
	s_branch .LBB71_107
.LBB71_104:                             ;   in Loop: Header=BB71_107 Depth=1
	s_or_b64 exec, exec, s[8:9]
	v_readfirstlane_b32 s8, v2
	s_cmp_eq_u32 s8, 0
	s_cbranch_scc1 .LBB71_106
; %bb.105:                              ;   in Loop: Header=BB71_107 Depth=1
	s_sleep 1
	s_cbranch_execnz .LBB71_107
	s_branch .LBB71_110
.LBB71_106:
	s_branch .LBB71_110
.LBB71_107:                             ; =>This Inner Loop Header: Depth=1
	v_mov_b32_e32 v2, 1
	s_and_saveexec_b64 s[8:9], s[0:1]
	s_cbranch_execz .LBB71_104
; %bb.108:                              ;   in Loop: Header=BB71_107 Depth=1
	global_load_dword v2, v[8:9], off offset:20 sc0 sc1
	s_waitcnt vmcnt(0)
	buffer_inv sc0 sc1
	v_and_b32_e32 v2, 1, v2
	s_branch .LBB71_104
.LBB71_109:
	s_or_b64 exec, exec, s[2:3]
	s_waitcnt vmcnt(0) lgkmcnt(0)
	s_setpc_b64 s[30:31]
.LBB71_110:
	global_load_dwordx2 v[0:1], v[0:1], off
	s_and_saveexec_b64 s[8:9], s[0:1]
	s_cbranch_execz .LBB71_113
; %bb.111:
	v_mov_b32_e32 v8, 0
	global_load_dwordx2 v[6:7], v8, s[4:5] offset:40
	global_load_dwordx2 v[10:11], v8, s[4:5] offset:24 sc0 sc1
	global_load_dwordx2 v[12:13], v8, s[4:5]
	s_mov_b64 s[0:1], 0
	s_waitcnt vmcnt(2)
	v_lshl_add_u64 v[2:3], v[6:7], 0, 1
	v_lshl_add_u64 v[14:15], v[2:3], 0, s[6:7]
	v_cmp_eq_u64_e32 vcc, 0, v[14:15]
	s_waitcnt vmcnt(1)
	v_mov_b32_e32 v4, v10
	v_cndmask_b32_e32 v3, v15, v3, vcc
	v_cndmask_b32_e32 v2, v14, v2, vcc
	v_and_b32_e32 v5, v3, v7
	v_and_b32_e32 v6, v2, v6
	v_mul_lo_u32 v5, v5, 24
	v_mul_hi_u32 v7, v6, 24
	v_mul_lo_u32 v6, v6, 24
	v_add_u32_e32 v7, v7, v5
	s_waitcnt vmcnt(0)
	v_lshl_add_u64 v[6:7], v[12:13], 0, v[6:7]
	global_store_dwordx2 v[6:7], v[10:11], off
	v_mov_b32_e32 v5, v11
	buffer_wbl2 sc0 sc1
	s_waitcnt vmcnt(0)
	global_atomic_cmpswap_x2 v[4:5], v8, v[2:5], s[4:5] offset:24 sc0 sc1
	s_waitcnt vmcnt(0)
	v_cmp_ne_u64_e32 vcc, v[4:5], v[10:11]
	s_and_b64 exec, exec, vcc
	s_cbranch_execz .LBB71_113
.LBB71_112:                             ; =>This Inner Loop Header: Depth=1
	s_sleep 1
	global_store_dwordx2 v[6:7], v[4:5], off
	buffer_wbl2 sc0 sc1
	s_waitcnt vmcnt(0)
	global_atomic_cmpswap_x2 v[10:11], v8, v[2:5], s[4:5] offset:24 sc0 sc1
	s_waitcnt vmcnt(0)
	v_cmp_eq_u64_e32 vcc, v[10:11], v[4:5]
	s_or_b64 s[0:1], vcc, s[0:1]
	v_mov_b64_e32 v[4:5], v[10:11]
	s_andn2_b64 exec, exec, s[0:1]
	s_cbranch_execnz .LBB71_112
.LBB71_113:
	s_or_b64 exec, exec, s[8:9]
	s_or_b64 exec, exec, s[2:3]
	s_waitcnt vmcnt(0) lgkmcnt(0)
	s_setpc_b64 s[30:31]
.Lfunc_end71:
	.size	__ockl_printf_append_string_n, .Lfunc_end71-__ockl_printf_append_string_n
                                        ; -- End function
	.section	.AMDGPU.csdata,"",@progbits
; Function info:
; codeLenInByte = 4200
; NumSgprs: 38
; NumVgprs: 38
; NumAgprs: 0
; TotalNumVgprs: 38
; ScratchSize: 0
; MemoryBound: 0
	.text
	.p2align	2                               ; -- Begin function __ockl_printf_append_args
	.type	__ockl_printf_append_args,@function
__ockl_printf_append_args:              ; @__ockl_printf_append_args
; %bb.0:
	s_waitcnt vmcnt(0) expcnt(0) lgkmcnt(0)
	s_load_dwordx2 s[2:3], s[8:9], 0x50
	v_mbcnt_lo_u32_b32 v5, -1, 0
	v_mbcnt_hi_u32_b32 v5, -1, v5
	v_mov_b64_e32 v[10:11], 0
	v_readfirstlane_b32 s0, v5
	s_nop 1
	v_cmp_eq_u32_e64 s[0:1], s0, v5
	s_and_saveexec_b64 s[4:5], s[0:1]
	s_cbranch_execz .LBB72_6
; %bb.1:
	v_mov_b32_e32 v6, 0
	s_waitcnt lgkmcnt(0)
	global_load_dwordx2 v[12:13], v6, s[2:3] offset:24 sc0 sc1
	s_waitcnt vmcnt(0)
	buffer_inv sc0 sc1
	global_load_dwordx2 v[8:9], v6, s[2:3] offset:40
	global_load_dwordx2 v[10:11], v6, s[2:3]
	s_waitcnt vmcnt(1)
	v_and_b32_e32 v7, v8, v12
	v_and_b32_e32 v8, v9, v13
	v_mul_lo_u32 v8, v8, 24
	v_mul_hi_u32 v9, v7, 24
	v_add_u32_e32 v9, v9, v8
	v_mul_lo_u32 v8, v7, 24
	s_waitcnt vmcnt(0)
	v_lshl_add_u64 v[8:9], v[10:11], 0, v[8:9]
	global_load_dwordx2 v[10:11], v[8:9], off sc0 sc1
	s_waitcnt vmcnt(0)
	global_atomic_cmpswap_x2 v[10:11], v6, v[10:13], s[2:3] offset:24 sc0 sc1
	s_waitcnt vmcnt(0)
	buffer_inv sc0 sc1
	v_cmp_ne_u64_e32 vcc, v[10:11], v[12:13]
	s_and_saveexec_b64 s[6:7], vcc
	s_cbranch_execz .LBB72_5
; %bb.2:
	s_mov_b64 s[8:9], 0
.LBB72_3:                               ; =>This Inner Loop Header: Depth=1
	s_sleep 1
	global_load_dwordx2 v[8:9], v6, s[2:3] offset:40
	global_load_dwordx2 v[14:15], v6, s[2:3]
	v_mov_b64_e32 v[12:13], v[10:11]
	s_waitcnt vmcnt(1)
	v_and_b32_e32 v8, v8, v12
	v_and_b32_e32 v7, v9, v13
	s_waitcnt vmcnt(0)
	v_mad_u64_u32 v[8:9], s[10:11], v8, 24, v[14:15]
	v_mov_b32_e32 v10, v9
	v_mad_u64_u32 v[10:11], s[10:11], v7, 24, v[10:11]
	v_mov_b32_e32 v9, v10
	global_load_dwordx2 v[10:11], v[8:9], off sc0 sc1
	s_waitcnt vmcnt(0)
	global_atomic_cmpswap_x2 v[10:11], v6, v[10:13], s[2:3] offset:24 sc0 sc1
	s_waitcnt vmcnt(0)
	buffer_inv sc0 sc1
	v_cmp_eq_u64_e32 vcc, v[10:11], v[12:13]
	s_or_b64 s[8:9], vcc, s[8:9]
	s_andn2_b64 exec, exec, s[8:9]
	s_cbranch_execnz .LBB72_3
; %bb.4:
	s_or_b64 exec, exec, s[8:9]
.LBB72_5:
	s_or_b64 exec, exec, s[6:7]
.LBB72_6:
	s_or_b64 exec, exec, s[4:5]
	v_mov_b32_e32 v14, 0
	s_waitcnt lgkmcnt(0)
	global_load_dwordx2 v[12:13], v14, s[2:3] offset:40
	global_load_dwordx4 v[6:9], v14, s[2:3]
	v_readfirstlane_b32 s4, v10
	v_readfirstlane_b32 s5, v11
	s_mov_b64 s[6:7], exec
	s_waitcnt vmcnt(1)
	v_readfirstlane_b32 s8, v12
	v_readfirstlane_b32 s9, v13
	s_and_b64 s[8:9], s[4:5], s[8:9]
	s_mul_i32 s10, s9, 24
	s_mul_hi_u32 s11, s8, 24
	s_add_i32 s11, s11, s10
	s_mul_i32 s10, s8, 24
	s_waitcnt vmcnt(0)
	v_lshl_add_u64 v[10:11], v[6:7], 0, s[10:11]
	s_and_saveexec_b64 s[10:11], s[0:1]
	s_cbranch_execz .LBB72_8
; %bb.7:
	v_mov_b64_e32 v[12:13], s[6:7]
	v_mov_b32_e32 v14, 2
	v_mov_b32_e32 v15, 1
	global_store_dwordx4 v[10:11], v[12:15], off offset:8
.LBB72_8:
	s_or_b64 exec, exec, s[10:11]
	s_lshl_b64 s[6:7], s[8:9], 12
	v_or_b32_e32 v12, 2, v0
	v_cmp_eq_u32_e32 vcc, 0, v4
	v_lshl_add_u64 v[8:9], v[8:9], 0, s[6:7]
	s_mov_b32 s8, 0
	v_cndmask_b32_e32 v0, v12, v0, vcc
	s_movk_i32 s6, 0xff1f
	v_and_or_b32 v0, v0, s6, 32
	v_lshlrev_b32_e32 v4, 6, v5
	v_readfirstlane_b32 s6, v8
	v_readfirstlane_b32 s7, v9
	s_mov_b32 s9, s8
	s_mov_b32 s10, s8
	s_mov_b32 s11, s8
	s_nop 1
	global_store_dwordx4 v4, v[0:3], s[6:7]
	s_nop 1
	v_mov_b64_e32 v[0:1], s[8:9]
	v_mov_b64_e32 v[2:3], s[10:11]
	global_store_dwordx4 v4, v[0:3], s[6:7] offset:16
	global_store_dwordx4 v4, v[0:3], s[6:7] offset:32
	;; [unrolled: 1-line block ×3, first 2 shown]
	s_and_saveexec_b64 s[6:7], s[0:1]
	s_cbranch_execz .LBB72_16
; %bb.9:
	v_mov_b32_e32 v8, 0
	global_load_dwordx2 v[14:15], v8, s[2:3] offset:32 sc0 sc1
	global_load_dwordx2 v[0:1], v8, s[2:3] offset:40
	v_mov_b32_e32 v12, s4
	v_mov_b32_e32 v13, s5
	s_waitcnt vmcnt(0)
	v_and_b32_e32 v0, s4, v0
	v_and_b32_e32 v1, s5, v1
	v_mul_lo_u32 v1, v1, 24
	v_mul_hi_u32 v2, v0, 24
	v_mul_lo_u32 v0, v0, 24
	v_add_u32_e32 v1, v2, v1
	v_lshl_add_u64 v[4:5], v[6:7], 0, v[0:1]
	global_store_dwordx2 v[4:5], v[14:15], off
	buffer_wbl2 sc0 sc1
	s_waitcnt vmcnt(0)
	global_atomic_cmpswap_x2 v[2:3], v8, v[12:15], s[2:3] offset:32 sc0 sc1
	s_waitcnt vmcnt(0)
	v_cmp_ne_u64_e32 vcc, v[2:3], v[14:15]
	s_and_saveexec_b64 s[8:9], vcc
	s_cbranch_execz .LBB72_12
; %bb.10:
	s_mov_b64 s[10:11], 0
.LBB72_11:                              ; =>This Inner Loop Header: Depth=1
	s_sleep 1
	global_store_dwordx2 v[4:5], v[2:3], off
	v_mov_b32_e32 v0, s4
	v_mov_b32_e32 v1, s5
	buffer_wbl2 sc0 sc1
	s_waitcnt vmcnt(0)
	global_atomic_cmpswap_x2 v[0:1], v8, v[0:3], s[2:3] offset:32 sc0 sc1
	s_waitcnt vmcnt(0)
	v_cmp_eq_u64_e32 vcc, v[0:1], v[2:3]
	s_or_b64 s[10:11], vcc, s[10:11]
	v_mov_b64_e32 v[2:3], v[0:1]
	s_andn2_b64 exec, exec, s[10:11]
	s_cbranch_execnz .LBB72_11
.LBB72_12:
	s_or_b64 exec, exec, s[8:9]
	v_mov_b32_e32 v3, 0
	global_load_dwordx2 v[0:1], v3, s[2:3] offset:16
	s_mov_b64 s[8:9], exec
	v_mbcnt_lo_u32_b32 v2, s8, 0
	v_mbcnt_hi_u32_b32 v2, s9, v2
	v_cmp_eq_u32_e32 vcc, 0, v2
	s_and_saveexec_b64 s[10:11], vcc
	s_cbranch_execz .LBB72_14
; %bb.13:
	s_bcnt1_i32_b64 s8, s[8:9]
	v_mov_b32_e32 v2, s8
	buffer_wbl2 sc0 sc1
	s_waitcnt vmcnt(0)
	global_atomic_add_x2 v[0:1], v[2:3], off offset:8 sc1
.LBB72_14:
	s_or_b64 exec, exec, s[10:11]
	s_waitcnt vmcnt(0)
	global_load_dwordx2 v[2:3], v[0:1], off offset:16
	s_waitcnt vmcnt(0)
	v_cmp_eq_u64_e32 vcc, 0, v[2:3]
	s_cbranch_vccnz .LBB72_16
; %bb.15:
	global_load_dword v0, v[0:1], off offset:24
	v_mov_b32_e32 v1, 0
	buffer_wbl2 sc0 sc1
	s_waitcnt vmcnt(0)
	global_store_dwordx2 v[2:3], v[0:1], off sc0 sc1
	v_and_b32_e32 v0, 0xffffff, v0
	s_nop 0
	v_readfirstlane_b32 m0, v0
	s_sendmsg sendmsg(MSG_INTERRUPT)
.LBB72_16:
	s_or_b64 exec, exec, s[6:7]
	s_branch .LBB72_20
.LBB72_17:                              ;   in Loop: Header=BB72_20 Depth=1
	s_or_b64 exec, exec, s[6:7]
	v_readfirstlane_b32 s6, v0
	s_cmp_eq_u32 s6, 0
	s_cbranch_scc1 .LBB72_19
; %bb.18:                               ;   in Loop: Header=BB72_20 Depth=1
	s_sleep 1
	s_cbranch_execnz .LBB72_20
	s_branch .LBB72_22
.LBB72_19:
	s_branch .LBB72_22
.LBB72_20:                              ; =>This Inner Loop Header: Depth=1
	v_mov_b32_e32 v0, 1
	s_and_saveexec_b64 s[6:7], s[0:1]
	s_cbranch_execz .LBB72_17
; %bb.21:                               ;   in Loop: Header=BB72_20 Depth=1
	global_load_dword v0, v[10:11], off offset:20 sc0 sc1
	s_waitcnt vmcnt(0)
	buffer_inv sc0 sc1
	v_and_b32_e32 v0, 1, v0
	s_branch .LBB72_17
.LBB72_22:
	s_and_saveexec_b64 s[6:7], s[0:1]
	s_cbranch_execz .LBB72_25
; %bb.23:
	v_mov_b32_e32 v6, 0
	global_load_dwordx2 v[4:5], v6, s[2:3] offset:40
	global_load_dwordx2 v[8:9], v6, s[2:3] offset:24 sc0 sc1
	global_load_dwordx2 v[10:11], v6, s[2:3]
	s_mov_b64 s[0:1], 0
	s_waitcnt vmcnt(2)
	v_lshl_add_u64 v[0:1], v[4:5], 0, 1
	v_lshl_add_u64 v[12:13], v[0:1], 0, s[4:5]
	v_cmp_eq_u64_e32 vcc, 0, v[12:13]
	s_waitcnt vmcnt(1)
	v_mov_b32_e32 v2, v8
	v_cndmask_b32_e32 v1, v13, v1, vcc
	v_cndmask_b32_e32 v0, v12, v0, vcc
	v_and_b32_e32 v3, v1, v5
	v_and_b32_e32 v4, v0, v4
	v_mul_lo_u32 v3, v3, 24
	v_mul_hi_u32 v5, v4, 24
	v_mul_lo_u32 v4, v4, 24
	v_add_u32_e32 v5, v5, v3
	s_waitcnt vmcnt(0)
	v_lshl_add_u64 v[4:5], v[10:11], 0, v[4:5]
	global_store_dwordx2 v[4:5], v[8:9], off
	v_mov_b32_e32 v3, v9
	buffer_wbl2 sc0 sc1
	s_waitcnt vmcnt(0)
	global_atomic_cmpswap_x2 v[2:3], v6, v[0:3], s[2:3] offset:24 sc0 sc1
	s_waitcnt vmcnt(0)
	v_cmp_ne_u64_e32 vcc, v[2:3], v[8:9]
	s_and_b64 exec, exec, vcc
	s_cbranch_execz .LBB72_25
.LBB72_24:                              ; =>This Inner Loop Header: Depth=1
	s_sleep 1
	global_store_dwordx2 v[4:5], v[2:3], off
	buffer_wbl2 sc0 sc1
	s_waitcnt vmcnt(0)
	global_atomic_cmpswap_x2 v[8:9], v6, v[0:3], s[2:3] offset:24 sc0 sc1
	s_waitcnt vmcnt(0)
	v_cmp_eq_u64_e32 vcc, v[8:9], v[2:3]
	s_or_b64 s[0:1], vcc, s[0:1]
	v_mov_b64_e32 v[2:3], v[8:9]
	s_andn2_b64 exec, exec, s[0:1]
	s_cbranch_execnz .LBB72_24
.LBB72_25:
	s_or_b64 exec, exec, s[6:7]
	s_waitcnt vmcnt(0) lgkmcnt(0)
	s_setpc_b64 s[30:31]
.Lfunc_end72:
	.size	__ockl_printf_append_args, .Lfunc_end72-__ockl_printf_append_args
                                        ; -- End function
	.section	.AMDGPU.csdata,"",@progbits
; Function info:
; codeLenInByte = 1224
; NumSgprs: 38
; NumVgprs: 16
; NumAgprs: 0
; TotalNumVgprs: 16
; ScratchSize: 0
; MemoryBound: 0
	.text
	.p2align	2                               ; -- Begin function _ZL14no_device_codePKciS0_iS0_
	.type	_ZL14no_device_codePKciS0_iS0_,@function
_ZL14no_device_codePKciS0_iS0_:         ; @_ZL14no_device_codePKciS0_iS0_
; %bb.0:
	s_waitcnt vmcnt(0) expcnt(0) lgkmcnt(0)
	s_mov_b32 s22, s33
	s_mov_b32 s33, s32
	s_xor_saveexec_b64 s[0:1], -1
	scratch_store_dword off, v38, s33       ; 4-byte Folded Spill
	s_mov_b64 exec, s[0:1]
	v_writelane_b32 v38, s30, 0
	s_add_i32 s32, s32, 16
	s_nop 0
	v_writelane_b32 v38, s31, 1
	s_load_dwordx2 s[2:3], s[8:9], 0x50
	v_mbcnt_lo_u32_b32 v0, -1, 0
	v_mbcnt_hi_u32_b32 v36, -1, v0
	v_mov_b64_e32 v[4:5], 0
	v_readfirstlane_b32 s0, v36
	s_nop 1
	v_cmp_eq_u32_e64 s[0:1], s0, v36
	s_and_saveexec_b64 s[4:5], s[0:1]
	s_cbranch_execz .LBB73_6
; %bb.1:
	v_mov_b32_e32 v0, 0
	s_waitcnt lgkmcnt(0)
	global_load_dwordx2 v[6:7], v0, s[2:3] offset:24 sc0 sc1
	s_waitcnt vmcnt(0)
	buffer_inv sc0 sc1
	global_load_dwordx2 v[2:3], v0, s[2:3] offset:40
	global_load_dwordx2 v[4:5], v0, s[2:3]
	s_waitcnt vmcnt(1)
	v_and_b32_e32 v1, v2, v6
	v_and_b32_e32 v2, v3, v7
	v_mul_lo_u32 v2, v2, 24
	v_mul_hi_u32 v3, v1, 24
	v_add_u32_e32 v3, v3, v2
	v_mul_lo_u32 v2, v1, 24
	s_waitcnt vmcnt(0)
	v_lshl_add_u64 v[2:3], v[4:5], 0, v[2:3]
	global_load_dwordx2 v[4:5], v[2:3], off sc0 sc1
	s_waitcnt vmcnt(0)
	global_atomic_cmpswap_x2 v[4:5], v0, v[4:7], s[2:3] offset:24 sc0 sc1
	s_waitcnt vmcnt(0)
	buffer_inv sc0 sc1
	v_cmp_ne_u64_e32 vcc, v[4:5], v[6:7]
	s_and_saveexec_b64 s[6:7], vcc
	s_cbranch_execz .LBB73_5
; %bb.2:
	s_mov_b64 s[10:11], 0
.LBB73_3:                               ; =>This Inner Loop Header: Depth=1
	s_sleep 1
	global_load_dwordx2 v[2:3], v0, s[2:3] offset:40
	global_load_dwordx2 v[8:9], v0, s[2:3]
	v_mov_b64_e32 v[6:7], v[4:5]
	s_waitcnt vmcnt(1)
	v_and_b32_e32 v2, v2, v6
	v_and_b32_e32 v1, v3, v7
	s_waitcnt vmcnt(0)
	v_mad_u64_u32 v[2:3], s[12:13], v2, 24, v[8:9]
	v_mov_b32_e32 v4, v3
	v_mad_u64_u32 v[4:5], s[12:13], v1, 24, v[4:5]
	v_mov_b32_e32 v3, v4
	global_load_dwordx2 v[4:5], v[2:3], off sc0 sc1
	s_waitcnt vmcnt(0)
	global_atomic_cmpswap_x2 v[4:5], v0, v[4:7], s[2:3] offset:24 sc0 sc1
	s_waitcnt vmcnt(0)
	buffer_inv sc0 sc1
	v_cmp_eq_u64_e32 vcc, v[4:5], v[6:7]
	s_or_b64 s[10:11], vcc, s[10:11]
	s_andn2_b64 exec, exec, s[10:11]
	s_cbranch_execnz .LBB73_3
; %bb.4:
	s_or_b64 exec, exec, s[10:11]
.LBB73_5:
	s_or_b64 exec, exec, s[6:7]
.LBB73_6:
	s_or_b64 exec, exec, s[4:5]
	v_mov_b32_e32 v29, 0
	s_waitcnt lgkmcnt(0)
	global_load_dwordx2 v[6:7], v29, s[2:3] offset:40
	global_load_dwordx4 v[0:3], v29, s[2:3]
	v_readfirstlane_b32 s4, v4
	v_readfirstlane_b32 s5, v5
	s_mov_b64 s[6:7], exec
	s_waitcnt vmcnt(1)
	v_readfirstlane_b32 s10, v6
	v_readfirstlane_b32 s11, v7
	s_and_b64 s[10:11], s[4:5], s[10:11]
	s_mul_i32 s12, s11, 24
	s_mul_hi_u32 s13, s10, 24
	s_add_i32 s13, s13, s12
	s_mul_i32 s12, s10, 24
	s_waitcnt vmcnt(0)
	v_lshl_add_u64 v[4:5], v[0:1], 0, s[12:13]
	s_and_saveexec_b64 s[12:13], s[0:1]
	s_cbranch_execz .LBB73_8
; %bb.7:
	v_mov_b64_e32 v[6:7], s[6:7]
	v_mov_b32_e32 v8, 2
	v_mov_b32_e32 v9, 1
	global_store_dwordx4 v[4:5], v[6:9], off offset:8
.LBB73_8:
	s_or_b64 exec, exec, s[12:13]
	s_lshl_b64 s[6:7], s[10:11], 12
	v_lshl_add_u64 v[6:7], v[2:3], 0, s[6:7]
	s_mov_b32 s12, 0
	v_lshlrev_b32_e32 v28, 6, v36
	v_mov_b32_e32 v8, 33
	v_mov_b32_e32 v9, v29
	;; [unrolled: 1-line block ×4, first 2 shown]
	v_readfirstlane_b32 s6, v6
	v_readfirstlane_b32 s7, v7
	s_mov_b32 s13, s12
	s_mov_b32 s14, s12
	;; [unrolled: 1-line block ×3, first 2 shown]
	s_nop 1
	global_store_dwordx4 v28, v[8:11], s[6:7]
	s_nop 1
	v_mov_b64_e32 v[8:9], s[12:13]
	v_mov_b64_e32 v[10:11], s[14:15]
	global_store_dwordx4 v28, v[8:11], s[6:7] offset:16
	global_store_dwordx4 v28, v[8:11], s[6:7] offset:32
	;; [unrolled: 1-line block ×3, first 2 shown]
	s_and_saveexec_b64 s[6:7], s[0:1]
	s_cbranch_execz .LBB73_16
; %bb.9:
	v_mov_b32_e32 v10, 0
	global_load_dwordx2 v[14:15], v10, s[2:3] offset:32 sc0 sc1
	global_load_dwordx2 v[2:3], v10, s[2:3] offset:40
	v_mov_b32_e32 v12, s4
	v_mov_b32_e32 v13, s5
	s_waitcnt vmcnt(0)
	v_and_b32_e32 v2, s4, v2
	v_and_b32_e32 v3, s5, v3
	v_mul_lo_u32 v3, v3, 24
	v_mul_hi_u32 v8, v2, 24
	v_mul_lo_u32 v2, v2, 24
	v_add_u32_e32 v3, v8, v3
	v_lshl_add_u64 v[8:9], v[0:1], 0, v[2:3]
	global_store_dwordx2 v[8:9], v[14:15], off
	buffer_wbl2 sc0 sc1
	s_waitcnt vmcnt(0)
	global_atomic_cmpswap_x2 v[2:3], v10, v[12:15], s[2:3] offset:32 sc0 sc1
	s_waitcnt vmcnt(0)
	v_cmp_ne_u64_e32 vcc, v[2:3], v[14:15]
	s_and_saveexec_b64 s[10:11], vcc
	s_cbranch_execz .LBB73_12
; %bb.10:
	s_mov_b64 s[12:13], 0
.LBB73_11:                              ; =>This Inner Loop Header: Depth=1
	s_sleep 1
	global_store_dwordx2 v[8:9], v[2:3], off
	v_mov_b32_e32 v0, s4
	v_mov_b32_e32 v1, s5
	buffer_wbl2 sc0 sc1
	s_waitcnt vmcnt(0)
	global_atomic_cmpswap_x2 v[0:1], v10, v[0:3], s[2:3] offset:32 sc0 sc1
	s_waitcnt vmcnt(0)
	v_cmp_eq_u64_e32 vcc, v[0:1], v[2:3]
	s_or_b64 s[12:13], vcc, s[12:13]
	v_mov_b64_e32 v[2:3], v[0:1]
	s_andn2_b64 exec, exec, s[12:13]
	s_cbranch_execnz .LBB73_11
.LBB73_12:
	s_or_b64 exec, exec, s[10:11]
	v_mov_b32_e32 v3, 0
	global_load_dwordx2 v[0:1], v3, s[2:3] offset:16
	s_mov_b64 s[10:11], exec
	v_mbcnt_lo_u32_b32 v2, s10, 0
	v_mbcnt_hi_u32_b32 v2, s11, v2
	v_cmp_eq_u32_e32 vcc, 0, v2
	s_and_saveexec_b64 s[12:13], vcc
	s_cbranch_execz .LBB73_14
; %bb.13:
	s_bcnt1_i32_b64 s10, s[10:11]
	v_mov_b32_e32 v2, s10
	buffer_wbl2 sc0 sc1
	s_waitcnt vmcnt(0)
	global_atomic_add_x2 v[0:1], v[2:3], off offset:8 sc1
.LBB73_14:
	s_or_b64 exec, exec, s[12:13]
	s_waitcnt vmcnt(0)
	global_load_dwordx2 v[2:3], v[0:1], off offset:16
	s_waitcnt vmcnt(0)
	v_cmp_eq_u64_e32 vcc, 0, v[2:3]
	s_cbranch_vccnz .LBB73_16
; %bb.15:
	global_load_dword v0, v[0:1], off offset:24
	v_mov_b32_e32 v1, 0
	buffer_wbl2 sc0 sc1
	s_waitcnt vmcnt(0)
	global_store_dwordx2 v[2:3], v[0:1], off sc0 sc1
	v_and_b32_e32 v0, 0xffffff, v0
	s_nop 0
	v_readfirstlane_b32 m0, v0
	s_sendmsg sendmsg(MSG_INTERRUPT)
.LBB73_16:
	s_or_b64 exec, exec, s[6:7]
	v_lshl_add_u64 v[0:1], v[6:7], 0, v[28:29]
	s_branch .LBB73_20
.LBB73_17:                              ;   in Loop: Header=BB73_20 Depth=1
	s_or_b64 exec, exec, s[6:7]
	v_readfirstlane_b32 s6, v2
	s_cmp_eq_u32 s6, 0
	s_cbranch_scc1 .LBB73_19
; %bb.18:                               ;   in Loop: Header=BB73_20 Depth=1
	s_sleep 1
	s_cbranch_execnz .LBB73_20
	s_branch .LBB73_22
.LBB73_19:
	s_branch .LBB73_22
.LBB73_20:                              ; =>This Inner Loop Header: Depth=1
	v_mov_b32_e32 v2, 1
	s_and_saveexec_b64 s[6:7], s[0:1]
	s_cbranch_execz .LBB73_17
; %bb.21:                               ;   in Loop: Header=BB73_20 Depth=1
	global_load_dword v2, v[4:5], off offset:20 sc0 sc1
	s_waitcnt vmcnt(0)
	buffer_inv sc0 sc1
	v_and_b32_e32 v2, 1, v2
	s_branch .LBB73_17
.LBB73_22:
	global_load_dwordx2 v[4:5], v[0:1], off
	s_and_saveexec_b64 s[6:7], s[0:1]
	s_cbranch_execz .LBB73_25
; %bb.23:
	v_mov_b32_e32 v8, 0
	global_load_dwordx2 v[6:7], v8, s[2:3] offset:40
	global_load_dwordx2 v[10:11], v8, s[2:3] offset:24 sc0 sc1
	global_load_dwordx2 v[12:13], v8, s[2:3]
	s_mov_b64 s[0:1], 0
	s_waitcnt vmcnt(2)
	v_lshl_add_u64 v[0:1], v[6:7], 0, 1
	v_lshl_add_u64 v[14:15], v[0:1], 0, s[4:5]
	v_cmp_eq_u64_e32 vcc, 0, v[14:15]
	s_waitcnt vmcnt(1)
	v_mov_b32_e32 v2, v10
	v_cndmask_b32_e32 v1, v15, v1, vcc
	v_cndmask_b32_e32 v0, v14, v0, vcc
	v_and_b32_e32 v3, v1, v7
	v_and_b32_e32 v6, v0, v6
	v_mul_lo_u32 v3, v3, 24
	v_mul_hi_u32 v7, v6, 24
	v_mul_lo_u32 v6, v6, 24
	v_add_u32_e32 v7, v7, v3
	s_waitcnt vmcnt(0)
	v_lshl_add_u64 v[6:7], v[12:13], 0, v[6:7]
	global_store_dwordx2 v[6:7], v[10:11], off
	v_mov_b32_e32 v3, v11
	buffer_wbl2 sc0 sc1
	s_waitcnt vmcnt(0)
	global_atomic_cmpswap_x2 v[2:3], v8, v[0:3], s[2:3] offset:24 sc0 sc1
	s_waitcnt vmcnt(0)
	v_cmp_ne_u64_e32 vcc, v[2:3], v[10:11]
	s_and_b64 exec, exec, vcc
	s_cbranch_execz .LBB73_25
.LBB73_24:                              ; =>This Inner Loop Header: Depth=1
	s_sleep 1
	global_store_dwordx2 v[6:7], v[2:3], off
	buffer_wbl2 sc0 sc1
	s_waitcnt vmcnt(0)
	global_atomic_cmpswap_x2 v[10:11], v8, v[0:3], s[2:3] offset:24 sc0 sc1
	s_waitcnt vmcnt(0)
	v_cmp_eq_u64_e32 vcc, v[10:11], v[2:3]
	s_or_b64 s[0:1], vcc, s[0:1]
	v_mov_b64_e32 v[2:3], v[10:11]
	s_andn2_b64 exec, exec, s[0:1]
	s_cbranch_execnz .LBB73_24
.LBB73_25:
	s_or_b64 exec, exec, s[6:7]
	s_getpc_b64 s[4:5]
	s_add_u32 s4, s4, .str.3@rel32@lo+4
	s_addc_u32 s5, s5, .str.3@rel32@hi+12
	s_cmp_lg_u64 s[4:5], 0
	s_cbranch_scc0 .LBB73_109
; %bb.26:
	s_waitcnt vmcnt(0)
	v_and_b32_e32 v26, 2, v4
	v_mov_b32_e32 v31, 0
	v_and_b32_e32 v0, -3, v4
	v_mov_b32_e32 v1, v5
	s_mov_b64 s[6:7], 0x4d
	v_mov_b32_e32 v8, 2
	v_mov_b32_e32 v9, 1
	s_branch .LBB73_28
.LBB73_27:                              ;   in Loop: Header=BB73_28 Depth=1
	s_or_b64 exec, exec, s[14:15]
	s_sub_u32 s6, s6, s10
	s_subb_u32 s7, s7, s11
	s_add_u32 s4, s4, s10
	s_addc_u32 s5, s5, s11
	s_cmp_lg_u64 s[6:7], 0
	s_cbranch_scc0 .LBB73_110
.LBB73_28:                              ; =>This Loop Header: Depth=1
                                        ;     Child Loop BB73_31 Depth 2
                                        ;     Child Loop BB73_38 Depth 2
	;; [unrolled: 1-line block ×11, first 2 shown]
	v_cmp_lt_u64_e64 s[0:1], s[6:7], 56
	s_and_b64 s[0:1], s[0:1], exec
	v_cmp_gt_u64_e64 s[0:1], s[6:7], 7
	s_cselect_b32 s11, s7, 0
	s_cselect_b32 s10, s6, 56
	s_and_b64 vcc, exec, s[0:1]
	s_cbranch_vccnz .LBB73_33
; %bb.29:                               ;   in Loop: Header=BB73_28 Depth=1
	s_mov_b64 s[0:1], 0
	s_cmp_eq_u64 s[6:7], 0
	s_waitcnt vmcnt(0)
	v_mov_b64_e32 v[2:3], 0
	s_cbranch_scc1 .LBB73_32
; %bb.30:                               ;   in Loop: Header=BB73_28 Depth=1
	s_lshl_b64 s[12:13], s[10:11], 3
	s_mov_b64 s[14:15], 0
	v_mov_b64_e32 v[2:3], 0
	s_mov_b64 s[16:17], s[4:5]
.LBB73_31:                              ;   Parent Loop BB73_28 Depth=1
                                        ; =>  This Inner Loop Header: Depth=2
	global_load_ubyte v6, v31, s[16:17]
	s_waitcnt vmcnt(0)
	v_and_b32_e32 v30, 0xffff, v6
	v_lshlrev_b64 v[6:7], s14, v[30:31]
	s_add_u32 s14, s14, 8
	s_addc_u32 s15, s15, 0
	s_add_u32 s16, s16, 1
	s_addc_u32 s17, s17, 0
	v_or_b32_e32 v2, v6, v2
	s_cmp_lg_u32 s12, s14
	v_or_b32_e32 v3, v7, v3
	s_cbranch_scc1 .LBB73_31
.LBB73_32:                              ;   in Loop: Header=BB73_28 Depth=1
	s_mov_b32 s16, 0
	s_andn2_b64 vcc, exec, s[0:1]
	s_mov_b64 s[0:1], s[4:5]
	s_cbranch_vccz .LBB73_34
	s_branch .LBB73_35
.LBB73_33:                              ;   in Loop: Header=BB73_28 Depth=1
                                        ; implicit-def: $vgpr2_vgpr3
                                        ; implicit-def: $sgpr16
	s_mov_b64 s[0:1], s[4:5]
.LBB73_34:                              ;   in Loop: Header=BB73_28 Depth=1
	global_load_dwordx2 v[2:3], v31, s[4:5]
	s_add_i32 s16, s10, -8
	s_add_u32 s0, s4, 8
	s_addc_u32 s1, s5, 0
.LBB73_35:                              ;   in Loop: Header=BB73_28 Depth=1
	s_cmp_gt_u32 s16, 7
	s_cbranch_scc1 .LBB73_39
; %bb.36:                               ;   in Loop: Header=BB73_28 Depth=1
	s_cmp_eq_u32 s16, 0
	s_cbranch_scc1 .LBB73_40
; %bb.37:                               ;   in Loop: Header=BB73_28 Depth=1
	s_mov_b64 s[12:13], 0
	v_mov_b64_e32 v[10:11], 0
	s_mov_b64 s[14:15], 0
.LBB73_38:                              ;   Parent Loop BB73_28 Depth=1
                                        ; =>  This Inner Loop Header: Depth=2
	s_add_u32 s18, s0, s14
	s_addc_u32 s19, s1, s15
	global_load_ubyte v6, v31, s[18:19]
	s_add_u32 s14, s14, 1
	s_addc_u32 s15, s15, 0
	s_waitcnt vmcnt(0)
	v_and_b32_e32 v30, 0xffff, v6
	v_lshlrev_b64 v[6:7], s12, v[30:31]
	s_add_u32 s12, s12, 8
	s_addc_u32 s13, s13, 0
	v_or_b32_e32 v10, v6, v10
	s_cmp_lg_u32 s16, s14
	v_or_b32_e32 v11, v7, v11
	s_cbranch_scc1 .LBB73_38
	s_branch .LBB73_41
.LBB73_39:                              ;   in Loop: Header=BB73_28 Depth=1
                                        ; implicit-def: $vgpr10_vgpr11
                                        ; implicit-def: $sgpr17
	s_branch .LBB73_42
.LBB73_40:                              ;   in Loop: Header=BB73_28 Depth=1
	v_mov_b64_e32 v[10:11], 0
.LBB73_41:                              ;   in Loop: Header=BB73_28 Depth=1
	s_mov_b32 s17, 0
	s_cbranch_execnz .LBB73_43
.LBB73_42:                              ;   in Loop: Header=BB73_28 Depth=1
	global_load_dwordx2 v[10:11], v31, s[0:1]
	s_add_i32 s17, s16, -8
	s_add_u32 s0, s0, 8
	s_addc_u32 s1, s1, 0
.LBB73_43:                              ;   in Loop: Header=BB73_28 Depth=1
	s_cmp_gt_u32 s17, 7
	s_cbranch_scc1 .LBB73_47
; %bb.44:                               ;   in Loop: Header=BB73_28 Depth=1
	s_cmp_eq_u32 s17, 0
	s_cbranch_scc1 .LBB73_48
; %bb.45:                               ;   in Loop: Header=BB73_28 Depth=1
	s_mov_b64 s[12:13], 0
	v_mov_b64_e32 v[12:13], 0
	s_mov_b64 s[14:15], 0
.LBB73_46:                              ;   Parent Loop BB73_28 Depth=1
                                        ; =>  This Inner Loop Header: Depth=2
	s_add_u32 s18, s0, s14
	s_addc_u32 s19, s1, s15
	global_load_ubyte v6, v31, s[18:19]
	s_add_u32 s14, s14, 1
	s_addc_u32 s15, s15, 0
	s_waitcnt vmcnt(0)
	v_and_b32_e32 v30, 0xffff, v6
	v_lshlrev_b64 v[6:7], s12, v[30:31]
	s_add_u32 s12, s12, 8
	s_addc_u32 s13, s13, 0
	v_or_b32_e32 v12, v6, v12
	s_cmp_lg_u32 s17, s14
	v_or_b32_e32 v13, v7, v13
	s_cbranch_scc1 .LBB73_46
	s_branch .LBB73_49
.LBB73_47:                              ;   in Loop: Header=BB73_28 Depth=1
                                        ; implicit-def: $sgpr16
	s_branch .LBB73_50
.LBB73_48:                              ;   in Loop: Header=BB73_28 Depth=1
	v_mov_b64_e32 v[12:13], 0
.LBB73_49:                              ;   in Loop: Header=BB73_28 Depth=1
	s_mov_b32 s16, 0
	s_cbranch_execnz .LBB73_51
.LBB73_50:                              ;   in Loop: Header=BB73_28 Depth=1
	global_load_dwordx2 v[12:13], v31, s[0:1]
	s_add_i32 s16, s17, -8
	s_add_u32 s0, s0, 8
	s_addc_u32 s1, s1, 0
.LBB73_51:                              ;   in Loop: Header=BB73_28 Depth=1
	s_cmp_gt_u32 s16, 7
	s_cbranch_scc1 .LBB73_55
; %bb.52:                               ;   in Loop: Header=BB73_28 Depth=1
	s_cmp_eq_u32 s16, 0
	s_cbranch_scc1 .LBB73_56
; %bb.53:                               ;   in Loop: Header=BB73_28 Depth=1
	s_mov_b64 s[12:13], 0
	v_mov_b64_e32 v[14:15], 0
	s_mov_b64 s[14:15], 0
.LBB73_54:                              ;   Parent Loop BB73_28 Depth=1
                                        ; =>  This Inner Loop Header: Depth=2
	s_add_u32 s18, s0, s14
	s_addc_u32 s19, s1, s15
	global_load_ubyte v6, v31, s[18:19]
	s_add_u32 s14, s14, 1
	s_addc_u32 s15, s15, 0
	s_waitcnt vmcnt(0)
	v_and_b32_e32 v30, 0xffff, v6
	v_lshlrev_b64 v[6:7], s12, v[30:31]
	s_add_u32 s12, s12, 8
	s_addc_u32 s13, s13, 0
	v_or_b32_e32 v14, v6, v14
	s_cmp_lg_u32 s16, s14
	v_or_b32_e32 v15, v7, v15
	s_cbranch_scc1 .LBB73_54
	s_branch .LBB73_57
.LBB73_55:                              ;   in Loop: Header=BB73_28 Depth=1
                                        ; implicit-def: $vgpr14_vgpr15
                                        ; implicit-def: $sgpr17
	s_branch .LBB73_58
.LBB73_56:                              ;   in Loop: Header=BB73_28 Depth=1
	v_mov_b64_e32 v[14:15], 0
.LBB73_57:                              ;   in Loop: Header=BB73_28 Depth=1
	s_mov_b32 s17, 0
	s_cbranch_execnz .LBB73_59
.LBB73_58:                              ;   in Loop: Header=BB73_28 Depth=1
	global_load_dwordx2 v[14:15], v31, s[0:1]
	s_add_i32 s17, s16, -8
	s_add_u32 s0, s0, 8
	s_addc_u32 s1, s1, 0
.LBB73_59:                              ;   in Loop: Header=BB73_28 Depth=1
	s_cmp_gt_u32 s17, 7
	s_cbranch_scc1 .LBB73_63
; %bb.60:                               ;   in Loop: Header=BB73_28 Depth=1
	s_cmp_eq_u32 s17, 0
	s_cbranch_scc1 .LBB73_64
; %bb.61:                               ;   in Loop: Header=BB73_28 Depth=1
	s_mov_b64 s[12:13], 0
	v_mov_b64_e32 v[16:17], 0
	s_mov_b64 s[14:15], 0
.LBB73_62:                              ;   Parent Loop BB73_28 Depth=1
                                        ; =>  This Inner Loop Header: Depth=2
	s_add_u32 s18, s0, s14
	s_addc_u32 s19, s1, s15
	global_load_ubyte v6, v31, s[18:19]
	s_add_u32 s14, s14, 1
	s_addc_u32 s15, s15, 0
	s_waitcnt vmcnt(0)
	v_and_b32_e32 v30, 0xffff, v6
	v_lshlrev_b64 v[6:7], s12, v[30:31]
	s_add_u32 s12, s12, 8
	s_addc_u32 s13, s13, 0
	v_or_b32_e32 v16, v6, v16
	s_cmp_lg_u32 s17, s14
	v_or_b32_e32 v17, v7, v17
	s_cbranch_scc1 .LBB73_62
	s_branch .LBB73_65
.LBB73_63:                              ;   in Loop: Header=BB73_28 Depth=1
                                        ; implicit-def: $sgpr16
	s_branch .LBB73_66
.LBB73_64:                              ;   in Loop: Header=BB73_28 Depth=1
	v_mov_b64_e32 v[16:17], 0
.LBB73_65:                              ;   in Loop: Header=BB73_28 Depth=1
	s_mov_b32 s16, 0
	s_cbranch_execnz .LBB73_67
.LBB73_66:                              ;   in Loop: Header=BB73_28 Depth=1
	global_load_dwordx2 v[16:17], v31, s[0:1]
	s_add_i32 s16, s17, -8
	s_add_u32 s0, s0, 8
	s_addc_u32 s1, s1, 0
.LBB73_67:                              ;   in Loop: Header=BB73_28 Depth=1
	s_cmp_gt_u32 s16, 7
	s_cbranch_scc1 .LBB73_71
; %bb.68:                               ;   in Loop: Header=BB73_28 Depth=1
	s_cmp_eq_u32 s16, 0
	s_cbranch_scc1 .LBB73_72
; %bb.69:                               ;   in Loop: Header=BB73_28 Depth=1
	s_mov_b64 s[12:13], 0
	v_mov_b64_e32 v[18:19], 0
	s_mov_b64 s[14:15], 0
.LBB73_70:                              ;   Parent Loop BB73_28 Depth=1
                                        ; =>  This Inner Loop Header: Depth=2
	s_add_u32 s18, s0, s14
	s_addc_u32 s19, s1, s15
	global_load_ubyte v6, v31, s[18:19]
	s_add_u32 s14, s14, 1
	s_addc_u32 s15, s15, 0
	s_waitcnt vmcnt(0)
	v_and_b32_e32 v30, 0xffff, v6
	v_lshlrev_b64 v[6:7], s12, v[30:31]
	s_add_u32 s12, s12, 8
	s_addc_u32 s13, s13, 0
	v_or_b32_e32 v18, v6, v18
	s_cmp_lg_u32 s16, s14
	v_or_b32_e32 v19, v7, v19
	s_cbranch_scc1 .LBB73_70
	s_branch .LBB73_73
.LBB73_71:                              ;   in Loop: Header=BB73_28 Depth=1
                                        ; implicit-def: $vgpr18_vgpr19
                                        ; implicit-def: $sgpr17
	s_branch .LBB73_74
.LBB73_72:                              ;   in Loop: Header=BB73_28 Depth=1
	v_mov_b64_e32 v[18:19], 0
.LBB73_73:                              ;   in Loop: Header=BB73_28 Depth=1
	s_mov_b32 s17, 0
	s_cbranch_execnz .LBB73_75
.LBB73_74:                              ;   in Loop: Header=BB73_28 Depth=1
	global_load_dwordx2 v[18:19], v31, s[0:1]
	s_add_i32 s17, s16, -8
	s_add_u32 s0, s0, 8
	s_addc_u32 s1, s1, 0
.LBB73_75:                              ;   in Loop: Header=BB73_28 Depth=1
	s_cmp_gt_u32 s17, 7
	s_cbranch_scc1 .LBB73_79
; %bb.76:                               ;   in Loop: Header=BB73_28 Depth=1
	s_cmp_eq_u32 s17, 0
	s_cbranch_scc1 .LBB73_80
; %bb.77:                               ;   in Loop: Header=BB73_28 Depth=1
	s_mov_b64 s[12:13], 0
	v_mov_b64_e32 v[20:21], 0
	s_mov_b64 s[14:15], s[0:1]
.LBB73_78:                              ;   Parent Loop BB73_28 Depth=1
                                        ; =>  This Inner Loop Header: Depth=2
	global_load_ubyte v6, v31, s[14:15]
	s_add_i32 s17, s17, -1
	s_waitcnt vmcnt(0)
	v_and_b32_e32 v30, 0xffff, v6
	v_lshlrev_b64 v[6:7], s12, v[30:31]
	s_add_u32 s12, s12, 8
	s_addc_u32 s13, s13, 0
	s_add_u32 s14, s14, 1
	s_addc_u32 s15, s15, 0
	v_or_b32_e32 v20, v6, v20
	s_cmp_lg_u32 s17, 0
	v_or_b32_e32 v21, v7, v21
	s_cbranch_scc1 .LBB73_78
	s_branch .LBB73_81
.LBB73_79:                              ;   in Loop: Header=BB73_28 Depth=1
	s_branch .LBB73_82
.LBB73_80:                              ;   in Loop: Header=BB73_28 Depth=1
	v_mov_b64_e32 v[20:21], 0
.LBB73_81:                              ;   in Loop: Header=BB73_28 Depth=1
	s_cbranch_execnz .LBB73_83
.LBB73_82:                              ;   in Loop: Header=BB73_28 Depth=1
	global_load_dwordx2 v[20:21], v31, s[0:1]
.LBB73_83:                              ;   in Loop: Header=BB73_28 Depth=1
	v_readfirstlane_b32 s0, v36
	v_mov_b64_e32 v[6:7], 0
	s_nop 0
	v_cmp_eq_u32_e64 s[0:1], s0, v36
	s_and_saveexec_b64 s[12:13], s[0:1]
	s_cbranch_execz .LBB73_89
; %bb.84:                               ;   in Loop: Header=BB73_28 Depth=1
	global_load_dwordx2 v[24:25], v31, s[2:3] offset:24 sc0 sc1
	s_waitcnt vmcnt(0)
	buffer_inv sc0 sc1
	global_load_dwordx2 v[6:7], v31, s[2:3] offset:40
	global_load_dwordx2 v[22:23], v31, s[2:3]
	s_waitcnt vmcnt(1)
	v_and_b32_e32 v6, v6, v24
	v_and_b32_e32 v7, v7, v25
	v_mul_lo_u32 v7, v7, 24
	v_mul_hi_u32 v27, v6, 24
	v_add_u32_e32 v7, v27, v7
	v_mul_lo_u32 v6, v6, 24
	s_waitcnt vmcnt(0)
	v_lshl_add_u64 v[6:7], v[22:23], 0, v[6:7]
	global_load_dwordx2 v[22:23], v[6:7], off sc0 sc1
	s_waitcnt vmcnt(0)
	global_atomic_cmpswap_x2 v[6:7], v31, v[22:25], s[2:3] offset:24 sc0 sc1
	s_waitcnt vmcnt(0)
	buffer_inv sc0 sc1
	v_cmp_ne_u64_e32 vcc, v[6:7], v[24:25]
	s_and_saveexec_b64 s[14:15], vcc
	s_cbranch_execz .LBB73_88
; %bb.85:                               ;   in Loop: Header=BB73_28 Depth=1
	s_mov_b64 s[16:17], 0
.LBB73_86:                              ;   Parent Loop BB73_28 Depth=1
                                        ; =>  This Inner Loop Header: Depth=2
	s_sleep 1
	global_load_dwordx2 v[22:23], v31, s[2:3] offset:40
	global_load_dwordx2 v[32:33], v31, s[2:3]
	v_mov_b64_e32 v[24:25], v[6:7]
	s_waitcnt vmcnt(1)
	v_and_b32_e32 v6, v22, v24
	s_waitcnt vmcnt(0)
	v_mad_u64_u32 v[6:7], s[18:19], v6, 24, v[32:33]
	v_and_b32_e32 v23, v23, v25
	v_mov_b32_e32 v22, v7
	v_mad_u64_u32 v[22:23], s[18:19], v23, 24, v[22:23]
	v_mov_b32_e32 v7, v22
	global_load_dwordx2 v[22:23], v[6:7], off sc0 sc1
	s_waitcnt vmcnt(0)
	global_atomic_cmpswap_x2 v[6:7], v31, v[22:25], s[2:3] offset:24 sc0 sc1
	s_waitcnt vmcnt(0)
	buffer_inv sc0 sc1
	v_cmp_eq_u64_e32 vcc, v[6:7], v[24:25]
	s_or_b64 s[16:17], vcc, s[16:17]
	s_andn2_b64 exec, exec, s[16:17]
	s_cbranch_execnz .LBB73_86
; %bb.87:                               ;   in Loop: Header=BB73_28 Depth=1
	s_or_b64 exec, exec, s[16:17]
.LBB73_88:                              ;   in Loop: Header=BB73_28 Depth=1
	s_or_b64 exec, exec, s[14:15]
.LBB73_89:                              ;   in Loop: Header=BB73_28 Depth=1
	s_or_b64 exec, exec, s[12:13]
	global_load_dwordx2 v[32:33], v31, s[2:3] offset:40
	global_load_dwordx4 v[22:25], v31, s[2:3]
	v_readfirstlane_b32 s12, v6
	v_readfirstlane_b32 s13, v7
	s_mov_b64 s[14:15], exec
	s_waitcnt vmcnt(1)
	v_readfirstlane_b32 s16, v32
	v_readfirstlane_b32 s17, v33
	s_and_b64 s[16:17], s[12:13], s[16:17]
	s_mul_i32 s18, s17, 24
	s_mul_hi_u32 s19, s16, 24
	s_add_i32 s19, s19, s18
	s_mul_i32 s18, s16, 24
	s_waitcnt vmcnt(0)
	v_lshl_add_u64 v[32:33], v[22:23], 0, s[18:19]
	s_and_saveexec_b64 s[18:19], s[0:1]
	s_cbranch_execz .LBB73_91
; %bb.90:                               ;   in Loop: Header=BB73_28 Depth=1
	v_mov_b64_e32 v[6:7], s[14:15]
	global_store_dwordx4 v[32:33], v[6:9], off offset:8
.LBB73_91:                              ;   in Loop: Header=BB73_28 Depth=1
	s_or_b64 exec, exec, s[18:19]
	s_lshl_b64 s[14:15], s[16:17], 12
	v_lshl_add_u64 v[6:7], v[24:25], 0, s[14:15]
	v_or_b32_e32 v25, v0, v26
	v_cmp_gt_u64_e64 vcc, s[6:7], 56
	s_lshl_b32 s14, s10, 2
	s_add_i32 s14, s14, 28
	v_cndmask_b32_e32 v0, v25, v0, vcc
	v_or_b32_e32 v24, 0, v1
	s_and_b32 s14, s14, 0x1e0
	v_and_b32_e32 v0, 0xffffff1f, v0
	v_cndmask_b32_e32 v1, v24, v1, vcc
	v_or_b32_e32 v0, s14, v0
	v_readfirstlane_b32 s14, v6
	v_readfirstlane_b32 s15, v7
	s_nop 4
	global_store_dwordx4 v28, v[0:3], s[14:15]
	global_store_dwordx4 v28, v[10:13], s[14:15] offset:16
	global_store_dwordx4 v28, v[14:17], s[14:15] offset:32
	;; [unrolled: 1-line block ×3, first 2 shown]
	s_and_saveexec_b64 s[14:15], s[0:1]
	s_cbranch_execz .LBB73_99
; %bb.92:                               ;   in Loop: Header=BB73_28 Depth=1
	global_load_dwordx2 v[14:15], v31, s[2:3] offset:32 sc0 sc1
	global_load_dwordx2 v[0:1], v31, s[2:3] offset:40
	v_mov_b32_e32 v12, s12
	v_mov_b32_e32 v13, s13
	s_waitcnt vmcnt(0)
	v_readfirstlane_b32 s16, v0
	v_readfirstlane_b32 s17, v1
	s_and_b64 s[16:17], s[16:17], s[12:13]
	s_mul_i32 s17, s17, 24
	s_mul_hi_u32 s18, s16, 24
	s_mul_i32 s16, s16, 24
	s_add_i32 s17, s18, s17
	v_lshl_add_u64 v[10:11], v[22:23], 0, s[16:17]
	global_store_dwordx2 v[10:11], v[14:15], off
	buffer_wbl2 sc0 sc1
	s_waitcnt vmcnt(0)
	global_atomic_cmpswap_x2 v[2:3], v31, v[12:15], s[2:3] offset:32 sc0 sc1
	s_waitcnt vmcnt(0)
	v_cmp_ne_u64_e32 vcc, v[2:3], v[14:15]
	s_and_saveexec_b64 s[16:17], vcc
	s_cbranch_execz .LBB73_95
; %bb.93:                               ;   in Loop: Header=BB73_28 Depth=1
	s_mov_b64 s[18:19], 0
.LBB73_94:                              ;   Parent Loop BB73_28 Depth=1
                                        ; =>  This Inner Loop Header: Depth=2
	s_sleep 1
	global_store_dwordx2 v[10:11], v[2:3], off
	v_mov_b32_e32 v0, s12
	v_mov_b32_e32 v1, s13
	buffer_wbl2 sc0 sc1
	s_waitcnt vmcnt(0)
	global_atomic_cmpswap_x2 v[0:1], v31, v[0:3], s[2:3] offset:32 sc0 sc1
	s_waitcnt vmcnt(0)
	v_cmp_eq_u64_e32 vcc, v[0:1], v[2:3]
	s_or_b64 s[18:19], vcc, s[18:19]
	v_mov_b64_e32 v[2:3], v[0:1]
	s_andn2_b64 exec, exec, s[18:19]
	s_cbranch_execnz .LBB73_94
.LBB73_95:                              ;   in Loop: Header=BB73_28 Depth=1
	s_or_b64 exec, exec, s[16:17]
	global_load_dwordx2 v[0:1], v31, s[2:3] offset:16
	s_mov_b64 s[18:19], exec
	v_mbcnt_lo_u32_b32 v2, s18, 0
	v_mbcnt_hi_u32_b32 v2, s19, v2
	v_cmp_eq_u32_e32 vcc, 0, v2
	s_and_saveexec_b64 s[16:17], vcc
	s_cbranch_execz .LBB73_97
; %bb.96:                               ;   in Loop: Header=BB73_28 Depth=1
	s_bcnt1_i32_b64 s18, s[18:19]
	v_mov_b32_e32 v30, s18
	buffer_wbl2 sc0 sc1
	s_waitcnt vmcnt(0)
	global_atomic_add_x2 v[0:1], v[30:31], off offset:8 sc1
.LBB73_97:                              ;   in Loop: Header=BB73_28 Depth=1
	s_or_b64 exec, exec, s[16:17]
	s_waitcnt vmcnt(0)
	global_load_dwordx2 v[2:3], v[0:1], off offset:16
	s_waitcnt vmcnt(0)
	v_cmp_eq_u64_e32 vcc, 0, v[2:3]
	s_cbranch_vccnz .LBB73_99
; %bb.98:                               ;   in Loop: Header=BB73_28 Depth=1
	global_load_dword v30, v[0:1], off offset:24
	s_waitcnt vmcnt(0)
	v_and_b32_e32 v0, 0xffffff, v30
	s_nop 0
	v_readfirstlane_b32 m0, v0
	buffer_wbl2 sc0 sc1
	global_store_dwordx2 v[2:3], v[30:31], off sc0 sc1
	s_sendmsg sendmsg(MSG_INTERRUPT)
.LBB73_99:                              ;   in Loop: Header=BB73_28 Depth=1
	s_or_b64 exec, exec, s[14:15]
	v_mov_b32_e32 v29, v31
	v_lshl_add_u64 v[0:1], v[6:7], 0, v[28:29]
	s_branch .LBB73_103
.LBB73_100:                             ;   in Loop: Header=BB73_103 Depth=2
	s_or_b64 exec, exec, s[14:15]
	v_readfirstlane_b32 s14, v2
	s_cmp_eq_u32 s14, 0
	s_cbranch_scc1 .LBB73_102
; %bb.101:                              ;   in Loop: Header=BB73_103 Depth=2
	s_sleep 1
	s_cbranch_execnz .LBB73_103
	s_branch .LBB73_105
.LBB73_102:                             ;   in Loop: Header=BB73_28 Depth=1
	s_branch .LBB73_105
.LBB73_103:                             ;   Parent Loop BB73_28 Depth=1
                                        ; =>  This Inner Loop Header: Depth=2
	v_mov_b32_e32 v2, 1
	s_and_saveexec_b64 s[14:15], s[0:1]
	s_cbranch_execz .LBB73_100
; %bb.104:                              ;   in Loop: Header=BB73_103 Depth=2
	global_load_dword v2, v[32:33], off offset:20 sc0 sc1
	s_waitcnt vmcnt(0)
	buffer_inv sc0 sc1
	v_and_b32_e32 v2, 1, v2
	s_branch .LBB73_100
.LBB73_105:                             ;   in Loop: Header=BB73_28 Depth=1
	global_load_dwordx4 v[0:3], v[0:1], off
	s_and_saveexec_b64 s[14:15], s[0:1]
	s_cbranch_execz .LBB73_27
; %bb.106:                              ;   in Loop: Header=BB73_28 Depth=1
	global_load_dwordx2 v[2:3], v31, s[2:3] offset:40
	global_load_dwordx2 v[6:7], v31, s[2:3] offset:24 sc0 sc1
	global_load_dwordx2 v[14:15], v31, s[2:3]
	s_waitcnt vmcnt(2)
	v_lshl_add_u64 v[10:11], v[2:3], 0, 1
	v_lshl_add_u64 v[16:17], v[10:11], 0, s[12:13]
	v_cmp_eq_u64_e32 vcc, 0, v[16:17]
	s_waitcnt vmcnt(1)
	v_mov_b32_e32 v12, v6
	v_cndmask_b32_e32 v11, v17, v11, vcc
	v_cndmask_b32_e32 v10, v16, v10, vcc
	v_and_b32_e32 v3, v11, v3
	v_and_b32_e32 v2, v10, v2
	v_mul_lo_u32 v3, v3, 24
	v_mul_hi_u32 v13, v2, 24
	v_mul_lo_u32 v2, v2, 24
	v_add_u32_e32 v3, v13, v3
	s_waitcnt vmcnt(0)
	v_lshl_add_u64 v[2:3], v[14:15], 0, v[2:3]
	global_store_dwordx2 v[2:3], v[6:7], off
	v_mov_b32_e32 v13, v7
	buffer_wbl2 sc0 sc1
	s_waitcnt vmcnt(0)
	global_atomic_cmpswap_x2 v[12:13], v31, v[10:13], s[2:3] offset:24 sc0 sc1
	s_waitcnt vmcnt(0)
	v_cmp_ne_u64_e32 vcc, v[12:13], v[6:7]
	s_and_b64 exec, exec, vcc
	s_cbranch_execz .LBB73_27
; %bb.107:                              ;   in Loop: Header=BB73_28 Depth=1
	s_mov_b64 s[0:1], 0
.LBB73_108:                             ;   Parent Loop BB73_28 Depth=1
                                        ; =>  This Inner Loop Header: Depth=2
	s_sleep 1
	global_store_dwordx2 v[2:3], v[12:13], off
	buffer_wbl2 sc0 sc1
	s_waitcnt vmcnt(0)
	global_atomic_cmpswap_x2 v[6:7], v31, v[10:13], s[2:3] offset:24 sc0 sc1
	s_waitcnt vmcnt(0)
	v_cmp_eq_u64_e32 vcc, v[6:7], v[12:13]
	s_or_b64 s[0:1], vcc, s[0:1]
	v_mov_b64_e32 v[12:13], v[6:7]
	s_andn2_b64 exec, exec, s[0:1]
	s_cbranch_execnz .LBB73_108
	s_branch .LBB73_27
.LBB73_109:
                                        ; implicit-def: $vgpr0_vgpr1
	s_cbranch_execnz .LBB73_111
	s_branch .LBB73_137
.LBB73_110:
	s_branch .LBB73_137
.LBB73_111:
	v_readfirstlane_b32 s0, v36
	v_mov_b64_e32 v[6:7], 0
	s_nop 0
	v_cmp_eq_u32_e64 s[0:1], s0, v36
	s_and_saveexec_b64 s[4:5], s[0:1]
	s_cbranch_execz .LBB73_117
; %bb.112:
	s_waitcnt vmcnt(0)
	v_mov_b32_e32 v0, 0
	global_load_dwordx2 v[8:9], v0, s[2:3] offset:24 sc0 sc1
	s_waitcnt vmcnt(0)
	buffer_inv sc0 sc1
	global_load_dwordx2 v[2:3], v0, s[2:3] offset:40
	global_load_dwordx2 v[6:7], v0, s[2:3]
	s_waitcnt vmcnt(1)
	v_and_b32_e32 v1, v2, v8
	v_and_b32_e32 v2, v3, v9
	v_mul_lo_u32 v2, v2, 24
	v_mul_hi_u32 v3, v1, 24
	v_add_u32_e32 v3, v3, v2
	v_mul_lo_u32 v2, v1, 24
	s_waitcnt vmcnt(0)
	v_lshl_add_u64 v[2:3], v[6:7], 0, v[2:3]
	global_load_dwordx2 v[6:7], v[2:3], off sc0 sc1
	s_waitcnt vmcnt(0)
	global_atomic_cmpswap_x2 v[6:7], v0, v[6:9], s[2:3] offset:24 sc0 sc1
	s_waitcnt vmcnt(0)
	buffer_inv sc0 sc1
	v_cmp_ne_u64_e32 vcc, v[6:7], v[8:9]
	s_and_saveexec_b64 s[6:7], vcc
	s_cbranch_execz .LBB73_116
; %bb.113:
	s_mov_b64 s[10:11], 0
.LBB73_114:                             ; =>This Inner Loop Header: Depth=1
	s_sleep 1
	global_load_dwordx2 v[2:3], v0, s[2:3] offset:40
	global_load_dwordx2 v[10:11], v0, s[2:3]
	v_mov_b64_e32 v[8:9], v[6:7]
	s_waitcnt vmcnt(1)
	v_and_b32_e32 v2, v2, v8
	v_and_b32_e32 v1, v3, v9
	s_waitcnt vmcnt(0)
	v_mad_u64_u32 v[2:3], s[12:13], v2, 24, v[10:11]
	v_mov_b32_e32 v6, v3
	v_mad_u64_u32 v[6:7], s[12:13], v1, 24, v[6:7]
	v_mov_b32_e32 v3, v6
	global_load_dwordx2 v[6:7], v[2:3], off sc0 sc1
	s_waitcnt vmcnt(0)
	global_atomic_cmpswap_x2 v[6:7], v0, v[6:9], s[2:3] offset:24 sc0 sc1
	s_waitcnt vmcnt(0)
	buffer_inv sc0 sc1
	v_cmp_eq_u64_e32 vcc, v[6:7], v[8:9]
	s_or_b64 s[10:11], vcc, s[10:11]
	s_andn2_b64 exec, exec, s[10:11]
	s_cbranch_execnz .LBB73_114
; %bb.115:
	s_or_b64 exec, exec, s[10:11]
.LBB73_116:
	s_or_b64 exec, exec, s[6:7]
.LBB73_117:
	s_or_b64 exec, exec, s[4:5]
	v_mov_b32_e32 v29, 0
	global_load_dwordx2 v[8:9], v29, s[2:3] offset:40
	global_load_dwordx4 v[0:3], v29, s[2:3]
	v_readfirstlane_b32 s4, v6
	v_readfirstlane_b32 s5, v7
	s_mov_b64 s[6:7], exec
	s_waitcnt vmcnt(1)
	v_readfirstlane_b32 s10, v8
	v_readfirstlane_b32 s11, v9
	s_and_b64 s[10:11], s[4:5], s[10:11]
	s_mul_i32 s12, s11, 24
	s_mul_hi_u32 s13, s10, 24
	s_add_i32 s13, s13, s12
	s_mul_i32 s12, s10, 24
	s_waitcnt vmcnt(0)
	v_lshl_add_u64 v[8:9], v[0:1], 0, s[12:13]
	s_and_saveexec_b64 s[12:13], s[0:1]
	s_cbranch_execz .LBB73_119
; %bb.118:
	v_mov_b64_e32 v[10:11], s[6:7]
	v_mov_b32_e32 v12, 2
	v_mov_b32_e32 v13, 1
	global_store_dwordx4 v[8:9], v[10:13], off offset:8
.LBB73_119:
	s_or_b64 exec, exec, s[12:13]
	s_lshl_b64 s[6:7], s[10:11], 12
	v_lshl_add_u64 v[10:11], v[2:3], 0, s[6:7]
	s_movk_i32 s6, 0xff1f
	s_mov_b32 s12, 0
	v_and_or_b32 v4, v4, s6, 32
	v_mov_b32_e32 v6, v29
	v_mov_b32_e32 v7, v29
	v_readfirstlane_b32 s6, v10
	v_readfirstlane_b32 s7, v11
	s_mov_b32 s13, s12
	s_mov_b32 s14, s12
	;; [unrolled: 1-line block ×3, first 2 shown]
	s_nop 1
	global_store_dwordx4 v28, v[4:7], s[6:7]
	v_mov_b64_e32 v[2:3], s[12:13]
	s_nop 0
	v_mov_b64_e32 v[4:5], s[14:15]
	global_store_dwordx4 v28, v[2:5], s[6:7] offset:16
	global_store_dwordx4 v28, v[2:5], s[6:7] offset:32
	global_store_dwordx4 v28, v[2:5], s[6:7] offset:48
	s_and_saveexec_b64 s[6:7], s[0:1]
	s_cbranch_execz .LBB73_127
; %bb.120:
	v_mov_b32_e32 v6, 0
	global_load_dwordx2 v[14:15], v6, s[2:3] offset:32 sc0 sc1
	global_load_dwordx2 v[2:3], v6, s[2:3] offset:40
	v_mov_b32_e32 v12, s4
	v_mov_b32_e32 v13, s5
	s_waitcnt vmcnt(0)
	v_readfirstlane_b32 s10, v2
	v_readfirstlane_b32 s11, v3
	s_and_b64 s[10:11], s[10:11], s[4:5]
	s_mul_i32 s11, s11, 24
	s_mul_hi_u32 s12, s10, 24
	s_mul_i32 s10, s10, 24
	s_add_i32 s11, s12, s11
	v_lshl_add_u64 v[4:5], v[0:1], 0, s[10:11]
	global_store_dwordx2 v[4:5], v[14:15], off
	buffer_wbl2 sc0 sc1
	s_waitcnt vmcnt(0)
	global_atomic_cmpswap_x2 v[2:3], v6, v[12:15], s[2:3] offset:32 sc0 sc1
	s_waitcnt vmcnt(0)
	v_cmp_ne_u64_e32 vcc, v[2:3], v[14:15]
	s_and_saveexec_b64 s[10:11], vcc
	s_cbranch_execz .LBB73_123
; %bb.121:
	s_mov_b64 s[12:13], 0
.LBB73_122:                             ; =>This Inner Loop Header: Depth=1
	s_sleep 1
	global_store_dwordx2 v[4:5], v[2:3], off
	v_mov_b32_e32 v0, s4
	v_mov_b32_e32 v1, s5
	buffer_wbl2 sc0 sc1
	s_waitcnt vmcnt(0)
	global_atomic_cmpswap_x2 v[0:1], v6, v[0:3], s[2:3] offset:32 sc0 sc1
	s_waitcnt vmcnt(0)
	v_cmp_eq_u64_e32 vcc, v[0:1], v[2:3]
	s_or_b64 s[12:13], vcc, s[12:13]
	v_mov_b64_e32 v[2:3], v[0:1]
	s_andn2_b64 exec, exec, s[12:13]
	s_cbranch_execnz .LBB73_122
.LBB73_123:
	s_or_b64 exec, exec, s[10:11]
	v_mov_b32_e32 v3, 0
	global_load_dwordx2 v[0:1], v3, s[2:3] offset:16
	s_mov_b64 s[10:11], exec
	v_mbcnt_lo_u32_b32 v2, s10, 0
	v_mbcnt_hi_u32_b32 v2, s11, v2
	v_cmp_eq_u32_e32 vcc, 0, v2
	s_and_saveexec_b64 s[12:13], vcc
	s_cbranch_execz .LBB73_125
; %bb.124:
	s_bcnt1_i32_b64 s10, s[10:11]
	v_mov_b32_e32 v2, s10
	buffer_wbl2 sc0 sc1
	s_waitcnt vmcnt(0)
	global_atomic_add_x2 v[0:1], v[2:3], off offset:8 sc1
.LBB73_125:
	s_or_b64 exec, exec, s[12:13]
	s_waitcnt vmcnt(0)
	global_load_dwordx2 v[2:3], v[0:1], off offset:16
	s_waitcnt vmcnt(0)
	v_cmp_eq_u64_e32 vcc, 0, v[2:3]
	s_cbranch_vccnz .LBB73_127
; %bb.126:
	global_load_dword v0, v[0:1], off offset:24
	v_mov_b32_e32 v1, 0
	buffer_wbl2 sc0 sc1
	s_waitcnt vmcnt(0)
	global_store_dwordx2 v[2:3], v[0:1], off sc0 sc1
	v_and_b32_e32 v0, 0xffffff, v0
	s_nop 0
	v_readfirstlane_b32 m0, v0
	s_sendmsg sendmsg(MSG_INTERRUPT)
.LBB73_127:
	s_or_b64 exec, exec, s[6:7]
	v_lshl_add_u64 v[0:1], v[10:11], 0, v[28:29]
	s_branch .LBB73_131
.LBB73_128:                             ;   in Loop: Header=BB73_131 Depth=1
	s_or_b64 exec, exec, s[6:7]
	v_readfirstlane_b32 s6, v2
	s_cmp_eq_u32 s6, 0
	s_cbranch_scc1 .LBB73_130
; %bb.129:                              ;   in Loop: Header=BB73_131 Depth=1
	s_sleep 1
	s_cbranch_execnz .LBB73_131
	s_branch .LBB73_133
.LBB73_130:
	s_branch .LBB73_133
.LBB73_131:                             ; =>This Inner Loop Header: Depth=1
	v_mov_b32_e32 v2, 1
	s_and_saveexec_b64 s[6:7], s[0:1]
	s_cbranch_execz .LBB73_128
; %bb.132:                              ;   in Loop: Header=BB73_131 Depth=1
	global_load_dword v2, v[8:9], off offset:20 sc0 sc1
	s_waitcnt vmcnt(0)
	buffer_inv sc0 sc1
	v_and_b32_e32 v2, 1, v2
	s_branch .LBB73_128
.LBB73_133:
	global_load_dwordx2 v[0:1], v[0:1], off
	s_and_saveexec_b64 s[6:7], s[0:1]
	s_cbranch_execz .LBB73_136
; %bb.134:
	v_mov_b32_e32 v8, 0
	global_load_dwordx2 v[6:7], v8, s[2:3] offset:40
	global_load_dwordx2 v[10:11], v8, s[2:3] offset:24 sc0 sc1
	global_load_dwordx2 v[12:13], v8, s[2:3]
	s_mov_b64 s[0:1], 0
	s_waitcnt vmcnt(2)
	v_lshl_add_u64 v[2:3], v[6:7], 0, 1
	v_lshl_add_u64 v[14:15], v[2:3], 0, s[4:5]
	v_cmp_eq_u64_e32 vcc, 0, v[14:15]
	s_waitcnt vmcnt(1)
	v_mov_b32_e32 v4, v10
	v_cndmask_b32_e32 v3, v15, v3, vcc
	v_cndmask_b32_e32 v2, v14, v2, vcc
	v_and_b32_e32 v5, v3, v7
	v_and_b32_e32 v6, v2, v6
	v_mul_lo_u32 v5, v5, 24
	v_mul_hi_u32 v7, v6, 24
	v_mul_lo_u32 v6, v6, 24
	v_add_u32_e32 v7, v7, v5
	s_waitcnt vmcnt(0)
	v_lshl_add_u64 v[6:7], v[12:13], 0, v[6:7]
	global_store_dwordx2 v[6:7], v[10:11], off
	v_mov_b32_e32 v5, v11
	buffer_wbl2 sc0 sc1
	s_waitcnt vmcnt(0)
	global_atomic_cmpswap_x2 v[4:5], v8, v[2:5], s[2:3] offset:24 sc0 sc1
	s_waitcnt vmcnt(0)
	v_cmp_ne_u64_e32 vcc, v[4:5], v[10:11]
	s_and_b64 exec, exec, vcc
	s_cbranch_execz .LBB73_136
.LBB73_135:                             ; =>This Inner Loop Header: Depth=1
	s_sleep 1
	global_store_dwordx2 v[6:7], v[4:5], off
	buffer_wbl2 sc0 sc1
	s_waitcnt vmcnt(0)
	global_atomic_cmpswap_x2 v[10:11], v8, v[2:5], s[2:3] offset:24 sc0 sc1
	s_waitcnt vmcnt(0)
	v_cmp_eq_u64_e32 vcc, v[10:11], v[4:5]
	s_or_b64 s[0:1], vcc, s[0:1]
	v_mov_b64_e32 v[4:5], v[10:11]
	s_andn2_b64 exec, exec, s[0:1]
	s_cbranch_execnz .LBB73_135
.LBB73_136:
	s_or_b64 exec, exec, s[6:7]
.LBB73_137:
	s_getpc_b64 s[4:5]
	s_add_u32 s4, s4, .str.1@rel32@lo+4
	s_addc_u32 s5, s5, .str.1@rel32@hi+12
	s_cmp_lg_u64 s[4:5], 0
	s_cselect_b64 s[0:1], -1, 0
	s_cmp_eq_u64 s[4:5], 0
	s_mov_b64 s[4:5], 0
	s_cbranch_scc1 .LBB73_141
; %bb.138:
	s_waitcnt vmcnt(0)
	v_mov_b32_e32 v2, 0
	s_getpc_b64 s[4:5]
	s_add_u32 s4, s4, .str.1@rel32@lo+3
	s_addc_u32 s5, s5, .str.1@rel32@hi+11
.LBB73_139:                             ; =>This Inner Loop Header: Depth=1
	global_load_ubyte v3, v2, s[4:5] offset:1
	s_add_u32 s6, s4, 1
	s_addc_u32 s7, s5, 0
	s_mov_b64 s[4:5], s[6:7]
	s_waitcnt vmcnt(0)
	v_cmp_ne_u16_e32 vcc, 0, v3
	s_cbranch_vccnz .LBB73_139
; %bb.140:
	s_getpc_b64 s[4:5]
	s_add_u32 s4, s4, .str.1@rel32@lo+4
	s_addc_u32 s5, s5, .str.1@rel32@hi+12
	s_sub_u32 s4, s6, s4
	s_subb_u32 s5, s7, s5
	s_add_u32 s4, s4, 1
	s_addc_u32 s5, s5, 0
.LBB73_141:
	s_and_b64 vcc, exec, s[0:1]
	s_cbranch_vccz .LBB73_225
; %bb.142:
	s_waitcnt vmcnt(0)
	v_and_b32_e32 v30, 2, v0
	v_mov_b32_e32 v33, 0
	v_and_b32_e32 v2, -3, v0
	v_mov_b32_e32 v3, v1
	v_mov_b32_e32 v6, 2
	;; [unrolled: 1-line block ×3, first 2 shown]
	s_getpc_b64 s[6:7]
	s_add_u32 s6, s6, .str.1@rel32@lo+4
	s_addc_u32 s7, s7, .str.1@rel32@hi+12
	s_branch .LBB73_144
.LBB73_143:                             ;   in Loop: Header=BB73_144 Depth=1
	s_or_b64 exec, exec, s[14:15]
	s_sub_u32 s4, s4, s10
	s_subb_u32 s5, s5, s11
	s_add_u32 s6, s6, s10
	s_addc_u32 s7, s7, s11
	s_cmp_lg_u64 s[4:5], 0
	s_cbranch_scc0 .LBB73_226
.LBB73_144:                             ; =>This Loop Header: Depth=1
                                        ;     Child Loop BB73_147 Depth 2
                                        ;     Child Loop BB73_154 Depth 2
	;; [unrolled: 1-line block ×11, first 2 shown]
	v_cmp_lt_u64_e64 s[0:1], s[4:5], 56
	s_and_b64 s[0:1], s[0:1], exec
	v_cmp_gt_u64_e64 s[0:1], s[4:5], 7
	s_cselect_b32 s11, s5, 0
	s_cselect_b32 s10, s4, 56
	s_and_b64 vcc, exec, s[0:1]
	s_cbranch_vccnz .LBB73_149
; %bb.145:                              ;   in Loop: Header=BB73_144 Depth=1
	s_mov_b64 s[0:1], 0
	s_cmp_eq_u64 s[4:5], 0
	v_mov_b64_e32 v[10:11], 0
	s_cbranch_scc1 .LBB73_148
; %bb.146:                              ;   in Loop: Header=BB73_144 Depth=1
	s_lshl_b64 s[12:13], s[10:11], 3
	s_mov_b64 s[14:15], 0
	v_mov_b64_e32 v[10:11], 0
	s_mov_b64 s[16:17], s[6:7]
.LBB73_147:                             ;   Parent Loop BB73_144 Depth=1
                                        ; =>  This Inner Loop Header: Depth=2
	global_load_ubyte v4, v33, s[16:17]
	s_waitcnt vmcnt(0)
	v_and_b32_e32 v32, 0xffff, v4
	v_lshlrev_b64 v[4:5], s14, v[32:33]
	s_add_u32 s14, s14, 8
	s_addc_u32 s15, s15, 0
	s_add_u32 s16, s16, 1
	s_addc_u32 s17, s17, 0
	v_or_b32_e32 v10, v4, v10
	s_cmp_lg_u32 s12, s14
	v_or_b32_e32 v11, v5, v11
	s_cbranch_scc1 .LBB73_147
.LBB73_148:                             ;   in Loop: Header=BB73_144 Depth=1
	s_mov_b32 s16, 0
	s_andn2_b64 vcc, exec, s[0:1]
	s_mov_b64 s[0:1], s[6:7]
	s_cbranch_vccz .LBB73_150
	s_branch .LBB73_151
.LBB73_149:                             ;   in Loop: Header=BB73_144 Depth=1
                                        ; implicit-def: $vgpr10_vgpr11
                                        ; implicit-def: $sgpr16
	s_mov_b64 s[0:1], s[6:7]
.LBB73_150:                             ;   in Loop: Header=BB73_144 Depth=1
	global_load_dwordx2 v[10:11], v33, s[6:7]
	s_add_i32 s16, s10, -8
	s_add_u32 s0, s6, 8
	s_addc_u32 s1, s7, 0
.LBB73_151:                             ;   in Loop: Header=BB73_144 Depth=1
	s_cmp_gt_u32 s16, 7
	s_cbranch_scc1 .LBB73_155
; %bb.152:                              ;   in Loop: Header=BB73_144 Depth=1
	s_cmp_eq_u32 s16, 0
	s_cbranch_scc1 .LBB73_156
; %bb.153:                              ;   in Loop: Header=BB73_144 Depth=1
	s_mov_b64 s[12:13], 0
	v_mov_b64_e32 v[12:13], 0
	s_mov_b64 s[14:15], 0
.LBB73_154:                             ;   Parent Loop BB73_144 Depth=1
                                        ; =>  This Inner Loop Header: Depth=2
	s_add_u32 s18, s0, s14
	s_addc_u32 s19, s1, s15
	global_load_ubyte v4, v33, s[18:19]
	s_add_u32 s14, s14, 1
	s_addc_u32 s15, s15, 0
	s_waitcnt vmcnt(0)
	v_and_b32_e32 v32, 0xffff, v4
	v_lshlrev_b64 v[4:5], s12, v[32:33]
	s_add_u32 s12, s12, 8
	s_addc_u32 s13, s13, 0
	v_or_b32_e32 v12, v4, v12
	s_cmp_lg_u32 s16, s14
	v_or_b32_e32 v13, v5, v13
	s_cbranch_scc1 .LBB73_154
	s_branch .LBB73_157
.LBB73_155:                             ;   in Loop: Header=BB73_144 Depth=1
                                        ; implicit-def: $vgpr12_vgpr13
                                        ; implicit-def: $sgpr17
	s_branch .LBB73_158
.LBB73_156:                             ;   in Loop: Header=BB73_144 Depth=1
	v_mov_b64_e32 v[12:13], 0
.LBB73_157:                             ;   in Loop: Header=BB73_144 Depth=1
	s_mov_b32 s17, 0
	s_cbranch_execnz .LBB73_159
.LBB73_158:                             ;   in Loop: Header=BB73_144 Depth=1
	global_load_dwordx2 v[12:13], v33, s[0:1]
	s_add_i32 s17, s16, -8
	s_add_u32 s0, s0, 8
	s_addc_u32 s1, s1, 0
.LBB73_159:                             ;   in Loop: Header=BB73_144 Depth=1
	s_cmp_gt_u32 s17, 7
	s_cbranch_scc1 .LBB73_163
; %bb.160:                              ;   in Loop: Header=BB73_144 Depth=1
	s_cmp_eq_u32 s17, 0
	s_cbranch_scc1 .LBB73_164
; %bb.161:                              ;   in Loop: Header=BB73_144 Depth=1
	s_mov_b64 s[12:13], 0
	v_mov_b64_e32 v[14:15], 0
	s_mov_b64 s[14:15], 0
.LBB73_162:                             ;   Parent Loop BB73_144 Depth=1
                                        ; =>  This Inner Loop Header: Depth=2
	s_add_u32 s18, s0, s14
	s_addc_u32 s19, s1, s15
	global_load_ubyte v4, v33, s[18:19]
	s_add_u32 s14, s14, 1
	s_addc_u32 s15, s15, 0
	s_waitcnt vmcnt(0)
	v_and_b32_e32 v32, 0xffff, v4
	v_lshlrev_b64 v[4:5], s12, v[32:33]
	s_add_u32 s12, s12, 8
	s_addc_u32 s13, s13, 0
	v_or_b32_e32 v14, v4, v14
	s_cmp_lg_u32 s17, s14
	v_or_b32_e32 v15, v5, v15
	s_cbranch_scc1 .LBB73_162
	s_branch .LBB73_165
.LBB73_163:                             ;   in Loop: Header=BB73_144 Depth=1
                                        ; implicit-def: $sgpr16
	s_branch .LBB73_166
.LBB73_164:                             ;   in Loop: Header=BB73_144 Depth=1
	v_mov_b64_e32 v[14:15], 0
.LBB73_165:                             ;   in Loop: Header=BB73_144 Depth=1
	s_mov_b32 s16, 0
	s_cbranch_execnz .LBB73_167
.LBB73_166:                             ;   in Loop: Header=BB73_144 Depth=1
	global_load_dwordx2 v[14:15], v33, s[0:1]
	s_add_i32 s16, s17, -8
	s_add_u32 s0, s0, 8
	s_addc_u32 s1, s1, 0
.LBB73_167:                             ;   in Loop: Header=BB73_144 Depth=1
	s_cmp_gt_u32 s16, 7
	s_cbranch_scc1 .LBB73_171
; %bb.168:                              ;   in Loop: Header=BB73_144 Depth=1
	s_cmp_eq_u32 s16, 0
	s_cbranch_scc1 .LBB73_172
; %bb.169:                              ;   in Loop: Header=BB73_144 Depth=1
	s_mov_b64 s[12:13], 0
	v_mov_b64_e32 v[16:17], 0
	s_mov_b64 s[14:15], 0
.LBB73_170:                             ;   Parent Loop BB73_144 Depth=1
                                        ; =>  This Inner Loop Header: Depth=2
	s_add_u32 s18, s0, s14
	s_addc_u32 s19, s1, s15
	global_load_ubyte v4, v33, s[18:19]
	s_add_u32 s14, s14, 1
	s_addc_u32 s15, s15, 0
	s_waitcnt vmcnt(0)
	v_and_b32_e32 v32, 0xffff, v4
	v_lshlrev_b64 v[4:5], s12, v[32:33]
	s_add_u32 s12, s12, 8
	s_addc_u32 s13, s13, 0
	v_or_b32_e32 v16, v4, v16
	s_cmp_lg_u32 s16, s14
	v_or_b32_e32 v17, v5, v17
	s_cbranch_scc1 .LBB73_170
	s_branch .LBB73_173
.LBB73_171:                             ;   in Loop: Header=BB73_144 Depth=1
                                        ; implicit-def: $vgpr16_vgpr17
                                        ; implicit-def: $sgpr17
	s_branch .LBB73_174
.LBB73_172:                             ;   in Loop: Header=BB73_144 Depth=1
	v_mov_b64_e32 v[16:17], 0
.LBB73_173:                             ;   in Loop: Header=BB73_144 Depth=1
	s_mov_b32 s17, 0
	s_cbranch_execnz .LBB73_175
.LBB73_174:                             ;   in Loop: Header=BB73_144 Depth=1
	global_load_dwordx2 v[16:17], v33, s[0:1]
	s_add_i32 s17, s16, -8
	s_add_u32 s0, s0, 8
	s_addc_u32 s1, s1, 0
.LBB73_175:                             ;   in Loop: Header=BB73_144 Depth=1
	s_cmp_gt_u32 s17, 7
	s_cbranch_scc1 .LBB73_179
; %bb.176:                              ;   in Loop: Header=BB73_144 Depth=1
	s_cmp_eq_u32 s17, 0
	s_cbranch_scc1 .LBB73_180
; %bb.177:                              ;   in Loop: Header=BB73_144 Depth=1
	s_mov_b64 s[12:13], 0
	v_mov_b64_e32 v[18:19], 0
	s_mov_b64 s[14:15], 0
.LBB73_178:                             ;   Parent Loop BB73_144 Depth=1
                                        ; =>  This Inner Loop Header: Depth=2
	s_add_u32 s18, s0, s14
	s_addc_u32 s19, s1, s15
	global_load_ubyte v4, v33, s[18:19]
	s_add_u32 s14, s14, 1
	s_addc_u32 s15, s15, 0
	s_waitcnt vmcnt(0)
	v_and_b32_e32 v32, 0xffff, v4
	v_lshlrev_b64 v[4:5], s12, v[32:33]
	s_add_u32 s12, s12, 8
	s_addc_u32 s13, s13, 0
	v_or_b32_e32 v18, v4, v18
	s_cmp_lg_u32 s17, s14
	v_or_b32_e32 v19, v5, v19
	s_cbranch_scc1 .LBB73_178
	s_branch .LBB73_181
.LBB73_179:                             ;   in Loop: Header=BB73_144 Depth=1
                                        ; implicit-def: $sgpr16
	s_branch .LBB73_182
.LBB73_180:                             ;   in Loop: Header=BB73_144 Depth=1
	v_mov_b64_e32 v[18:19], 0
.LBB73_181:                             ;   in Loop: Header=BB73_144 Depth=1
	s_mov_b32 s16, 0
	s_cbranch_execnz .LBB73_183
.LBB73_182:                             ;   in Loop: Header=BB73_144 Depth=1
	global_load_dwordx2 v[18:19], v33, s[0:1]
	s_add_i32 s16, s17, -8
	s_add_u32 s0, s0, 8
	s_addc_u32 s1, s1, 0
.LBB73_183:                             ;   in Loop: Header=BB73_144 Depth=1
	s_cmp_gt_u32 s16, 7
	s_cbranch_scc1 .LBB73_187
; %bb.184:                              ;   in Loop: Header=BB73_144 Depth=1
	s_cmp_eq_u32 s16, 0
	s_cbranch_scc1 .LBB73_188
; %bb.185:                              ;   in Loop: Header=BB73_144 Depth=1
	s_mov_b64 s[12:13], 0
	v_mov_b64_e32 v[20:21], 0
	s_mov_b64 s[14:15], 0
.LBB73_186:                             ;   Parent Loop BB73_144 Depth=1
                                        ; =>  This Inner Loop Header: Depth=2
	s_add_u32 s18, s0, s14
	s_addc_u32 s19, s1, s15
	global_load_ubyte v4, v33, s[18:19]
	s_add_u32 s14, s14, 1
	s_addc_u32 s15, s15, 0
	s_waitcnt vmcnt(0)
	v_and_b32_e32 v32, 0xffff, v4
	v_lshlrev_b64 v[4:5], s12, v[32:33]
	s_add_u32 s12, s12, 8
	s_addc_u32 s13, s13, 0
	v_or_b32_e32 v20, v4, v20
	s_cmp_lg_u32 s16, s14
	v_or_b32_e32 v21, v5, v21
	s_cbranch_scc1 .LBB73_186
	s_branch .LBB73_189
.LBB73_187:                             ;   in Loop: Header=BB73_144 Depth=1
                                        ; implicit-def: $vgpr20_vgpr21
                                        ; implicit-def: $sgpr17
	s_branch .LBB73_190
.LBB73_188:                             ;   in Loop: Header=BB73_144 Depth=1
	v_mov_b64_e32 v[20:21], 0
.LBB73_189:                             ;   in Loop: Header=BB73_144 Depth=1
	s_mov_b32 s17, 0
	s_cbranch_execnz .LBB73_191
.LBB73_190:                             ;   in Loop: Header=BB73_144 Depth=1
	global_load_dwordx2 v[20:21], v33, s[0:1]
	s_add_i32 s17, s16, -8
	s_add_u32 s0, s0, 8
	s_addc_u32 s1, s1, 0
.LBB73_191:                             ;   in Loop: Header=BB73_144 Depth=1
	s_cmp_gt_u32 s17, 7
	s_cbranch_scc1 .LBB73_195
; %bb.192:                              ;   in Loop: Header=BB73_144 Depth=1
	s_cmp_eq_u32 s17, 0
	s_cbranch_scc1 .LBB73_196
; %bb.193:                              ;   in Loop: Header=BB73_144 Depth=1
	s_mov_b64 s[12:13], 0
	v_mov_b64_e32 v[22:23], 0
	s_mov_b64 s[14:15], s[0:1]
.LBB73_194:                             ;   Parent Loop BB73_144 Depth=1
                                        ; =>  This Inner Loop Header: Depth=2
	global_load_ubyte v4, v33, s[14:15]
	s_add_i32 s17, s17, -1
	s_waitcnt vmcnt(0)
	v_and_b32_e32 v32, 0xffff, v4
	v_lshlrev_b64 v[4:5], s12, v[32:33]
	s_add_u32 s12, s12, 8
	s_addc_u32 s13, s13, 0
	s_add_u32 s14, s14, 1
	s_addc_u32 s15, s15, 0
	v_or_b32_e32 v22, v4, v22
	s_cmp_lg_u32 s17, 0
	v_or_b32_e32 v23, v5, v23
	s_cbranch_scc1 .LBB73_194
	s_branch .LBB73_197
.LBB73_195:                             ;   in Loop: Header=BB73_144 Depth=1
	s_branch .LBB73_198
.LBB73_196:                             ;   in Loop: Header=BB73_144 Depth=1
	v_mov_b64_e32 v[22:23], 0
.LBB73_197:                             ;   in Loop: Header=BB73_144 Depth=1
	s_cbranch_execnz .LBB73_199
.LBB73_198:                             ;   in Loop: Header=BB73_144 Depth=1
	global_load_dwordx2 v[22:23], v33, s[0:1]
.LBB73_199:                             ;   in Loop: Header=BB73_144 Depth=1
	v_readfirstlane_b32 s0, v36
	s_waitcnt vmcnt(0)
	v_mov_b64_e32 v[4:5], 0
	v_cmp_eq_u32_e64 s[0:1], s0, v36
	s_and_saveexec_b64 s[12:13], s[0:1]
	s_cbranch_execz .LBB73_205
; %bb.200:                              ;   in Loop: Header=BB73_144 Depth=1
	global_load_dwordx2 v[26:27], v33, s[2:3] offset:24 sc0 sc1
	s_waitcnt vmcnt(0)
	buffer_inv sc0 sc1
	global_load_dwordx2 v[4:5], v33, s[2:3] offset:40
	global_load_dwordx2 v[8:9], v33, s[2:3]
	s_waitcnt vmcnt(1)
	v_and_b32_e32 v4, v4, v26
	v_and_b32_e32 v5, v5, v27
	v_mul_lo_u32 v5, v5, 24
	v_mul_hi_u32 v24, v4, 24
	v_add_u32_e32 v5, v24, v5
	v_mul_lo_u32 v4, v4, 24
	s_waitcnt vmcnt(0)
	v_lshl_add_u64 v[4:5], v[8:9], 0, v[4:5]
	global_load_dwordx2 v[24:25], v[4:5], off sc0 sc1
	s_waitcnt vmcnt(0)
	global_atomic_cmpswap_x2 v[4:5], v33, v[24:27], s[2:3] offset:24 sc0 sc1
	s_waitcnt vmcnt(0)
	buffer_inv sc0 sc1
	v_cmp_ne_u64_e32 vcc, v[4:5], v[26:27]
	s_and_saveexec_b64 s[14:15], vcc
	s_cbranch_execz .LBB73_204
; %bb.201:                              ;   in Loop: Header=BB73_144 Depth=1
	s_mov_b64 s[16:17], 0
.LBB73_202:                             ;   Parent Loop BB73_144 Depth=1
                                        ; =>  This Inner Loop Header: Depth=2
	s_sleep 1
	global_load_dwordx2 v[8:9], v33, s[2:3] offset:40
	global_load_dwordx2 v[24:25], v33, s[2:3]
	v_mov_b64_e32 v[26:27], v[4:5]
	s_waitcnt vmcnt(1)
	v_and_b32_e32 v4, v8, v26
	s_waitcnt vmcnt(0)
	v_mad_u64_u32 v[4:5], s[18:19], v4, 24, v[24:25]
	v_and_b32_e32 v9, v9, v27
	v_mov_b32_e32 v8, v5
	v_mad_u64_u32 v[8:9], s[18:19], v9, 24, v[8:9]
	v_mov_b32_e32 v5, v8
	global_load_dwordx2 v[24:25], v[4:5], off sc0 sc1
	s_waitcnt vmcnt(0)
	global_atomic_cmpswap_x2 v[4:5], v33, v[24:27], s[2:3] offset:24 sc0 sc1
	s_waitcnt vmcnt(0)
	buffer_inv sc0 sc1
	v_cmp_eq_u64_e32 vcc, v[4:5], v[26:27]
	s_or_b64 s[16:17], vcc, s[16:17]
	s_andn2_b64 exec, exec, s[16:17]
	s_cbranch_execnz .LBB73_202
; %bb.203:                              ;   in Loop: Header=BB73_144 Depth=1
	s_or_b64 exec, exec, s[16:17]
.LBB73_204:                             ;   in Loop: Header=BB73_144 Depth=1
	s_or_b64 exec, exec, s[14:15]
.LBB73_205:                             ;   in Loop: Header=BB73_144 Depth=1
	s_or_b64 exec, exec, s[12:13]
	global_load_dwordx2 v[8:9], v33, s[2:3] offset:40
	global_load_dwordx4 v[24:27], v33, s[2:3]
	v_readfirstlane_b32 s12, v4
	v_readfirstlane_b32 s13, v5
	s_mov_b64 s[14:15], exec
	s_waitcnt vmcnt(1)
	v_readfirstlane_b32 s16, v8
	v_readfirstlane_b32 s17, v9
	s_and_b64 s[16:17], s[12:13], s[16:17]
	s_mul_i32 s18, s17, 24
	s_mul_hi_u32 s19, s16, 24
	s_add_i32 s19, s19, s18
	s_mul_i32 s18, s16, 24
	s_waitcnt vmcnt(0)
	v_lshl_add_u64 v[34:35], v[24:25], 0, s[18:19]
	s_and_saveexec_b64 s[18:19], s[0:1]
	s_cbranch_execz .LBB73_207
; %bb.206:                              ;   in Loop: Header=BB73_144 Depth=1
	v_mov_b64_e32 v[4:5], s[14:15]
	global_store_dwordx4 v[34:35], v[4:7], off offset:8
.LBB73_207:                             ;   in Loop: Header=BB73_144 Depth=1
	s_or_b64 exec, exec, s[18:19]
	s_lshl_b64 s[14:15], s[16:17], 12
	v_lshl_add_u64 v[26:27], v[26:27], 0, s[14:15]
	v_or_b32_e32 v5, v2, v30
	v_cmp_gt_u64_e64 vcc, s[4:5], 56
	s_lshl_b32 s14, s10, 2
	s_add_i32 s14, s14, 28
	v_cndmask_b32_e32 v2, v5, v2, vcc
	v_or_b32_e32 v4, 0, v3
	s_and_b32 s14, s14, 0x1e0
	v_and_b32_e32 v2, 0xffffff1f, v2
	v_cndmask_b32_e32 v9, v4, v3, vcc
	v_or_b32_e32 v8, s14, v2
	v_readfirstlane_b32 s14, v26
	v_readfirstlane_b32 s15, v27
	s_nop 4
	global_store_dwordx4 v28, v[8:11], s[14:15]
	global_store_dwordx4 v28, v[12:15], s[14:15] offset:16
	global_store_dwordx4 v28, v[16:19], s[14:15] offset:32
	;; [unrolled: 1-line block ×3, first 2 shown]
	s_and_saveexec_b64 s[14:15], s[0:1]
	s_cbranch_execz .LBB73_215
; %bb.208:                              ;   in Loop: Header=BB73_144 Depth=1
	global_load_dwordx2 v[12:13], v33, s[2:3] offset:32 sc0 sc1
	global_load_dwordx2 v[2:3], v33, s[2:3] offset:40
	v_mov_b32_e32 v10, s12
	v_mov_b32_e32 v11, s13
	s_waitcnt vmcnt(0)
	v_readfirstlane_b32 s16, v2
	v_readfirstlane_b32 s17, v3
	s_and_b64 s[16:17], s[16:17], s[12:13]
	s_mul_i32 s17, s17, 24
	s_mul_hi_u32 s18, s16, 24
	s_mul_i32 s16, s16, 24
	s_add_i32 s17, s18, s17
	v_lshl_add_u64 v[8:9], v[24:25], 0, s[16:17]
	global_store_dwordx2 v[8:9], v[12:13], off
	buffer_wbl2 sc0 sc1
	s_waitcnt vmcnt(0)
	global_atomic_cmpswap_x2 v[4:5], v33, v[10:13], s[2:3] offset:32 sc0 sc1
	s_waitcnt vmcnt(0)
	v_cmp_ne_u64_e32 vcc, v[4:5], v[12:13]
	s_and_saveexec_b64 s[16:17], vcc
	s_cbranch_execz .LBB73_211
; %bb.209:                              ;   in Loop: Header=BB73_144 Depth=1
	s_mov_b64 s[18:19], 0
.LBB73_210:                             ;   Parent Loop BB73_144 Depth=1
                                        ; =>  This Inner Loop Header: Depth=2
	s_sleep 1
	global_store_dwordx2 v[8:9], v[4:5], off
	v_mov_b32_e32 v2, s12
	v_mov_b32_e32 v3, s13
	buffer_wbl2 sc0 sc1
	s_waitcnt vmcnt(0)
	global_atomic_cmpswap_x2 v[2:3], v33, v[2:5], s[2:3] offset:32 sc0 sc1
	s_waitcnt vmcnt(0)
	v_cmp_eq_u64_e32 vcc, v[2:3], v[4:5]
	s_or_b64 s[18:19], vcc, s[18:19]
	v_mov_b64_e32 v[4:5], v[2:3]
	s_andn2_b64 exec, exec, s[18:19]
	s_cbranch_execnz .LBB73_210
.LBB73_211:                             ;   in Loop: Header=BB73_144 Depth=1
	s_or_b64 exec, exec, s[16:17]
	global_load_dwordx2 v[2:3], v33, s[2:3] offset:16
	s_mov_b64 s[18:19], exec
	v_mbcnt_lo_u32_b32 v4, s18, 0
	v_mbcnt_hi_u32_b32 v4, s19, v4
	v_cmp_eq_u32_e32 vcc, 0, v4
	s_and_saveexec_b64 s[16:17], vcc
	s_cbranch_execz .LBB73_213
; %bb.212:                              ;   in Loop: Header=BB73_144 Depth=1
	s_bcnt1_i32_b64 s18, s[18:19]
	v_mov_b32_e32 v32, s18
	buffer_wbl2 sc0 sc1
	s_waitcnt vmcnt(0)
	global_atomic_add_x2 v[2:3], v[32:33], off offset:8 sc1
.LBB73_213:                             ;   in Loop: Header=BB73_144 Depth=1
	s_or_b64 exec, exec, s[16:17]
	s_waitcnt vmcnt(0)
	global_load_dwordx2 v[4:5], v[2:3], off offset:16
	s_waitcnt vmcnt(0)
	v_cmp_eq_u64_e32 vcc, 0, v[4:5]
	s_cbranch_vccnz .LBB73_215
; %bb.214:                              ;   in Loop: Header=BB73_144 Depth=1
	global_load_dword v32, v[2:3], off offset:24
	s_waitcnt vmcnt(0)
	v_and_b32_e32 v2, 0xffffff, v32
	s_nop 0
	v_readfirstlane_b32 m0, v2
	buffer_wbl2 sc0 sc1
	global_store_dwordx2 v[4:5], v[32:33], off sc0 sc1
	s_sendmsg sendmsg(MSG_INTERRUPT)
.LBB73_215:                             ;   in Loop: Header=BB73_144 Depth=1
	s_or_b64 exec, exec, s[14:15]
	v_mov_b32_e32 v29, v33
	v_lshl_add_u64 v[2:3], v[26:27], 0, v[28:29]
	s_branch .LBB73_219
.LBB73_216:                             ;   in Loop: Header=BB73_219 Depth=2
	s_or_b64 exec, exec, s[14:15]
	v_readfirstlane_b32 s14, v4
	s_cmp_eq_u32 s14, 0
	s_cbranch_scc1 .LBB73_218
; %bb.217:                              ;   in Loop: Header=BB73_219 Depth=2
	s_sleep 1
	s_cbranch_execnz .LBB73_219
	s_branch .LBB73_221
.LBB73_218:                             ;   in Loop: Header=BB73_144 Depth=1
	s_branch .LBB73_221
.LBB73_219:                             ;   Parent Loop BB73_144 Depth=1
                                        ; =>  This Inner Loop Header: Depth=2
	v_mov_b32_e32 v4, 1
	s_and_saveexec_b64 s[14:15], s[0:1]
	s_cbranch_execz .LBB73_216
; %bb.220:                              ;   in Loop: Header=BB73_219 Depth=2
	global_load_dword v4, v[34:35], off offset:20 sc0 sc1
	s_waitcnt vmcnt(0)
	buffer_inv sc0 sc1
	v_and_b32_e32 v4, 1, v4
	s_branch .LBB73_216
.LBB73_221:                             ;   in Loop: Header=BB73_144 Depth=1
	global_load_dwordx4 v[2:5], v[2:3], off
	s_and_saveexec_b64 s[14:15], s[0:1]
	s_cbranch_execz .LBB73_143
; %bb.222:                              ;   in Loop: Header=BB73_144 Depth=1
	global_load_dwordx2 v[4:5], v33, s[2:3] offset:40
	global_load_dwordx2 v[12:13], v33, s[2:3] offset:24 sc0 sc1
	global_load_dwordx2 v[14:15], v33, s[2:3]
	s_waitcnt vmcnt(2)
	v_lshl_add_u64 v[8:9], v[4:5], 0, 1
	v_lshl_add_u64 v[16:17], v[8:9], 0, s[12:13]
	v_cmp_eq_u64_e32 vcc, 0, v[16:17]
	s_waitcnt vmcnt(1)
	v_mov_b32_e32 v10, v12
	v_cndmask_b32_e32 v9, v17, v9, vcc
	v_cndmask_b32_e32 v8, v16, v8, vcc
	v_and_b32_e32 v5, v9, v5
	v_and_b32_e32 v4, v8, v4
	v_mul_lo_u32 v5, v5, 24
	v_mul_hi_u32 v11, v4, 24
	v_mul_lo_u32 v4, v4, 24
	v_add_u32_e32 v5, v11, v5
	s_waitcnt vmcnt(0)
	v_lshl_add_u64 v[4:5], v[14:15], 0, v[4:5]
	global_store_dwordx2 v[4:5], v[12:13], off
	v_mov_b32_e32 v11, v13
	buffer_wbl2 sc0 sc1
	s_waitcnt vmcnt(0)
	global_atomic_cmpswap_x2 v[10:11], v33, v[8:11], s[2:3] offset:24 sc0 sc1
	s_waitcnt vmcnt(0)
	v_cmp_ne_u64_e32 vcc, v[10:11], v[12:13]
	s_and_b64 exec, exec, vcc
	s_cbranch_execz .LBB73_143
; %bb.223:                              ;   in Loop: Header=BB73_144 Depth=1
	s_mov_b64 s[0:1], 0
.LBB73_224:                             ;   Parent Loop BB73_144 Depth=1
                                        ; =>  This Inner Loop Header: Depth=2
	s_sleep 1
	global_store_dwordx2 v[4:5], v[10:11], off
	buffer_wbl2 sc0 sc1
	s_waitcnt vmcnt(0)
	global_atomic_cmpswap_x2 v[12:13], v33, v[8:11], s[2:3] offset:24 sc0 sc1
	s_waitcnt vmcnt(0)
	v_cmp_eq_u64_e32 vcc, v[12:13], v[10:11]
	s_or_b64 s[0:1], vcc, s[0:1]
	v_mov_b64_e32 v[10:11], v[12:13]
	s_andn2_b64 exec, exec, s[0:1]
	s_cbranch_execnz .LBB73_224
	s_branch .LBB73_143
.LBB73_225:
                                        ; implicit-def: $vgpr2_vgpr3
	s_cbranch_execnz .LBB73_227
	s_branch .LBB73_253
.LBB73_226:
	s_branch .LBB73_253
.LBB73_227:
	v_readfirstlane_b32 s0, v36
	s_waitcnt vmcnt(0)
	v_mov_b64_e32 v[2:3], 0
	v_cmp_eq_u32_e64 s[0:1], s0, v36
	s_and_saveexec_b64 s[4:5], s[0:1]
	s_cbranch_execz .LBB73_233
; %bb.228:
	v_mov_b32_e32 v4, 0
	global_load_dwordx2 v[8:9], v4, s[2:3] offset:24 sc0 sc1
	s_waitcnt vmcnt(0)
	buffer_inv sc0 sc1
	global_load_dwordx2 v[2:3], v4, s[2:3] offset:40
	global_load_dwordx2 v[6:7], v4, s[2:3]
	s_waitcnt vmcnt(1)
	v_and_b32_e32 v2, v2, v8
	v_and_b32_e32 v3, v3, v9
	v_mul_lo_u32 v3, v3, 24
	v_mul_hi_u32 v5, v2, 24
	v_add_u32_e32 v3, v5, v3
	v_mul_lo_u32 v2, v2, 24
	s_waitcnt vmcnt(0)
	v_lshl_add_u64 v[2:3], v[6:7], 0, v[2:3]
	global_load_dwordx2 v[6:7], v[2:3], off sc0 sc1
	s_waitcnt vmcnt(0)
	global_atomic_cmpswap_x2 v[2:3], v4, v[6:9], s[2:3] offset:24 sc0 sc1
	s_waitcnt vmcnt(0)
	buffer_inv sc0 sc1
	v_cmp_ne_u64_e32 vcc, v[2:3], v[8:9]
	s_and_saveexec_b64 s[6:7], vcc
	s_cbranch_execz .LBB73_232
; %bb.229:
	s_mov_b64 s[10:11], 0
.LBB73_230:                             ; =>This Inner Loop Header: Depth=1
	s_sleep 1
	global_load_dwordx2 v[6:7], v4, s[2:3] offset:40
	global_load_dwordx2 v[10:11], v4, s[2:3]
	v_mov_b64_e32 v[8:9], v[2:3]
	s_waitcnt vmcnt(1)
	v_and_b32_e32 v2, v6, v8
	s_waitcnt vmcnt(0)
	v_mad_u64_u32 v[2:3], s[12:13], v2, 24, v[10:11]
	v_and_b32_e32 v5, v7, v9
	v_mov_b32_e32 v6, v3
	v_mad_u64_u32 v[6:7], s[12:13], v5, 24, v[6:7]
	v_mov_b32_e32 v3, v6
	global_load_dwordx2 v[6:7], v[2:3], off sc0 sc1
	s_waitcnt vmcnt(0)
	global_atomic_cmpswap_x2 v[2:3], v4, v[6:9], s[2:3] offset:24 sc0 sc1
	s_waitcnt vmcnt(0)
	buffer_inv sc0 sc1
	v_cmp_eq_u64_e32 vcc, v[2:3], v[8:9]
	s_or_b64 s[10:11], vcc, s[10:11]
	s_andn2_b64 exec, exec, s[10:11]
	s_cbranch_execnz .LBB73_230
; %bb.231:
	s_or_b64 exec, exec, s[10:11]
.LBB73_232:
	s_or_b64 exec, exec, s[6:7]
.LBB73_233:
	s_or_b64 exec, exec, s[4:5]
	v_mov_b32_e32 v29, 0
	global_load_dwordx2 v[8:9], v29, s[2:3] offset:40
	global_load_dwordx4 v[4:7], v29, s[2:3]
	v_readfirstlane_b32 s4, v2
	v_readfirstlane_b32 s5, v3
	s_mov_b64 s[6:7], exec
	s_waitcnt vmcnt(1)
	v_readfirstlane_b32 s10, v8
	v_readfirstlane_b32 s11, v9
	s_and_b64 s[10:11], s[4:5], s[10:11]
	s_mul_i32 s12, s11, 24
	s_mul_hi_u32 s13, s10, 24
	s_add_i32 s13, s13, s12
	s_mul_i32 s12, s10, 24
	s_waitcnt vmcnt(0)
	v_lshl_add_u64 v[8:9], v[4:5], 0, s[12:13]
	s_and_saveexec_b64 s[12:13], s[0:1]
	s_cbranch_execz .LBB73_235
; %bb.234:
	v_mov_b64_e32 v[10:11], s[6:7]
	v_mov_b32_e32 v12, 2
	v_mov_b32_e32 v13, 1
	global_store_dwordx4 v[8:9], v[10:13], off offset:8
.LBB73_235:
	s_or_b64 exec, exec, s[12:13]
	s_lshl_b64 s[6:7], s[10:11], 12
	v_lshl_add_u64 v[6:7], v[6:7], 0, s[6:7]
	s_movk_i32 s6, 0xff1f
	s_mov_b32 s12, 0
	v_and_or_b32 v0, v0, s6, 32
	v_mov_b32_e32 v2, v29
	v_mov_b32_e32 v3, v29
	v_readfirstlane_b32 s6, v6
	v_readfirstlane_b32 s7, v7
	s_mov_b32 s13, s12
	s_mov_b32 s14, s12
	;; [unrolled: 1-line block ×3, first 2 shown]
	s_nop 1
	global_store_dwordx4 v28, v[0:3], s[6:7]
	s_nop 1
	v_mov_b64_e32 v[0:1], s[12:13]
	v_mov_b64_e32 v[2:3], s[14:15]
	global_store_dwordx4 v28, v[0:3], s[6:7] offset:16
	global_store_dwordx4 v28, v[0:3], s[6:7] offset:32
	;; [unrolled: 1-line block ×3, first 2 shown]
	s_and_saveexec_b64 s[6:7], s[0:1]
	s_cbranch_execz .LBB73_243
; %bb.236:
	v_mov_b32_e32 v10, 0
	global_load_dwordx2 v[14:15], v10, s[2:3] offset:32 sc0 sc1
	global_load_dwordx2 v[0:1], v10, s[2:3] offset:40
	v_mov_b32_e32 v12, s4
	v_mov_b32_e32 v13, s5
	s_waitcnt vmcnt(0)
	v_readfirstlane_b32 s10, v0
	v_readfirstlane_b32 s11, v1
	s_and_b64 s[10:11], s[10:11], s[4:5]
	s_mul_i32 s11, s11, 24
	s_mul_hi_u32 s12, s10, 24
	s_mul_i32 s10, s10, 24
	s_add_i32 s11, s12, s11
	v_lshl_add_u64 v[4:5], v[4:5], 0, s[10:11]
	global_store_dwordx2 v[4:5], v[14:15], off
	buffer_wbl2 sc0 sc1
	s_waitcnt vmcnt(0)
	global_atomic_cmpswap_x2 v[2:3], v10, v[12:15], s[2:3] offset:32 sc0 sc1
	s_waitcnt vmcnt(0)
	v_cmp_ne_u64_e32 vcc, v[2:3], v[14:15]
	s_and_saveexec_b64 s[10:11], vcc
	s_cbranch_execz .LBB73_239
; %bb.237:
	s_mov_b64 s[12:13], 0
.LBB73_238:                             ; =>This Inner Loop Header: Depth=1
	s_sleep 1
	global_store_dwordx2 v[4:5], v[2:3], off
	v_mov_b32_e32 v0, s4
	v_mov_b32_e32 v1, s5
	buffer_wbl2 sc0 sc1
	s_waitcnt vmcnt(0)
	global_atomic_cmpswap_x2 v[0:1], v10, v[0:3], s[2:3] offset:32 sc0 sc1
	s_waitcnt vmcnt(0)
	v_cmp_eq_u64_e32 vcc, v[0:1], v[2:3]
	s_or_b64 s[12:13], vcc, s[12:13]
	v_mov_b64_e32 v[2:3], v[0:1]
	s_andn2_b64 exec, exec, s[12:13]
	s_cbranch_execnz .LBB73_238
.LBB73_239:
	s_or_b64 exec, exec, s[10:11]
	v_mov_b32_e32 v3, 0
	global_load_dwordx2 v[0:1], v3, s[2:3] offset:16
	s_mov_b64 s[10:11], exec
	v_mbcnt_lo_u32_b32 v2, s10, 0
	v_mbcnt_hi_u32_b32 v2, s11, v2
	v_cmp_eq_u32_e32 vcc, 0, v2
	s_and_saveexec_b64 s[12:13], vcc
	s_cbranch_execz .LBB73_241
; %bb.240:
	s_bcnt1_i32_b64 s10, s[10:11]
	v_mov_b32_e32 v2, s10
	buffer_wbl2 sc0 sc1
	s_waitcnt vmcnt(0)
	global_atomic_add_x2 v[0:1], v[2:3], off offset:8 sc1
.LBB73_241:
	s_or_b64 exec, exec, s[12:13]
	s_waitcnt vmcnt(0)
	global_load_dwordx2 v[2:3], v[0:1], off offset:16
	s_waitcnt vmcnt(0)
	v_cmp_eq_u64_e32 vcc, 0, v[2:3]
	s_cbranch_vccnz .LBB73_243
; %bb.242:
	global_load_dword v0, v[0:1], off offset:24
	v_mov_b32_e32 v1, 0
	buffer_wbl2 sc0 sc1
	s_waitcnt vmcnt(0)
	global_store_dwordx2 v[2:3], v[0:1], off sc0 sc1
	v_and_b32_e32 v0, 0xffffff, v0
	s_nop 0
	v_readfirstlane_b32 m0, v0
	s_sendmsg sendmsg(MSG_INTERRUPT)
.LBB73_243:
	s_or_b64 exec, exec, s[6:7]
	v_lshl_add_u64 v[0:1], v[6:7], 0, v[28:29]
	s_branch .LBB73_247
.LBB73_244:                             ;   in Loop: Header=BB73_247 Depth=1
	s_or_b64 exec, exec, s[6:7]
	v_readfirstlane_b32 s6, v2
	s_cmp_eq_u32 s6, 0
	s_cbranch_scc1 .LBB73_246
; %bb.245:                              ;   in Loop: Header=BB73_247 Depth=1
	s_sleep 1
	s_cbranch_execnz .LBB73_247
	s_branch .LBB73_249
.LBB73_246:
	s_branch .LBB73_249
.LBB73_247:                             ; =>This Inner Loop Header: Depth=1
	v_mov_b32_e32 v2, 1
	s_and_saveexec_b64 s[6:7], s[0:1]
	s_cbranch_execz .LBB73_244
; %bb.248:                              ;   in Loop: Header=BB73_247 Depth=1
	global_load_dword v2, v[8:9], off offset:20 sc0 sc1
	s_waitcnt vmcnt(0)
	buffer_inv sc0 sc1
	v_and_b32_e32 v2, 1, v2
	s_branch .LBB73_244
.LBB73_249:
	global_load_dwordx2 v[2:3], v[0:1], off
	s_and_saveexec_b64 s[6:7], s[0:1]
	s_cbranch_execz .LBB73_252
; %bb.250:
	v_mov_b32_e32 v8, 0
	global_load_dwordx2 v[0:1], v8, s[2:3] offset:40
	global_load_dwordx2 v[10:11], v8, s[2:3] offset:24 sc0 sc1
	global_load_dwordx2 v[12:13], v8, s[2:3]
	s_mov_b64 s[0:1], 0
	s_waitcnt vmcnt(2)
	v_lshl_add_u64 v[4:5], v[0:1], 0, 1
	v_lshl_add_u64 v[14:15], v[4:5], 0, s[4:5]
	v_cmp_eq_u64_e32 vcc, 0, v[14:15]
	s_waitcnt vmcnt(1)
	v_mov_b32_e32 v6, v10
	v_cndmask_b32_e32 v5, v15, v5, vcc
	v_cndmask_b32_e32 v4, v14, v4, vcc
	v_and_b32_e32 v1, v5, v1
	v_and_b32_e32 v0, v4, v0
	v_mul_lo_u32 v1, v1, 24
	v_mul_hi_u32 v7, v0, 24
	v_mul_lo_u32 v0, v0, 24
	v_add_u32_e32 v1, v7, v1
	s_waitcnt vmcnt(0)
	v_lshl_add_u64 v[0:1], v[12:13], 0, v[0:1]
	global_store_dwordx2 v[0:1], v[10:11], off
	v_mov_b32_e32 v7, v11
	buffer_wbl2 sc0 sc1
	s_waitcnt vmcnt(0)
	global_atomic_cmpswap_x2 v[6:7], v8, v[4:7], s[2:3] offset:24 sc0 sc1
	s_waitcnt vmcnt(0)
	v_cmp_ne_u64_e32 vcc, v[6:7], v[10:11]
	s_and_b64 exec, exec, vcc
	s_cbranch_execz .LBB73_252
.LBB73_251:                             ; =>This Inner Loop Header: Depth=1
	s_sleep 1
	global_store_dwordx2 v[0:1], v[6:7], off
	buffer_wbl2 sc0 sc1
	s_waitcnt vmcnt(0)
	global_atomic_cmpswap_x2 v[10:11], v8, v[4:7], s[2:3] offset:24 sc0 sc1
	s_waitcnt vmcnt(0)
	v_cmp_eq_u64_e32 vcc, v[10:11], v[6:7]
	s_or_b64 s[0:1], vcc, s[0:1]
	v_mov_b64_e32 v[6:7], v[10:11]
	s_andn2_b64 exec, exec, s[0:1]
	s_cbranch_execnz .LBB73_251
.LBB73_252:
	s_or_b64 exec, exec, s[6:7]
.LBB73_253:
	v_readfirstlane_b32 s0, v36
	s_waitcnt vmcnt(0)
	v_mov_b64_e32 v[0:1], 0
	v_cmp_eq_u32_e64 s[0:1], s0, v36
	s_and_saveexec_b64 s[4:5], s[0:1]
	s_cbranch_execz .LBB73_259
; %bb.254:
	v_mov_b32_e32 v4, 0
	global_load_dwordx2 v[8:9], v4, s[2:3] offset:24 sc0 sc1
	s_waitcnt vmcnt(0)
	buffer_inv sc0 sc1
	global_load_dwordx2 v[0:1], v4, s[2:3] offset:40
	global_load_dwordx2 v[6:7], v4, s[2:3]
	s_waitcnt vmcnt(1)
	v_and_b32_e32 v0, v0, v8
	v_and_b32_e32 v1, v1, v9
	v_mul_lo_u32 v1, v1, 24
	v_mul_hi_u32 v5, v0, 24
	v_add_u32_e32 v1, v5, v1
	v_mul_lo_u32 v0, v0, 24
	s_waitcnt vmcnt(0)
	v_lshl_add_u64 v[0:1], v[6:7], 0, v[0:1]
	global_load_dwordx2 v[6:7], v[0:1], off sc0 sc1
	s_waitcnt vmcnt(0)
	global_atomic_cmpswap_x2 v[0:1], v4, v[6:9], s[2:3] offset:24 sc0 sc1
	s_waitcnt vmcnt(0)
	buffer_inv sc0 sc1
	v_cmp_ne_u64_e32 vcc, v[0:1], v[8:9]
	s_and_saveexec_b64 s[6:7], vcc
	s_cbranch_execz .LBB73_258
; %bb.255:
	s_mov_b64 s[10:11], 0
.LBB73_256:                             ; =>This Inner Loop Header: Depth=1
	s_sleep 1
	global_load_dwordx2 v[6:7], v4, s[2:3] offset:40
	global_load_dwordx2 v[10:11], v4, s[2:3]
	v_mov_b64_e32 v[8:9], v[0:1]
	s_waitcnt vmcnt(1)
	v_and_b32_e32 v0, v6, v8
	s_waitcnt vmcnt(0)
	v_mad_u64_u32 v[0:1], s[12:13], v0, 24, v[10:11]
	v_and_b32_e32 v5, v7, v9
	v_mov_b32_e32 v6, v1
	v_mad_u64_u32 v[6:7], s[12:13], v5, 24, v[6:7]
	v_mov_b32_e32 v1, v6
	global_load_dwordx2 v[6:7], v[0:1], off sc0 sc1
	s_waitcnt vmcnt(0)
	global_atomic_cmpswap_x2 v[0:1], v4, v[6:9], s[2:3] offset:24 sc0 sc1
	s_waitcnt vmcnt(0)
	buffer_inv sc0 sc1
	v_cmp_eq_u64_e32 vcc, v[0:1], v[8:9]
	s_or_b64 s[10:11], vcc, s[10:11]
	s_andn2_b64 exec, exec, s[10:11]
	s_cbranch_execnz .LBB73_256
; %bb.257:
	s_or_b64 exec, exec, s[10:11]
.LBB73_258:
	s_or_b64 exec, exec, s[6:7]
.LBB73_259:
	s_or_b64 exec, exec, s[4:5]
	v_mov_b32_e32 v29, 0
	global_load_dwordx2 v[4:5], v29, s[2:3] offset:40
	global_load_dwordx4 v[6:9], v29, s[2:3]
	v_readfirstlane_b32 s4, v0
	v_readfirstlane_b32 s5, v1
	s_mov_b64 s[6:7], exec
	s_waitcnt vmcnt(1)
	v_readfirstlane_b32 s10, v4
	v_readfirstlane_b32 s11, v5
	s_and_b64 s[10:11], s[4:5], s[10:11]
	s_mul_i32 s12, s11, 24
	s_mul_hi_u32 s13, s10, 24
	s_add_i32 s13, s13, s12
	s_mul_i32 s12, s10, 24
	s_waitcnt vmcnt(0)
	v_lshl_add_u64 v[10:11], v[6:7], 0, s[12:13]
	s_and_saveexec_b64 s[12:13], s[0:1]
	s_cbranch_execz .LBB73_261
; %bb.260:
	v_mov_b64_e32 v[12:13], s[6:7]
	v_mov_b32_e32 v14, 2
	v_mov_b32_e32 v15, 1
	global_store_dwordx4 v[10:11], v[12:15], off offset:8
.LBB73_261:
	s_or_b64 exec, exec, s[12:13]
	s_lshl_b64 s[6:7], s[10:11], 12
	v_lshl_add_u64 v[8:9], v[8:9], 0, s[6:7]
	s_movk_i32 s6, 0xff1f
	s_mov_b32 s12, 0
	v_and_or_b32 v2, v2, s6, 32
	v_mov_b32_e32 v4, 0x347
	v_mov_b32_e32 v5, v29
	v_readfirstlane_b32 s6, v8
	v_readfirstlane_b32 s7, v9
	s_mov_b32 s13, s12
	s_mov_b32 s14, s12
	;; [unrolled: 1-line block ×3, first 2 shown]
	s_nop 1
	global_store_dwordx4 v28, v[2:5], s[6:7]
	v_mov_b64_e32 v[0:1], s[12:13]
	s_nop 0
	v_mov_b64_e32 v[2:3], s[14:15]
	global_store_dwordx4 v28, v[0:3], s[6:7] offset:16
	global_store_dwordx4 v28, v[0:3], s[6:7] offset:32
	global_store_dwordx4 v28, v[0:3], s[6:7] offset:48
	s_and_saveexec_b64 s[6:7], s[0:1]
	s_cbranch_execz .LBB73_269
; %bb.262:
	v_mov_b32_e32 v12, 0
	global_load_dwordx2 v[16:17], v12, s[2:3] offset:32 sc0 sc1
	global_load_dwordx2 v[0:1], v12, s[2:3] offset:40
	v_mov_b32_e32 v14, s4
	v_mov_b32_e32 v15, s5
	s_waitcnt vmcnt(0)
	v_readfirstlane_b32 s10, v0
	v_readfirstlane_b32 s11, v1
	s_and_b64 s[10:11], s[10:11], s[4:5]
	s_mul_i32 s11, s11, 24
	s_mul_hi_u32 s12, s10, 24
	s_mul_i32 s10, s10, 24
	s_add_i32 s11, s12, s11
	v_lshl_add_u64 v[4:5], v[6:7], 0, s[10:11]
	global_store_dwordx2 v[4:5], v[16:17], off
	buffer_wbl2 sc0 sc1
	s_waitcnt vmcnt(0)
	global_atomic_cmpswap_x2 v[2:3], v12, v[14:17], s[2:3] offset:32 sc0 sc1
	s_waitcnt vmcnt(0)
	v_cmp_ne_u64_e32 vcc, v[2:3], v[16:17]
	s_and_saveexec_b64 s[10:11], vcc
	s_cbranch_execz .LBB73_265
; %bb.263:
	s_mov_b64 s[12:13], 0
.LBB73_264:                             ; =>This Inner Loop Header: Depth=1
	s_sleep 1
	global_store_dwordx2 v[4:5], v[2:3], off
	v_mov_b32_e32 v0, s4
	v_mov_b32_e32 v1, s5
	buffer_wbl2 sc0 sc1
	s_waitcnt vmcnt(0)
	global_atomic_cmpswap_x2 v[0:1], v12, v[0:3], s[2:3] offset:32 sc0 sc1
	s_waitcnt vmcnt(0)
	v_cmp_eq_u64_e32 vcc, v[0:1], v[2:3]
	s_or_b64 s[12:13], vcc, s[12:13]
	v_mov_b64_e32 v[2:3], v[0:1]
	s_andn2_b64 exec, exec, s[12:13]
	s_cbranch_execnz .LBB73_264
.LBB73_265:
	s_or_b64 exec, exec, s[10:11]
	v_mov_b32_e32 v3, 0
	global_load_dwordx2 v[0:1], v3, s[2:3] offset:16
	s_mov_b64 s[10:11], exec
	v_mbcnt_lo_u32_b32 v2, s10, 0
	v_mbcnt_hi_u32_b32 v2, s11, v2
	v_cmp_eq_u32_e32 vcc, 0, v2
	s_and_saveexec_b64 s[12:13], vcc
	s_cbranch_execz .LBB73_267
; %bb.266:
	s_bcnt1_i32_b64 s10, s[10:11]
	v_mov_b32_e32 v2, s10
	buffer_wbl2 sc0 sc1
	s_waitcnt vmcnt(0)
	global_atomic_add_x2 v[0:1], v[2:3], off offset:8 sc1
.LBB73_267:
	s_or_b64 exec, exec, s[12:13]
	s_waitcnt vmcnt(0)
	global_load_dwordx2 v[2:3], v[0:1], off offset:16
	s_waitcnt vmcnt(0)
	v_cmp_eq_u64_e32 vcc, 0, v[2:3]
	s_cbranch_vccnz .LBB73_269
; %bb.268:
	global_load_dword v0, v[0:1], off offset:24
	v_mov_b32_e32 v1, 0
	buffer_wbl2 sc0 sc1
	s_waitcnt vmcnt(0)
	global_store_dwordx2 v[2:3], v[0:1], off sc0 sc1
	v_and_b32_e32 v0, 0xffffff, v0
	s_nop 0
	v_readfirstlane_b32 m0, v0
	s_sendmsg sendmsg(MSG_INTERRUPT)
.LBB73_269:
	s_or_b64 exec, exec, s[6:7]
	v_lshl_add_u64 v[0:1], v[8:9], 0, v[28:29]
	s_branch .LBB73_273
.LBB73_270:                             ;   in Loop: Header=BB73_273 Depth=1
	s_or_b64 exec, exec, s[6:7]
	v_readfirstlane_b32 s6, v2
	s_cmp_eq_u32 s6, 0
	s_cbranch_scc1 .LBB73_272
; %bb.271:                              ;   in Loop: Header=BB73_273 Depth=1
	s_sleep 1
	s_cbranch_execnz .LBB73_273
	s_branch .LBB73_275
.LBB73_272:
	s_branch .LBB73_275
.LBB73_273:                             ; =>This Inner Loop Header: Depth=1
	v_mov_b32_e32 v2, 1
	s_and_saveexec_b64 s[6:7], s[0:1]
	s_cbranch_execz .LBB73_270
; %bb.274:                              ;   in Loop: Header=BB73_273 Depth=1
	global_load_dword v2, v[10:11], off offset:20 sc0 sc1
	s_waitcnt vmcnt(0)
	buffer_inv sc0 sc1
	v_and_b32_e32 v2, 1, v2
	s_branch .LBB73_270
.LBB73_275:
	global_load_dwordx2 v[0:1], v[0:1], off
	s_and_saveexec_b64 s[6:7], s[0:1]
	s_cbranch_execz .LBB73_278
; %bb.276:
	v_mov_b32_e32 v8, 0
	global_load_dwordx2 v[6:7], v8, s[2:3] offset:40
	global_load_dwordx2 v[10:11], v8, s[2:3] offset:24 sc0 sc1
	global_load_dwordx2 v[12:13], v8, s[2:3]
	s_mov_b64 s[0:1], 0
	s_waitcnt vmcnt(2)
	v_lshl_add_u64 v[2:3], v[6:7], 0, 1
	v_lshl_add_u64 v[14:15], v[2:3], 0, s[4:5]
	v_cmp_eq_u64_e32 vcc, 0, v[14:15]
	s_waitcnt vmcnt(1)
	v_mov_b32_e32 v4, v10
	v_cndmask_b32_e32 v3, v15, v3, vcc
	v_cndmask_b32_e32 v2, v14, v2, vcc
	v_and_b32_e32 v5, v3, v7
	v_and_b32_e32 v6, v2, v6
	v_mul_lo_u32 v5, v5, 24
	v_mul_hi_u32 v7, v6, 24
	v_mul_lo_u32 v6, v6, 24
	v_add_u32_e32 v7, v7, v5
	s_waitcnt vmcnt(0)
	v_lshl_add_u64 v[6:7], v[12:13], 0, v[6:7]
	global_store_dwordx2 v[6:7], v[10:11], off
	v_mov_b32_e32 v5, v11
	buffer_wbl2 sc0 sc1
	s_waitcnt vmcnt(0)
	global_atomic_cmpswap_x2 v[4:5], v8, v[2:5], s[2:3] offset:24 sc0 sc1
	s_waitcnt vmcnt(0)
	v_cmp_ne_u64_e32 vcc, v[4:5], v[10:11]
	s_and_b64 exec, exec, vcc
	s_cbranch_execz .LBB73_278
.LBB73_277:                             ; =>This Inner Loop Header: Depth=1
	s_sleep 1
	global_store_dwordx2 v[6:7], v[4:5], off
	buffer_wbl2 sc0 sc1
	s_waitcnt vmcnt(0)
	global_atomic_cmpswap_x2 v[10:11], v8, v[2:5], s[2:3] offset:24 sc0 sc1
	s_waitcnt vmcnt(0)
	v_cmp_eq_u64_e32 vcc, v[10:11], v[4:5]
	s_or_b64 s[0:1], vcc, s[0:1]
	v_mov_b64_e32 v[4:5], v[10:11]
	s_andn2_b64 exec, exec, s[0:1]
	s_cbranch_execnz .LBB73_277
.LBB73_278:
	s_or_b64 exec, exec, s[6:7]
	s_getpc_b64 s[0:1]
	s_add_u32 s0, s0, __FUNCTION__._ZL15flash_attn_tileILi112ELi112ELi8ELi8ELb1EEvPKcS1_S1_S1_S1_PKiPfP15HIP_vector_typeIfLj2EEffffjfiS5_IjLj3EEiiiiiiiiiiiliiliiiiil@rel32@lo+4
	s_addc_u32 s1, s1, __FUNCTION__._ZL15flash_attn_tileILi112ELi112ELi8ELi8ELb1EEvPKcS1_S1_S1_S1_PKiPfP15HIP_vector_typeIfLj2EEffffjfiS5_IjLj3EEiiiiiiiiiiiliiliiiiil@rel32@hi+12
	s_cmp_lg_u64 s[0:1], 0
	s_cselect_b64 s[2:3], -1, 0
	v_cndmask_b32_e64 v2, 0, 1, s[2:3]
	v_lshlrev_b32_e32 v4, 4, v2
	v_mov_b32_e32 v2, s0
	v_mov_b32_e32 v3, s1
	;; [unrolled: 1-line block ×3, first 2 shown]
	s_getpc_b64 s[2:3]
	s_add_u32 s2, s2, __ockl_printf_append_string_n@rel32@lo+4
	s_addc_u32 s3, s3, __ockl_printf_append_string_n@rel32@hi+12
	s_mov_b64 s[20:21], s[8:9]
	s_swappc_b64 s[30:31], s[2:3]
	s_mov_b64 s[8:9], s[20:21]
	v_mov_b32_e32 v2, 0x514
	v_mov_b32_e32 v3, 0
	;; [unrolled: 1-line block ×3, first 2 shown]
	s_getpc_b64 s[0:1]
	s_add_u32 s0, s0, __ockl_printf_append_args@rel32@lo+4
	s_addc_u32 s1, s1, __ockl_printf_append_args@rel32@hi+12
	s_swappc_b64 s[30:31], s[0:1]
	s_trap 2
.Lfunc_end73:
	.size	_ZL14no_device_codePKciS0_iS0_, .Lfunc_end73-_ZL14no_device_codePKciS0_iS0_
                                        ; -- End function
	.section	.AMDGPU.csdata,"",@progbits
; Function info:
; codeLenInByte = 9544
; NumSgprs: 40
; NumVgprs: 39
; NumAgprs: 0
; TotalNumVgprs: 39
; ScratchSize: 16
; MemoryBound: 0
	.section	.text._ZL15flash_attn_tileILi112ELi112ELi8ELi8ELb1EEvPKcS1_S1_S1_S1_PKiPfP15HIP_vector_typeIfLj2EEffffjfiS5_IjLj3EEiiiiiiiiiiiliiliiiiil,"axG",@progbits,_ZL15flash_attn_tileILi112ELi112ELi8ELi8ELb1EEvPKcS1_S1_S1_S1_PKiPfP15HIP_vector_typeIfLj2EEffffjfiS5_IjLj3EEiiiiiiiiiiiliiliiiiil,comdat
	.globl	_ZL15flash_attn_tileILi112ELi112ELi8ELi8ELb1EEvPKcS1_S1_S1_S1_PKiPfP15HIP_vector_typeIfLj2EEffffjfiS5_IjLj3EEiiiiiiiiiiiliiliiiiil ; -- Begin function _ZL15flash_attn_tileILi112ELi112ELi8ELi8ELb1EEvPKcS1_S1_S1_S1_PKiPfP15HIP_vector_typeIfLj2EEffffjfiS5_IjLj3EEiiiiiiiiiiiliiliiiiil
	.p2align	8
	.type	_ZL15flash_attn_tileILi112ELi112ELi8ELi8ELb1EEvPKcS1_S1_S1_S1_PKiPfP15HIP_vector_typeIfLj2EEffffjfiS5_IjLj3EEiiiiiiiiiiiliiliiiiil,@function
_ZL15flash_attn_tileILi112ELi112ELi8ELi8ELb1EEvPKcS1_S1_S1_S1_PKiPfP15HIP_vector_typeIfLj2EEffffjfiS5_IjLj3EEiiiiiiiiiiiliiliiiiil: ; @_ZL15flash_attn_tileILi112ELi112ELi8ELi8ELb1EEvPKcS1_S1_S1_S1_PKiPfP15HIP_vector_typeIfLj2EEffffjfiS5_IjLj3EEiiiiiiiiiiiliiliiiiil
; %bb.0:
	s_add_u32 s8, s0, 0xd0
	s_addc_u32 s9, s1, 0
	s_mov_b32 s32, 0
	s_getpc_b64 s[0:1]
	s_add_u32 s0, s0, _ZL14no_device_codePKciS0_iS0_@rel32@lo+4
	s_addc_u32 s1, s1, _ZL14no_device_codePKciS0_iS0_@rel32@hi+12
	s_swappc_b64 s[30:31], s[0:1]
	.section	.rodata,"a",@progbits
	.p2align	6, 0x0
	.amdhsa_kernel _ZL15flash_attn_tileILi112ELi112ELi8ELi8ELb1EEvPKcS1_S1_S1_S1_PKiPfP15HIP_vector_typeIfLj2EEffffjfiS5_IjLj3EEiiiiiiiiiiiliiliiiiil
		.amdhsa_group_segment_fixed_size 0
		.amdhsa_private_segment_fixed_size 16
		.amdhsa_kernarg_size 464
		.amdhsa_user_sgpr_count 2
		.amdhsa_user_sgpr_dispatch_ptr 0
		.amdhsa_user_sgpr_queue_ptr 0
		.amdhsa_user_sgpr_kernarg_segment_ptr 1
		.amdhsa_user_sgpr_dispatch_id 0
		.amdhsa_user_sgpr_kernarg_preload_length 0
		.amdhsa_user_sgpr_kernarg_preload_offset 0
		.amdhsa_user_sgpr_private_segment_size 0
		.amdhsa_uses_dynamic_stack 0
		.amdhsa_enable_private_segment 1
		.amdhsa_system_sgpr_workgroup_id_x 1
		.amdhsa_system_sgpr_workgroup_id_y 0
		.amdhsa_system_sgpr_workgroup_id_z 0
		.amdhsa_system_sgpr_workgroup_info 0
		.amdhsa_system_vgpr_workitem_id 0
		.amdhsa_next_free_vgpr 39
		.amdhsa_next_free_sgpr 34
		.amdhsa_accum_offset 40
		.amdhsa_reserve_vcc 1
		.amdhsa_float_round_mode_32 0
		.amdhsa_float_round_mode_16_64 0
		.amdhsa_float_denorm_mode_32 3
		.amdhsa_float_denorm_mode_16_64 3
		.amdhsa_dx10_clamp 1
		.amdhsa_ieee_mode 1
		.amdhsa_fp16_overflow 0
		.amdhsa_tg_split 0
		.amdhsa_exception_fp_ieee_invalid_op 0
		.amdhsa_exception_fp_denorm_src 0
		.amdhsa_exception_fp_ieee_div_zero 0
		.amdhsa_exception_fp_ieee_overflow 0
		.amdhsa_exception_fp_ieee_underflow 0
		.amdhsa_exception_fp_ieee_inexact 0
		.amdhsa_exception_int_div_zero 0
	.end_amdhsa_kernel
	.section	.text._ZL15flash_attn_tileILi112ELi112ELi8ELi8ELb1EEvPKcS1_S1_S1_S1_PKiPfP15HIP_vector_typeIfLj2EEffffjfiS5_IjLj3EEiiiiiiiiiiiliiliiiiil,"axG",@progbits,_ZL15flash_attn_tileILi112ELi112ELi8ELi8ELb1EEvPKcS1_S1_S1_S1_PKiPfP15HIP_vector_typeIfLj2EEffffjfiS5_IjLj3EEiiiiiiiiiiiliiliiiiil,comdat
.Lfunc_end74:
	.size	_ZL15flash_attn_tileILi112ELi112ELi8ELi8ELb1EEvPKcS1_S1_S1_S1_PKiPfP15HIP_vector_typeIfLj2EEffffjfiS5_IjLj3EEiiiiiiiiiiiliiliiiiil, .Lfunc_end74-_ZL15flash_attn_tileILi112ELi112ELi8ELi8ELb1EEvPKcS1_S1_S1_S1_PKiPfP15HIP_vector_typeIfLj2EEffffjfiS5_IjLj3EEiiiiiiiiiiiliiliiiiil
                                        ; -- End function
	.section	.AMDGPU.csdata,"",@progbits
; Kernel info:
; codeLenInByte = 40
; NumSgprs: 40
; NumVgprs: 39
; NumAgprs: 0
; TotalNumVgprs: 39
; ScratchSize: 16
; MemoryBound: 0
; FloatMode: 240
; IeeeMode: 1
; LDSByteSize: 0 bytes/workgroup (compile time only)
; SGPRBlocks: 4
; VGPRBlocks: 4
; NumSGPRsForWavesPerEU: 40
; NumVGPRsForWavesPerEU: 39
; AccumOffset: 40
; Occupancy: 8
; WaveLimiterHint : 1
; COMPUTE_PGM_RSRC2:SCRATCH_EN: 1
; COMPUTE_PGM_RSRC2:USER_SGPR: 2
; COMPUTE_PGM_RSRC2:TRAP_HANDLER: 0
; COMPUTE_PGM_RSRC2:TGID_X_EN: 1
; COMPUTE_PGM_RSRC2:TGID_Y_EN: 0
; COMPUTE_PGM_RSRC2:TGID_Z_EN: 0
; COMPUTE_PGM_RSRC2:TIDIG_COMP_CNT: 0
; COMPUTE_PGM_RSRC3_GFX90A:ACCUM_OFFSET: 9
; COMPUTE_PGM_RSRC3_GFX90A:TG_SPLIT: 0
	.section	.text._ZL15flash_attn_tileILi112ELi112ELi4ELi8ELb1EEvPKcS1_S1_S1_S1_PKiPfP15HIP_vector_typeIfLj2EEffffjfiS5_IjLj3EEiiiiiiiiiiiliiliiiiil,"axG",@progbits,_ZL15flash_attn_tileILi112ELi112ELi4ELi8ELb1EEvPKcS1_S1_S1_S1_PKiPfP15HIP_vector_typeIfLj2EEffffjfiS5_IjLj3EEiiiiiiiiiiiliiliiiiil,comdat
	.globl	_ZL15flash_attn_tileILi112ELi112ELi4ELi8ELb1EEvPKcS1_S1_S1_S1_PKiPfP15HIP_vector_typeIfLj2EEffffjfiS5_IjLj3EEiiiiiiiiiiiliiliiiiil ; -- Begin function _ZL15flash_attn_tileILi112ELi112ELi4ELi8ELb1EEvPKcS1_S1_S1_S1_PKiPfP15HIP_vector_typeIfLj2EEffffjfiS5_IjLj3EEiiiiiiiiiiiliiliiiiil
	.p2align	8
	.type	_ZL15flash_attn_tileILi112ELi112ELi4ELi8ELb1EEvPKcS1_S1_S1_S1_PKiPfP15HIP_vector_typeIfLj2EEffffjfiS5_IjLj3EEiiiiiiiiiiiliiliiiiil,@function
_ZL15flash_attn_tileILi112ELi112ELi4ELi8ELb1EEvPKcS1_S1_S1_S1_PKiPfP15HIP_vector_typeIfLj2EEffffjfiS5_IjLj3EEiiiiiiiiiiiliiliiiiil: ; @_ZL15flash_attn_tileILi112ELi112ELi4ELi8ELb1EEvPKcS1_S1_S1_S1_PKiPfP15HIP_vector_typeIfLj2EEffffjfiS5_IjLj3EEiiiiiiiiiiiliiliiiiil
; %bb.0:
	s_add_u32 s8, s0, 0xd0
	s_addc_u32 s9, s1, 0
	s_mov_b32 s32, 0
	s_getpc_b64 s[0:1]
	s_add_u32 s0, s0, _ZL14no_device_codePKciS0_iS0_@rel32@lo+4
	s_addc_u32 s1, s1, _ZL14no_device_codePKciS0_iS0_@rel32@hi+12
	s_swappc_b64 s[30:31], s[0:1]
	.section	.rodata,"a",@progbits
	.p2align	6, 0x0
	.amdhsa_kernel _ZL15flash_attn_tileILi112ELi112ELi4ELi8ELb1EEvPKcS1_S1_S1_S1_PKiPfP15HIP_vector_typeIfLj2EEffffjfiS5_IjLj3EEiiiiiiiiiiiliiliiiiil
		.amdhsa_group_segment_fixed_size 0
		.amdhsa_private_segment_fixed_size 16
		.amdhsa_kernarg_size 464
		.amdhsa_user_sgpr_count 2
		.amdhsa_user_sgpr_dispatch_ptr 0
		.amdhsa_user_sgpr_queue_ptr 0
		.amdhsa_user_sgpr_kernarg_segment_ptr 1
		.amdhsa_user_sgpr_dispatch_id 0
		.amdhsa_user_sgpr_kernarg_preload_length 0
		.amdhsa_user_sgpr_kernarg_preload_offset 0
		.amdhsa_user_sgpr_private_segment_size 0
		.amdhsa_uses_dynamic_stack 0
		.amdhsa_enable_private_segment 1
		.amdhsa_system_sgpr_workgroup_id_x 1
		.amdhsa_system_sgpr_workgroup_id_y 0
		.amdhsa_system_sgpr_workgroup_id_z 0
		.amdhsa_system_sgpr_workgroup_info 0
		.amdhsa_system_vgpr_workitem_id 0
		.amdhsa_next_free_vgpr 39
		.amdhsa_next_free_sgpr 34
		.amdhsa_accum_offset 40
		.amdhsa_reserve_vcc 1
		.amdhsa_float_round_mode_32 0
		.amdhsa_float_round_mode_16_64 0
		.amdhsa_float_denorm_mode_32 3
		.amdhsa_float_denorm_mode_16_64 3
		.amdhsa_dx10_clamp 1
		.amdhsa_ieee_mode 1
		.amdhsa_fp16_overflow 0
		.amdhsa_tg_split 0
		.amdhsa_exception_fp_ieee_invalid_op 0
		.amdhsa_exception_fp_denorm_src 0
		.amdhsa_exception_fp_ieee_div_zero 0
		.amdhsa_exception_fp_ieee_overflow 0
		.amdhsa_exception_fp_ieee_underflow 0
		.amdhsa_exception_fp_ieee_inexact 0
		.amdhsa_exception_int_div_zero 0
	.end_amdhsa_kernel
	.section	.text._ZL15flash_attn_tileILi112ELi112ELi4ELi8ELb1EEvPKcS1_S1_S1_S1_PKiPfP15HIP_vector_typeIfLj2EEffffjfiS5_IjLj3EEiiiiiiiiiiiliiliiiiil,"axG",@progbits,_ZL15flash_attn_tileILi112ELi112ELi4ELi8ELb1EEvPKcS1_S1_S1_S1_PKiPfP15HIP_vector_typeIfLj2EEffffjfiS5_IjLj3EEiiiiiiiiiiiliiliiiiil,comdat
.Lfunc_end75:
	.size	_ZL15flash_attn_tileILi112ELi112ELi4ELi8ELb1EEvPKcS1_S1_S1_S1_PKiPfP15HIP_vector_typeIfLj2EEffffjfiS5_IjLj3EEiiiiiiiiiiiliiliiiiil, .Lfunc_end75-_ZL15flash_attn_tileILi112ELi112ELi4ELi8ELb1EEvPKcS1_S1_S1_S1_PKiPfP15HIP_vector_typeIfLj2EEffffjfiS5_IjLj3EEiiiiiiiiiiiliiliiiiil
                                        ; -- End function
	.section	.AMDGPU.csdata,"",@progbits
; Kernel info:
; codeLenInByte = 40
; NumSgprs: 40
; NumVgprs: 39
; NumAgprs: 0
; TotalNumVgprs: 39
; ScratchSize: 16
; MemoryBound: 0
; FloatMode: 240
; IeeeMode: 1
; LDSByteSize: 0 bytes/workgroup (compile time only)
; SGPRBlocks: 4
; VGPRBlocks: 4
; NumSGPRsForWavesPerEU: 40
; NumVGPRsForWavesPerEU: 39
; AccumOffset: 40
; Occupancy: 8
; WaveLimiterHint : 1
; COMPUTE_PGM_RSRC2:SCRATCH_EN: 1
; COMPUTE_PGM_RSRC2:USER_SGPR: 2
; COMPUTE_PGM_RSRC2:TRAP_HANDLER: 0
; COMPUTE_PGM_RSRC2:TGID_X_EN: 1
; COMPUTE_PGM_RSRC2:TGID_Y_EN: 0
; COMPUTE_PGM_RSRC2:TGID_Z_EN: 0
; COMPUTE_PGM_RSRC2:TIDIG_COMP_CNT: 0
; COMPUTE_PGM_RSRC3_GFX90A:ACCUM_OFFSET: 9
; COMPUTE_PGM_RSRC3_GFX90A:TG_SPLIT: 0
	.section	.text._ZL15flash_attn_tileILi112ELi112ELi2ELi8ELb1EEvPKcS1_S1_S1_S1_PKiPfP15HIP_vector_typeIfLj2EEffffjfiS5_IjLj3EEiiiiiiiiiiiliiliiiiil,"axG",@progbits,_ZL15flash_attn_tileILi112ELi112ELi2ELi8ELb1EEvPKcS1_S1_S1_S1_PKiPfP15HIP_vector_typeIfLj2EEffffjfiS5_IjLj3EEiiiiiiiiiiiliiliiiiil,comdat
	.globl	_ZL15flash_attn_tileILi112ELi112ELi2ELi8ELb1EEvPKcS1_S1_S1_S1_PKiPfP15HIP_vector_typeIfLj2EEffffjfiS5_IjLj3EEiiiiiiiiiiiliiliiiiil ; -- Begin function _ZL15flash_attn_tileILi112ELi112ELi2ELi8ELb1EEvPKcS1_S1_S1_S1_PKiPfP15HIP_vector_typeIfLj2EEffffjfiS5_IjLj3EEiiiiiiiiiiiliiliiiiil
	.p2align	8
	.type	_ZL15flash_attn_tileILi112ELi112ELi2ELi8ELb1EEvPKcS1_S1_S1_S1_PKiPfP15HIP_vector_typeIfLj2EEffffjfiS5_IjLj3EEiiiiiiiiiiiliiliiiiil,@function
_ZL15flash_attn_tileILi112ELi112ELi2ELi8ELb1EEvPKcS1_S1_S1_S1_PKiPfP15HIP_vector_typeIfLj2EEffffjfiS5_IjLj3EEiiiiiiiiiiiliiliiiiil: ; @_ZL15flash_attn_tileILi112ELi112ELi2ELi8ELb1EEvPKcS1_S1_S1_S1_PKiPfP15HIP_vector_typeIfLj2EEffffjfiS5_IjLj3EEiiiiiiiiiiiliiliiiiil
; %bb.0:
	s_add_u32 s8, s0, 0xd0
	s_addc_u32 s9, s1, 0
	s_mov_b32 s32, 0
	s_getpc_b64 s[0:1]
	s_add_u32 s0, s0, _ZL14no_device_codePKciS0_iS0_@rel32@lo+4
	s_addc_u32 s1, s1, _ZL14no_device_codePKciS0_iS0_@rel32@hi+12
	s_swappc_b64 s[30:31], s[0:1]
	.section	.rodata,"a",@progbits
	.p2align	6, 0x0
	.amdhsa_kernel _ZL15flash_attn_tileILi112ELi112ELi2ELi8ELb1EEvPKcS1_S1_S1_S1_PKiPfP15HIP_vector_typeIfLj2EEffffjfiS5_IjLj3EEiiiiiiiiiiiliiliiiiil
		.amdhsa_group_segment_fixed_size 0
		.amdhsa_private_segment_fixed_size 16
		.amdhsa_kernarg_size 464
		.amdhsa_user_sgpr_count 2
		.amdhsa_user_sgpr_dispatch_ptr 0
		.amdhsa_user_sgpr_queue_ptr 0
		.amdhsa_user_sgpr_kernarg_segment_ptr 1
		.amdhsa_user_sgpr_dispatch_id 0
		.amdhsa_user_sgpr_kernarg_preload_length 0
		.amdhsa_user_sgpr_kernarg_preload_offset 0
		.amdhsa_user_sgpr_private_segment_size 0
		.amdhsa_uses_dynamic_stack 0
		.amdhsa_enable_private_segment 1
		.amdhsa_system_sgpr_workgroup_id_x 1
		.amdhsa_system_sgpr_workgroup_id_y 0
		.amdhsa_system_sgpr_workgroup_id_z 0
		.amdhsa_system_sgpr_workgroup_info 0
		.amdhsa_system_vgpr_workitem_id 0
		.amdhsa_next_free_vgpr 39
		.amdhsa_next_free_sgpr 34
		.amdhsa_accum_offset 40
		.amdhsa_reserve_vcc 1
		.amdhsa_float_round_mode_32 0
		.amdhsa_float_round_mode_16_64 0
		.amdhsa_float_denorm_mode_32 3
		.amdhsa_float_denorm_mode_16_64 3
		.amdhsa_dx10_clamp 1
		.amdhsa_ieee_mode 1
		.amdhsa_fp16_overflow 0
		.amdhsa_tg_split 0
		.amdhsa_exception_fp_ieee_invalid_op 0
		.amdhsa_exception_fp_denorm_src 0
		.amdhsa_exception_fp_ieee_div_zero 0
		.amdhsa_exception_fp_ieee_overflow 0
		.amdhsa_exception_fp_ieee_underflow 0
		.amdhsa_exception_fp_ieee_inexact 0
		.amdhsa_exception_int_div_zero 0
	.end_amdhsa_kernel
	.section	.text._ZL15flash_attn_tileILi112ELi112ELi2ELi8ELb1EEvPKcS1_S1_S1_S1_PKiPfP15HIP_vector_typeIfLj2EEffffjfiS5_IjLj3EEiiiiiiiiiiiliiliiiiil,"axG",@progbits,_ZL15flash_attn_tileILi112ELi112ELi2ELi8ELb1EEvPKcS1_S1_S1_S1_PKiPfP15HIP_vector_typeIfLj2EEffffjfiS5_IjLj3EEiiiiiiiiiiiliiliiiiil,comdat
.Lfunc_end76:
	.size	_ZL15flash_attn_tileILi112ELi112ELi2ELi8ELb1EEvPKcS1_S1_S1_S1_PKiPfP15HIP_vector_typeIfLj2EEffffjfiS5_IjLj3EEiiiiiiiiiiiliiliiiiil, .Lfunc_end76-_ZL15flash_attn_tileILi112ELi112ELi2ELi8ELb1EEvPKcS1_S1_S1_S1_PKiPfP15HIP_vector_typeIfLj2EEffffjfiS5_IjLj3EEiiiiiiiiiiiliiliiiiil
                                        ; -- End function
	.section	.AMDGPU.csdata,"",@progbits
; Kernel info:
; codeLenInByte = 40
; NumSgprs: 40
; NumVgprs: 39
; NumAgprs: 0
; TotalNumVgprs: 39
; ScratchSize: 16
; MemoryBound: 0
; FloatMode: 240
; IeeeMode: 1
; LDSByteSize: 0 bytes/workgroup (compile time only)
; SGPRBlocks: 4
; VGPRBlocks: 4
; NumSGPRsForWavesPerEU: 40
; NumVGPRsForWavesPerEU: 39
; AccumOffset: 40
; Occupancy: 8
; WaveLimiterHint : 1
; COMPUTE_PGM_RSRC2:SCRATCH_EN: 1
; COMPUTE_PGM_RSRC2:USER_SGPR: 2
; COMPUTE_PGM_RSRC2:TRAP_HANDLER: 0
; COMPUTE_PGM_RSRC2:TGID_X_EN: 1
; COMPUTE_PGM_RSRC2:TGID_Y_EN: 0
; COMPUTE_PGM_RSRC2:TGID_Z_EN: 0
; COMPUTE_PGM_RSRC2:TIDIG_COMP_CNT: 0
; COMPUTE_PGM_RSRC3_GFX90A:ACCUM_OFFSET: 9
; COMPUTE_PGM_RSRC3_GFX90A:TG_SPLIT: 0
	.section	.text._ZL15flash_attn_tileILi112ELi112ELi1ELi8ELb1EEvPKcS1_S1_S1_S1_PKiPfP15HIP_vector_typeIfLj2EEffffjfiS5_IjLj3EEiiiiiiiiiiiliiliiiiil,"axG",@progbits,_ZL15flash_attn_tileILi112ELi112ELi1ELi8ELb1EEvPKcS1_S1_S1_S1_PKiPfP15HIP_vector_typeIfLj2EEffffjfiS5_IjLj3EEiiiiiiiiiiiliiliiiiil,comdat
	.globl	_ZL15flash_attn_tileILi112ELi112ELi1ELi8ELb1EEvPKcS1_S1_S1_S1_PKiPfP15HIP_vector_typeIfLj2EEffffjfiS5_IjLj3EEiiiiiiiiiiiliiliiiiil ; -- Begin function _ZL15flash_attn_tileILi112ELi112ELi1ELi8ELb1EEvPKcS1_S1_S1_S1_PKiPfP15HIP_vector_typeIfLj2EEffffjfiS5_IjLj3EEiiiiiiiiiiiliiliiiiil
	.p2align	8
	.type	_ZL15flash_attn_tileILi112ELi112ELi1ELi8ELb1EEvPKcS1_S1_S1_S1_PKiPfP15HIP_vector_typeIfLj2EEffffjfiS5_IjLj3EEiiiiiiiiiiiliiliiiiil,@function
_ZL15flash_attn_tileILi112ELi112ELi1ELi8ELb1EEvPKcS1_S1_S1_S1_PKiPfP15HIP_vector_typeIfLj2EEffffjfiS5_IjLj3EEiiiiiiiiiiiliiliiiiil: ; @_ZL15flash_attn_tileILi112ELi112ELi1ELi8ELb1EEvPKcS1_S1_S1_S1_PKiPfP15HIP_vector_typeIfLj2EEffffjfiS5_IjLj3EEiiiiiiiiiiiliiliiiiil
; %bb.0:
	s_add_u32 s8, s0, 0xd0
	s_addc_u32 s9, s1, 0
	s_mov_b32 s32, 0
	s_getpc_b64 s[0:1]
	s_add_u32 s0, s0, _ZL14no_device_codePKciS0_iS0_@rel32@lo+4
	s_addc_u32 s1, s1, _ZL14no_device_codePKciS0_iS0_@rel32@hi+12
	s_swappc_b64 s[30:31], s[0:1]
	.section	.rodata,"a",@progbits
	.p2align	6, 0x0
	.amdhsa_kernel _ZL15flash_attn_tileILi112ELi112ELi1ELi8ELb1EEvPKcS1_S1_S1_S1_PKiPfP15HIP_vector_typeIfLj2EEffffjfiS5_IjLj3EEiiiiiiiiiiiliiliiiiil
		.amdhsa_group_segment_fixed_size 0
		.amdhsa_private_segment_fixed_size 16
		.amdhsa_kernarg_size 464
		.amdhsa_user_sgpr_count 2
		.amdhsa_user_sgpr_dispatch_ptr 0
		.amdhsa_user_sgpr_queue_ptr 0
		.amdhsa_user_sgpr_kernarg_segment_ptr 1
		.amdhsa_user_sgpr_dispatch_id 0
		.amdhsa_user_sgpr_kernarg_preload_length 0
		.amdhsa_user_sgpr_kernarg_preload_offset 0
		.amdhsa_user_sgpr_private_segment_size 0
		.amdhsa_uses_dynamic_stack 0
		.amdhsa_enable_private_segment 1
		.amdhsa_system_sgpr_workgroup_id_x 1
		.amdhsa_system_sgpr_workgroup_id_y 0
		.amdhsa_system_sgpr_workgroup_id_z 0
		.amdhsa_system_sgpr_workgroup_info 0
		.amdhsa_system_vgpr_workitem_id 0
		.amdhsa_next_free_vgpr 39
		.amdhsa_next_free_sgpr 34
		.amdhsa_accum_offset 40
		.amdhsa_reserve_vcc 1
		.amdhsa_float_round_mode_32 0
		.amdhsa_float_round_mode_16_64 0
		.amdhsa_float_denorm_mode_32 3
		.amdhsa_float_denorm_mode_16_64 3
		.amdhsa_dx10_clamp 1
		.amdhsa_ieee_mode 1
		.amdhsa_fp16_overflow 0
		.amdhsa_tg_split 0
		.amdhsa_exception_fp_ieee_invalid_op 0
		.amdhsa_exception_fp_denorm_src 0
		.amdhsa_exception_fp_ieee_div_zero 0
		.amdhsa_exception_fp_ieee_overflow 0
		.amdhsa_exception_fp_ieee_underflow 0
		.amdhsa_exception_fp_ieee_inexact 0
		.amdhsa_exception_int_div_zero 0
	.end_amdhsa_kernel
	.section	.text._ZL15flash_attn_tileILi112ELi112ELi1ELi8ELb1EEvPKcS1_S1_S1_S1_PKiPfP15HIP_vector_typeIfLj2EEffffjfiS5_IjLj3EEiiiiiiiiiiiliiliiiiil,"axG",@progbits,_ZL15flash_attn_tileILi112ELi112ELi1ELi8ELb1EEvPKcS1_S1_S1_S1_PKiPfP15HIP_vector_typeIfLj2EEffffjfiS5_IjLj3EEiiiiiiiiiiiliiliiiiil,comdat
.Lfunc_end77:
	.size	_ZL15flash_attn_tileILi112ELi112ELi1ELi8ELb1EEvPKcS1_S1_S1_S1_PKiPfP15HIP_vector_typeIfLj2EEffffjfiS5_IjLj3EEiiiiiiiiiiiliiliiiiil, .Lfunc_end77-_ZL15flash_attn_tileILi112ELi112ELi1ELi8ELb1EEvPKcS1_S1_S1_S1_PKiPfP15HIP_vector_typeIfLj2EEffffjfiS5_IjLj3EEiiiiiiiiiiiliiliiiiil
                                        ; -- End function
	.section	.AMDGPU.csdata,"",@progbits
; Kernel info:
; codeLenInByte = 40
; NumSgprs: 40
; NumVgprs: 39
; NumAgprs: 0
; TotalNumVgprs: 39
; ScratchSize: 16
; MemoryBound: 0
; FloatMode: 240
; IeeeMode: 1
; LDSByteSize: 0 bytes/workgroup (compile time only)
; SGPRBlocks: 4
; VGPRBlocks: 4
; NumSGPRsForWavesPerEU: 40
; NumVGPRsForWavesPerEU: 39
; AccumOffset: 40
; Occupancy: 8
; WaveLimiterHint : 1
; COMPUTE_PGM_RSRC2:SCRATCH_EN: 1
; COMPUTE_PGM_RSRC2:USER_SGPR: 2
; COMPUTE_PGM_RSRC2:TRAP_HANDLER: 0
; COMPUTE_PGM_RSRC2:TGID_X_EN: 1
; COMPUTE_PGM_RSRC2:TGID_Y_EN: 0
; COMPUTE_PGM_RSRC2:TGID_Z_EN: 0
; COMPUTE_PGM_RSRC2:TIDIG_COMP_CNT: 0
; COMPUTE_PGM_RSRC3_GFX90A:ACCUM_OFFSET: 9
; COMPUTE_PGM_RSRC3_GFX90A:TG_SPLIT: 0
	.section	.text._ZL15flash_attn_tileILi112ELi112ELi16ELi4ELb1EEvPKcS1_S1_S1_S1_PKiPfP15HIP_vector_typeIfLj2EEffffjfiS5_IjLj3EEiiiiiiiiiiiliiliiiiil,"axG",@progbits,_ZL15flash_attn_tileILi112ELi112ELi16ELi4ELb1EEvPKcS1_S1_S1_S1_PKiPfP15HIP_vector_typeIfLj2EEffffjfiS5_IjLj3EEiiiiiiiiiiiliiliiiiil,comdat
	.globl	_ZL15flash_attn_tileILi112ELi112ELi16ELi4ELb1EEvPKcS1_S1_S1_S1_PKiPfP15HIP_vector_typeIfLj2EEffffjfiS5_IjLj3EEiiiiiiiiiiiliiliiiiil ; -- Begin function _ZL15flash_attn_tileILi112ELi112ELi16ELi4ELb1EEvPKcS1_S1_S1_S1_PKiPfP15HIP_vector_typeIfLj2EEffffjfiS5_IjLj3EEiiiiiiiiiiiliiliiiiil
	.p2align	8
	.type	_ZL15flash_attn_tileILi112ELi112ELi16ELi4ELb1EEvPKcS1_S1_S1_S1_PKiPfP15HIP_vector_typeIfLj2EEffffjfiS5_IjLj3EEiiiiiiiiiiiliiliiiiil,@function
_ZL15flash_attn_tileILi112ELi112ELi16ELi4ELb1EEvPKcS1_S1_S1_S1_PKiPfP15HIP_vector_typeIfLj2EEffffjfiS5_IjLj3EEiiiiiiiiiiiliiliiiiil: ; @_ZL15flash_attn_tileILi112ELi112ELi16ELi4ELb1EEvPKcS1_S1_S1_S1_PKiPfP15HIP_vector_typeIfLj2EEffffjfiS5_IjLj3EEiiiiiiiiiiiliiliiiiil
; %bb.0:
	s_add_u32 s8, s0, 0xd0
	s_addc_u32 s9, s1, 0
	s_mov_b32 s32, 0
	s_getpc_b64 s[0:1]
	s_add_u32 s0, s0, _ZL14no_device_codePKciS0_iS0_@rel32@lo+4
	s_addc_u32 s1, s1, _ZL14no_device_codePKciS0_iS0_@rel32@hi+12
	s_swappc_b64 s[30:31], s[0:1]
	.section	.rodata,"a",@progbits
	.p2align	6, 0x0
	.amdhsa_kernel _ZL15flash_attn_tileILi112ELi112ELi16ELi4ELb1EEvPKcS1_S1_S1_S1_PKiPfP15HIP_vector_typeIfLj2EEffffjfiS5_IjLj3EEiiiiiiiiiiiliiliiiiil
		.amdhsa_group_segment_fixed_size 0
		.amdhsa_private_segment_fixed_size 16
		.amdhsa_kernarg_size 464
		.amdhsa_user_sgpr_count 2
		.amdhsa_user_sgpr_dispatch_ptr 0
		.amdhsa_user_sgpr_queue_ptr 0
		.amdhsa_user_sgpr_kernarg_segment_ptr 1
		.amdhsa_user_sgpr_dispatch_id 0
		.amdhsa_user_sgpr_kernarg_preload_length 0
		.amdhsa_user_sgpr_kernarg_preload_offset 0
		.amdhsa_user_sgpr_private_segment_size 0
		.amdhsa_uses_dynamic_stack 0
		.amdhsa_enable_private_segment 1
		.amdhsa_system_sgpr_workgroup_id_x 1
		.amdhsa_system_sgpr_workgroup_id_y 0
		.amdhsa_system_sgpr_workgroup_id_z 0
		.amdhsa_system_sgpr_workgroup_info 0
		.amdhsa_system_vgpr_workitem_id 0
		.amdhsa_next_free_vgpr 39
		.amdhsa_next_free_sgpr 34
		.amdhsa_accum_offset 40
		.amdhsa_reserve_vcc 1
		.amdhsa_float_round_mode_32 0
		.amdhsa_float_round_mode_16_64 0
		.amdhsa_float_denorm_mode_32 3
		.amdhsa_float_denorm_mode_16_64 3
		.amdhsa_dx10_clamp 1
		.amdhsa_ieee_mode 1
		.amdhsa_fp16_overflow 0
		.amdhsa_tg_split 0
		.amdhsa_exception_fp_ieee_invalid_op 0
		.amdhsa_exception_fp_denorm_src 0
		.amdhsa_exception_fp_ieee_div_zero 0
		.amdhsa_exception_fp_ieee_overflow 0
		.amdhsa_exception_fp_ieee_underflow 0
		.amdhsa_exception_fp_ieee_inexact 0
		.amdhsa_exception_int_div_zero 0
	.end_amdhsa_kernel
	.section	.text._ZL15flash_attn_tileILi112ELi112ELi16ELi4ELb1EEvPKcS1_S1_S1_S1_PKiPfP15HIP_vector_typeIfLj2EEffffjfiS5_IjLj3EEiiiiiiiiiiiliiliiiiil,"axG",@progbits,_ZL15flash_attn_tileILi112ELi112ELi16ELi4ELb1EEvPKcS1_S1_S1_S1_PKiPfP15HIP_vector_typeIfLj2EEffffjfiS5_IjLj3EEiiiiiiiiiiiliiliiiiil,comdat
.Lfunc_end78:
	.size	_ZL15flash_attn_tileILi112ELi112ELi16ELi4ELb1EEvPKcS1_S1_S1_S1_PKiPfP15HIP_vector_typeIfLj2EEffffjfiS5_IjLj3EEiiiiiiiiiiiliiliiiiil, .Lfunc_end78-_ZL15flash_attn_tileILi112ELi112ELi16ELi4ELb1EEvPKcS1_S1_S1_S1_PKiPfP15HIP_vector_typeIfLj2EEffffjfiS5_IjLj3EEiiiiiiiiiiiliiliiiiil
                                        ; -- End function
	.section	.AMDGPU.csdata,"",@progbits
; Kernel info:
; codeLenInByte = 40
; NumSgprs: 40
; NumVgprs: 39
; NumAgprs: 0
; TotalNumVgprs: 39
; ScratchSize: 16
; MemoryBound: 0
; FloatMode: 240
; IeeeMode: 1
; LDSByteSize: 0 bytes/workgroup (compile time only)
; SGPRBlocks: 4
; VGPRBlocks: 4
; NumSGPRsForWavesPerEU: 40
; NumVGPRsForWavesPerEU: 39
; AccumOffset: 40
; Occupancy: 8
; WaveLimiterHint : 1
; COMPUTE_PGM_RSRC2:SCRATCH_EN: 1
; COMPUTE_PGM_RSRC2:USER_SGPR: 2
; COMPUTE_PGM_RSRC2:TRAP_HANDLER: 0
; COMPUTE_PGM_RSRC2:TGID_X_EN: 1
; COMPUTE_PGM_RSRC2:TGID_Y_EN: 0
; COMPUTE_PGM_RSRC2:TGID_Z_EN: 0
; COMPUTE_PGM_RSRC2:TIDIG_COMP_CNT: 0
; COMPUTE_PGM_RSRC3_GFX90A:ACCUM_OFFSET: 9
; COMPUTE_PGM_RSRC3_GFX90A:TG_SPLIT: 0
	.section	.text._ZL15flash_attn_tileILi112ELi112ELi8ELi4ELb1EEvPKcS1_S1_S1_S1_PKiPfP15HIP_vector_typeIfLj2EEffffjfiS5_IjLj3EEiiiiiiiiiiiliiliiiiil,"axG",@progbits,_ZL15flash_attn_tileILi112ELi112ELi8ELi4ELb1EEvPKcS1_S1_S1_S1_PKiPfP15HIP_vector_typeIfLj2EEffffjfiS5_IjLj3EEiiiiiiiiiiiliiliiiiil,comdat
	.globl	_ZL15flash_attn_tileILi112ELi112ELi8ELi4ELb1EEvPKcS1_S1_S1_S1_PKiPfP15HIP_vector_typeIfLj2EEffffjfiS5_IjLj3EEiiiiiiiiiiiliiliiiiil ; -- Begin function _ZL15flash_attn_tileILi112ELi112ELi8ELi4ELb1EEvPKcS1_S1_S1_S1_PKiPfP15HIP_vector_typeIfLj2EEffffjfiS5_IjLj3EEiiiiiiiiiiiliiliiiiil
	.p2align	8
	.type	_ZL15flash_attn_tileILi112ELi112ELi8ELi4ELb1EEvPKcS1_S1_S1_S1_PKiPfP15HIP_vector_typeIfLj2EEffffjfiS5_IjLj3EEiiiiiiiiiiiliiliiiiil,@function
_ZL15flash_attn_tileILi112ELi112ELi8ELi4ELb1EEvPKcS1_S1_S1_S1_PKiPfP15HIP_vector_typeIfLj2EEffffjfiS5_IjLj3EEiiiiiiiiiiiliiliiiiil: ; @_ZL15flash_attn_tileILi112ELi112ELi8ELi4ELb1EEvPKcS1_S1_S1_S1_PKiPfP15HIP_vector_typeIfLj2EEffffjfiS5_IjLj3EEiiiiiiiiiiiliiliiiiil
; %bb.0:
	s_add_u32 s8, s0, 0xd0
	s_addc_u32 s9, s1, 0
	s_mov_b32 s32, 0
	s_getpc_b64 s[0:1]
	s_add_u32 s0, s0, _ZL14no_device_codePKciS0_iS0_@rel32@lo+4
	s_addc_u32 s1, s1, _ZL14no_device_codePKciS0_iS0_@rel32@hi+12
	s_swappc_b64 s[30:31], s[0:1]
	.section	.rodata,"a",@progbits
	.p2align	6, 0x0
	.amdhsa_kernel _ZL15flash_attn_tileILi112ELi112ELi8ELi4ELb1EEvPKcS1_S1_S1_S1_PKiPfP15HIP_vector_typeIfLj2EEffffjfiS5_IjLj3EEiiiiiiiiiiiliiliiiiil
		.amdhsa_group_segment_fixed_size 0
		.amdhsa_private_segment_fixed_size 16
		.amdhsa_kernarg_size 464
		.amdhsa_user_sgpr_count 2
		.amdhsa_user_sgpr_dispatch_ptr 0
		.amdhsa_user_sgpr_queue_ptr 0
		.amdhsa_user_sgpr_kernarg_segment_ptr 1
		.amdhsa_user_sgpr_dispatch_id 0
		.amdhsa_user_sgpr_kernarg_preload_length 0
		.amdhsa_user_sgpr_kernarg_preload_offset 0
		.amdhsa_user_sgpr_private_segment_size 0
		.amdhsa_uses_dynamic_stack 0
		.amdhsa_enable_private_segment 1
		.amdhsa_system_sgpr_workgroup_id_x 1
		.amdhsa_system_sgpr_workgroup_id_y 0
		.amdhsa_system_sgpr_workgroup_id_z 0
		.amdhsa_system_sgpr_workgroup_info 0
		.amdhsa_system_vgpr_workitem_id 0
		.amdhsa_next_free_vgpr 39
		.amdhsa_next_free_sgpr 34
		.amdhsa_accum_offset 40
		.amdhsa_reserve_vcc 1
		.amdhsa_float_round_mode_32 0
		.amdhsa_float_round_mode_16_64 0
		.amdhsa_float_denorm_mode_32 3
		.amdhsa_float_denorm_mode_16_64 3
		.amdhsa_dx10_clamp 1
		.amdhsa_ieee_mode 1
		.amdhsa_fp16_overflow 0
		.amdhsa_tg_split 0
		.amdhsa_exception_fp_ieee_invalid_op 0
		.amdhsa_exception_fp_denorm_src 0
		.amdhsa_exception_fp_ieee_div_zero 0
		.amdhsa_exception_fp_ieee_overflow 0
		.amdhsa_exception_fp_ieee_underflow 0
		.amdhsa_exception_fp_ieee_inexact 0
		.amdhsa_exception_int_div_zero 0
	.end_amdhsa_kernel
	.section	.text._ZL15flash_attn_tileILi112ELi112ELi8ELi4ELb1EEvPKcS1_S1_S1_S1_PKiPfP15HIP_vector_typeIfLj2EEffffjfiS5_IjLj3EEiiiiiiiiiiiliiliiiiil,"axG",@progbits,_ZL15flash_attn_tileILi112ELi112ELi8ELi4ELb1EEvPKcS1_S1_S1_S1_PKiPfP15HIP_vector_typeIfLj2EEffffjfiS5_IjLj3EEiiiiiiiiiiiliiliiiiil,comdat
.Lfunc_end79:
	.size	_ZL15flash_attn_tileILi112ELi112ELi8ELi4ELb1EEvPKcS1_S1_S1_S1_PKiPfP15HIP_vector_typeIfLj2EEffffjfiS5_IjLj3EEiiiiiiiiiiiliiliiiiil, .Lfunc_end79-_ZL15flash_attn_tileILi112ELi112ELi8ELi4ELb1EEvPKcS1_S1_S1_S1_PKiPfP15HIP_vector_typeIfLj2EEffffjfiS5_IjLj3EEiiiiiiiiiiiliiliiiiil
                                        ; -- End function
	.section	.AMDGPU.csdata,"",@progbits
; Kernel info:
; codeLenInByte = 40
; NumSgprs: 40
; NumVgprs: 39
; NumAgprs: 0
; TotalNumVgprs: 39
; ScratchSize: 16
; MemoryBound: 0
; FloatMode: 240
; IeeeMode: 1
; LDSByteSize: 0 bytes/workgroup (compile time only)
; SGPRBlocks: 4
; VGPRBlocks: 4
; NumSGPRsForWavesPerEU: 40
; NumVGPRsForWavesPerEU: 39
; AccumOffset: 40
; Occupancy: 8
; WaveLimiterHint : 1
; COMPUTE_PGM_RSRC2:SCRATCH_EN: 1
; COMPUTE_PGM_RSRC2:USER_SGPR: 2
; COMPUTE_PGM_RSRC2:TRAP_HANDLER: 0
; COMPUTE_PGM_RSRC2:TGID_X_EN: 1
; COMPUTE_PGM_RSRC2:TGID_Y_EN: 0
; COMPUTE_PGM_RSRC2:TGID_Z_EN: 0
; COMPUTE_PGM_RSRC2:TIDIG_COMP_CNT: 0
; COMPUTE_PGM_RSRC3_GFX90A:ACCUM_OFFSET: 9
; COMPUTE_PGM_RSRC3_GFX90A:TG_SPLIT: 0
	.section	.text._ZL15flash_attn_tileILi112ELi112ELi4ELi4ELb1EEvPKcS1_S1_S1_S1_PKiPfP15HIP_vector_typeIfLj2EEffffjfiS5_IjLj3EEiiiiiiiiiiiliiliiiiil,"axG",@progbits,_ZL15flash_attn_tileILi112ELi112ELi4ELi4ELb1EEvPKcS1_S1_S1_S1_PKiPfP15HIP_vector_typeIfLj2EEffffjfiS5_IjLj3EEiiiiiiiiiiiliiliiiiil,comdat
	.globl	_ZL15flash_attn_tileILi112ELi112ELi4ELi4ELb1EEvPKcS1_S1_S1_S1_PKiPfP15HIP_vector_typeIfLj2EEffffjfiS5_IjLj3EEiiiiiiiiiiiliiliiiiil ; -- Begin function _ZL15flash_attn_tileILi112ELi112ELi4ELi4ELb1EEvPKcS1_S1_S1_S1_PKiPfP15HIP_vector_typeIfLj2EEffffjfiS5_IjLj3EEiiiiiiiiiiiliiliiiiil
	.p2align	8
	.type	_ZL15flash_attn_tileILi112ELi112ELi4ELi4ELb1EEvPKcS1_S1_S1_S1_PKiPfP15HIP_vector_typeIfLj2EEffffjfiS5_IjLj3EEiiiiiiiiiiiliiliiiiil,@function
_ZL15flash_attn_tileILi112ELi112ELi4ELi4ELb1EEvPKcS1_S1_S1_S1_PKiPfP15HIP_vector_typeIfLj2EEffffjfiS5_IjLj3EEiiiiiiiiiiiliiliiiiil: ; @_ZL15flash_attn_tileILi112ELi112ELi4ELi4ELb1EEvPKcS1_S1_S1_S1_PKiPfP15HIP_vector_typeIfLj2EEffffjfiS5_IjLj3EEiiiiiiiiiiiliiliiiiil
; %bb.0:
	s_add_u32 s8, s0, 0xd0
	s_addc_u32 s9, s1, 0
	s_mov_b32 s32, 0
	s_getpc_b64 s[0:1]
	s_add_u32 s0, s0, _ZL14no_device_codePKciS0_iS0_@rel32@lo+4
	s_addc_u32 s1, s1, _ZL14no_device_codePKciS0_iS0_@rel32@hi+12
	s_swappc_b64 s[30:31], s[0:1]
	.section	.rodata,"a",@progbits
	.p2align	6, 0x0
	.amdhsa_kernel _ZL15flash_attn_tileILi112ELi112ELi4ELi4ELb1EEvPKcS1_S1_S1_S1_PKiPfP15HIP_vector_typeIfLj2EEffffjfiS5_IjLj3EEiiiiiiiiiiiliiliiiiil
		.amdhsa_group_segment_fixed_size 0
		.amdhsa_private_segment_fixed_size 16
		.amdhsa_kernarg_size 464
		.amdhsa_user_sgpr_count 2
		.amdhsa_user_sgpr_dispatch_ptr 0
		.amdhsa_user_sgpr_queue_ptr 0
		.amdhsa_user_sgpr_kernarg_segment_ptr 1
		.amdhsa_user_sgpr_dispatch_id 0
		.amdhsa_user_sgpr_kernarg_preload_length 0
		.amdhsa_user_sgpr_kernarg_preload_offset 0
		.amdhsa_user_sgpr_private_segment_size 0
		.amdhsa_uses_dynamic_stack 0
		.amdhsa_enable_private_segment 1
		.amdhsa_system_sgpr_workgroup_id_x 1
		.amdhsa_system_sgpr_workgroup_id_y 0
		.amdhsa_system_sgpr_workgroup_id_z 0
		.amdhsa_system_sgpr_workgroup_info 0
		.amdhsa_system_vgpr_workitem_id 0
		.amdhsa_next_free_vgpr 39
		.amdhsa_next_free_sgpr 34
		.amdhsa_accum_offset 40
		.amdhsa_reserve_vcc 1
		.amdhsa_float_round_mode_32 0
		.amdhsa_float_round_mode_16_64 0
		.amdhsa_float_denorm_mode_32 3
		.amdhsa_float_denorm_mode_16_64 3
		.amdhsa_dx10_clamp 1
		.amdhsa_ieee_mode 1
		.amdhsa_fp16_overflow 0
		.amdhsa_tg_split 0
		.amdhsa_exception_fp_ieee_invalid_op 0
		.amdhsa_exception_fp_denorm_src 0
		.amdhsa_exception_fp_ieee_div_zero 0
		.amdhsa_exception_fp_ieee_overflow 0
		.amdhsa_exception_fp_ieee_underflow 0
		.amdhsa_exception_fp_ieee_inexact 0
		.amdhsa_exception_int_div_zero 0
	.end_amdhsa_kernel
	.section	.text._ZL15flash_attn_tileILi112ELi112ELi4ELi4ELb1EEvPKcS1_S1_S1_S1_PKiPfP15HIP_vector_typeIfLj2EEffffjfiS5_IjLj3EEiiiiiiiiiiiliiliiiiil,"axG",@progbits,_ZL15flash_attn_tileILi112ELi112ELi4ELi4ELb1EEvPKcS1_S1_S1_S1_PKiPfP15HIP_vector_typeIfLj2EEffffjfiS5_IjLj3EEiiiiiiiiiiiliiliiiiil,comdat
.Lfunc_end80:
	.size	_ZL15flash_attn_tileILi112ELi112ELi4ELi4ELb1EEvPKcS1_S1_S1_S1_PKiPfP15HIP_vector_typeIfLj2EEffffjfiS5_IjLj3EEiiiiiiiiiiiliiliiiiil, .Lfunc_end80-_ZL15flash_attn_tileILi112ELi112ELi4ELi4ELb1EEvPKcS1_S1_S1_S1_PKiPfP15HIP_vector_typeIfLj2EEffffjfiS5_IjLj3EEiiiiiiiiiiiliiliiiiil
                                        ; -- End function
	.section	.AMDGPU.csdata,"",@progbits
; Kernel info:
; codeLenInByte = 40
; NumSgprs: 40
; NumVgprs: 39
; NumAgprs: 0
; TotalNumVgprs: 39
; ScratchSize: 16
; MemoryBound: 0
; FloatMode: 240
; IeeeMode: 1
; LDSByteSize: 0 bytes/workgroup (compile time only)
; SGPRBlocks: 4
; VGPRBlocks: 4
; NumSGPRsForWavesPerEU: 40
; NumVGPRsForWavesPerEU: 39
; AccumOffset: 40
; Occupancy: 8
; WaveLimiterHint : 1
; COMPUTE_PGM_RSRC2:SCRATCH_EN: 1
; COMPUTE_PGM_RSRC2:USER_SGPR: 2
; COMPUTE_PGM_RSRC2:TRAP_HANDLER: 0
; COMPUTE_PGM_RSRC2:TGID_X_EN: 1
; COMPUTE_PGM_RSRC2:TGID_Y_EN: 0
; COMPUTE_PGM_RSRC2:TGID_Z_EN: 0
; COMPUTE_PGM_RSRC2:TIDIG_COMP_CNT: 0
; COMPUTE_PGM_RSRC3_GFX90A:ACCUM_OFFSET: 9
; COMPUTE_PGM_RSRC3_GFX90A:TG_SPLIT: 0
	.section	.text._ZL15flash_attn_tileILi112ELi112ELi2ELi4ELb1EEvPKcS1_S1_S1_S1_PKiPfP15HIP_vector_typeIfLj2EEffffjfiS5_IjLj3EEiiiiiiiiiiiliiliiiiil,"axG",@progbits,_ZL15flash_attn_tileILi112ELi112ELi2ELi4ELb1EEvPKcS1_S1_S1_S1_PKiPfP15HIP_vector_typeIfLj2EEffffjfiS5_IjLj3EEiiiiiiiiiiiliiliiiiil,comdat
	.globl	_ZL15flash_attn_tileILi112ELi112ELi2ELi4ELb1EEvPKcS1_S1_S1_S1_PKiPfP15HIP_vector_typeIfLj2EEffffjfiS5_IjLj3EEiiiiiiiiiiiliiliiiiil ; -- Begin function _ZL15flash_attn_tileILi112ELi112ELi2ELi4ELb1EEvPKcS1_S1_S1_S1_PKiPfP15HIP_vector_typeIfLj2EEffffjfiS5_IjLj3EEiiiiiiiiiiiliiliiiiil
	.p2align	8
	.type	_ZL15flash_attn_tileILi112ELi112ELi2ELi4ELb1EEvPKcS1_S1_S1_S1_PKiPfP15HIP_vector_typeIfLj2EEffffjfiS5_IjLj3EEiiiiiiiiiiiliiliiiiil,@function
_ZL15flash_attn_tileILi112ELi112ELi2ELi4ELb1EEvPKcS1_S1_S1_S1_PKiPfP15HIP_vector_typeIfLj2EEffffjfiS5_IjLj3EEiiiiiiiiiiiliiliiiiil: ; @_ZL15flash_attn_tileILi112ELi112ELi2ELi4ELb1EEvPKcS1_S1_S1_S1_PKiPfP15HIP_vector_typeIfLj2EEffffjfiS5_IjLj3EEiiiiiiiiiiiliiliiiiil
; %bb.0:
	s_add_u32 s8, s0, 0xd0
	s_addc_u32 s9, s1, 0
	s_mov_b32 s32, 0
	s_getpc_b64 s[0:1]
	s_add_u32 s0, s0, _ZL14no_device_codePKciS0_iS0_@rel32@lo+4
	s_addc_u32 s1, s1, _ZL14no_device_codePKciS0_iS0_@rel32@hi+12
	s_swappc_b64 s[30:31], s[0:1]
	.section	.rodata,"a",@progbits
	.p2align	6, 0x0
	.amdhsa_kernel _ZL15flash_attn_tileILi112ELi112ELi2ELi4ELb1EEvPKcS1_S1_S1_S1_PKiPfP15HIP_vector_typeIfLj2EEffffjfiS5_IjLj3EEiiiiiiiiiiiliiliiiiil
		.amdhsa_group_segment_fixed_size 0
		.amdhsa_private_segment_fixed_size 16
		.amdhsa_kernarg_size 464
		.amdhsa_user_sgpr_count 2
		.amdhsa_user_sgpr_dispatch_ptr 0
		.amdhsa_user_sgpr_queue_ptr 0
		.amdhsa_user_sgpr_kernarg_segment_ptr 1
		.amdhsa_user_sgpr_dispatch_id 0
		.amdhsa_user_sgpr_kernarg_preload_length 0
		.amdhsa_user_sgpr_kernarg_preload_offset 0
		.amdhsa_user_sgpr_private_segment_size 0
		.amdhsa_uses_dynamic_stack 0
		.amdhsa_enable_private_segment 1
		.amdhsa_system_sgpr_workgroup_id_x 1
		.amdhsa_system_sgpr_workgroup_id_y 0
		.amdhsa_system_sgpr_workgroup_id_z 0
		.amdhsa_system_sgpr_workgroup_info 0
		.amdhsa_system_vgpr_workitem_id 0
		.amdhsa_next_free_vgpr 39
		.amdhsa_next_free_sgpr 34
		.amdhsa_accum_offset 40
		.amdhsa_reserve_vcc 1
		.amdhsa_float_round_mode_32 0
		.amdhsa_float_round_mode_16_64 0
		.amdhsa_float_denorm_mode_32 3
		.amdhsa_float_denorm_mode_16_64 3
		.amdhsa_dx10_clamp 1
		.amdhsa_ieee_mode 1
		.amdhsa_fp16_overflow 0
		.amdhsa_tg_split 0
		.amdhsa_exception_fp_ieee_invalid_op 0
		.amdhsa_exception_fp_denorm_src 0
		.amdhsa_exception_fp_ieee_div_zero 0
		.amdhsa_exception_fp_ieee_overflow 0
		.amdhsa_exception_fp_ieee_underflow 0
		.amdhsa_exception_fp_ieee_inexact 0
		.amdhsa_exception_int_div_zero 0
	.end_amdhsa_kernel
	.section	.text._ZL15flash_attn_tileILi112ELi112ELi2ELi4ELb1EEvPKcS1_S1_S1_S1_PKiPfP15HIP_vector_typeIfLj2EEffffjfiS5_IjLj3EEiiiiiiiiiiiliiliiiiil,"axG",@progbits,_ZL15flash_attn_tileILi112ELi112ELi2ELi4ELb1EEvPKcS1_S1_S1_S1_PKiPfP15HIP_vector_typeIfLj2EEffffjfiS5_IjLj3EEiiiiiiiiiiiliiliiiiil,comdat
.Lfunc_end81:
	.size	_ZL15flash_attn_tileILi112ELi112ELi2ELi4ELb1EEvPKcS1_S1_S1_S1_PKiPfP15HIP_vector_typeIfLj2EEffffjfiS5_IjLj3EEiiiiiiiiiiiliiliiiiil, .Lfunc_end81-_ZL15flash_attn_tileILi112ELi112ELi2ELi4ELb1EEvPKcS1_S1_S1_S1_PKiPfP15HIP_vector_typeIfLj2EEffffjfiS5_IjLj3EEiiiiiiiiiiiliiliiiiil
                                        ; -- End function
	.section	.AMDGPU.csdata,"",@progbits
; Kernel info:
; codeLenInByte = 40
; NumSgprs: 40
; NumVgprs: 39
; NumAgprs: 0
; TotalNumVgprs: 39
; ScratchSize: 16
; MemoryBound: 0
; FloatMode: 240
; IeeeMode: 1
; LDSByteSize: 0 bytes/workgroup (compile time only)
; SGPRBlocks: 4
; VGPRBlocks: 4
; NumSGPRsForWavesPerEU: 40
; NumVGPRsForWavesPerEU: 39
; AccumOffset: 40
; Occupancy: 8
; WaveLimiterHint : 1
; COMPUTE_PGM_RSRC2:SCRATCH_EN: 1
; COMPUTE_PGM_RSRC2:USER_SGPR: 2
; COMPUTE_PGM_RSRC2:TRAP_HANDLER: 0
; COMPUTE_PGM_RSRC2:TGID_X_EN: 1
; COMPUTE_PGM_RSRC2:TGID_Y_EN: 0
; COMPUTE_PGM_RSRC2:TGID_Z_EN: 0
; COMPUTE_PGM_RSRC2:TIDIG_COMP_CNT: 0
; COMPUTE_PGM_RSRC3_GFX90A:ACCUM_OFFSET: 9
; COMPUTE_PGM_RSRC3_GFX90A:TG_SPLIT: 0
	.section	.text._ZL15flash_attn_tileILi112ELi112ELi1ELi4ELb1EEvPKcS1_S1_S1_S1_PKiPfP15HIP_vector_typeIfLj2EEffffjfiS5_IjLj3EEiiiiiiiiiiiliiliiiiil,"axG",@progbits,_ZL15flash_attn_tileILi112ELi112ELi1ELi4ELb1EEvPKcS1_S1_S1_S1_PKiPfP15HIP_vector_typeIfLj2EEffffjfiS5_IjLj3EEiiiiiiiiiiiliiliiiiil,comdat
	.globl	_ZL15flash_attn_tileILi112ELi112ELi1ELi4ELb1EEvPKcS1_S1_S1_S1_PKiPfP15HIP_vector_typeIfLj2EEffffjfiS5_IjLj3EEiiiiiiiiiiiliiliiiiil ; -- Begin function _ZL15flash_attn_tileILi112ELi112ELi1ELi4ELb1EEvPKcS1_S1_S1_S1_PKiPfP15HIP_vector_typeIfLj2EEffffjfiS5_IjLj3EEiiiiiiiiiiiliiliiiiil
	.p2align	8
	.type	_ZL15flash_attn_tileILi112ELi112ELi1ELi4ELb1EEvPKcS1_S1_S1_S1_PKiPfP15HIP_vector_typeIfLj2EEffffjfiS5_IjLj3EEiiiiiiiiiiiliiliiiiil,@function
_ZL15flash_attn_tileILi112ELi112ELi1ELi4ELb1EEvPKcS1_S1_S1_S1_PKiPfP15HIP_vector_typeIfLj2EEffffjfiS5_IjLj3EEiiiiiiiiiiiliiliiiiil: ; @_ZL15flash_attn_tileILi112ELi112ELi1ELi4ELb1EEvPKcS1_S1_S1_S1_PKiPfP15HIP_vector_typeIfLj2EEffffjfiS5_IjLj3EEiiiiiiiiiiiliiliiiiil
; %bb.0:
	s_add_u32 s8, s0, 0xd0
	s_addc_u32 s9, s1, 0
	s_mov_b32 s32, 0
	s_getpc_b64 s[0:1]
	s_add_u32 s0, s0, _ZL14no_device_codePKciS0_iS0_@rel32@lo+4
	s_addc_u32 s1, s1, _ZL14no_device_codePKciS0_iS0_@rel32@hi+12
	s_swappc_b64 s[30:31], s[0:1]
	.section	.rodata,"a",@progbits
	.p2align	6, 0x0
	.amdhsa_kernel _ZL15flash_attn_tileILi112ELi112ELi1ELi4ELb1EEvPKcS1_S1_S1_S1_PKiPfP15HIP_vector_typeIfLj2EEffffjfiS5_IjLj3EEiiiiiiiiiiiliiliiiiil
		.amdhsa_group_segment_fixed_size 0
		.amdhsa_private_segment_fixed_size 16
		.amdhsa_kernarg_size 464
		.amdhsa_user_sgpr_count 2
		.amdhsa_user_sgpr_dispatch_ptr 0
		.amdhsa_user_sgpr_queue_ptr 0
		.amdhsa_user_sgpr_kernarg_segment_ptr 1
		.amdhsa_user_sgpr_dispatch_id 0
		.amdhsa_user_sgpr_kernarg_preload_length 0
		.amdhsa_user_sgpr_kernarg_preload_offset 0
		.amdhsa_user_sgpr_private_segment_size 0
		.amdhsa_uses_dynamic_stack 0
		.amdhsa_enable_private_segment 1
		.amdhsa_system_sgpr_workgroup_id_x 1
		.amdhsa_system_sgpr_workgroup_id_y 0
		.amdhsa_system_sgpr_workgroup_id_z 0
		.amdhsa_system_sgpr_workgroup_info 0
		.amdhsa_system_vgpr_workitem_id 0
		.amdhsa_next_free_vgpr 39
		.amdhsa_next_free_sgpr 34
		.amdhsa_accum_offset 40
		.amdhsa_reserve_vcc 1
		.amdhsa_float_round_mode_32 0
		.amdhsa_float_round_mode_16_64 0
		.amdhsa_float_denorm_mode_32 3
		.amdhsa_float_denorm_mode_16_64 3
		.amdhsa_dx10_clamp 1
		.amdhsa_ieee_mode 1
		.amdhsa_fp16_overflow 0
		.amdhsa_tg_split 0
		.amdhsa_exception_fp_ieee_invalid_op 0
		.amdhsa_exception_fp_denorm_src 0
		.amdhsa_exception_fp_ieee_div_zero 0
		.amdhsa_exception_fp_ieee_overflow 0
		.amdhsa_exception_fp_ieee_underflow 0
		.amdhsa_exception_fp_ieee_inexact 0
		.amdhsa_exception_int_div_zero 0
	.end_amdhsa_kernel
	.section	.text._ZL15flash_attn_tileILi112ELi112ELi1ELi4ELb1EEvPKcS1_S1_S1_S1_PKiPfP15HIP_vector_typeIfLj2EEffffjfiS5_IjLj3EEiiiiiiiiiiiliiliiiiil,"axG",@progbits,_ZL15flash_attn_tileILi112ELi112ELi1ELi4ELb1EEvPKcS1_S1_S1_S1_PKiPfP15HIP_vector_typeIfLj2EEffffjfiS5_IjLj3EEiiiiiiiiiiiliiliiiiil,comdat
.Lfunc_end82:
	.size	_ZL15flash_attn_tileILi112ELi112ELi1ELi4ELb1EEvPKcS1_S1_S1_S1_PKiPfP15HIP_vector_typeIfLj2EEffffjfiS5_IjLj3EEiiiiiiiiiiiliiliiiiil, .Lfunc_end82-_ZL15flash_attn_tileILi112ELi112ELi1ELi4ELb1EEvPKcS1_S1_S1_S1_PKiPfP15HIP_vector_typeIfLj2EEffffjfiS5_IjLj3EEiiiiiiiiiiiliiliiiiil
                                        ; -- End function
	.section	.AMDGPU.csdata,"",@progbits
; Kernel info:
; codeLenInByte = 40
; NumSgprs: 40
; NumVgprs: 39
; NumAgprs: 0
; TotalNumVgprs: 39
; ScratchSize: 16
; MemoryBound: 0
; FloatMode: 240
; IeeeMode: 1
; LDSByteSize: 0 bytes/workgroup (compile time only)
; SGPRBlocks: 4
; VGPRBlocks: 4
; NumSGPRsForWavesPerEU: 40
; NumVGPRsForWavesPerEU: 39
; AccumOffset: 40
; Occupancy: 8
; WaveLimiterHint : 1
; COMPUTE_PGM_RSRC2:SCRATCH_EN: 1
; COMPUTE_PGM_RSRC2:USER_SGPR: 2
; COMPUTE_PGM_RSRC2:TRAP_HANDLER: 0
; COMPUTE_PGM_RSRC2:TGID_X_EN: 1
; COMPUTE_PGM_RSRC2:TGID_Y_EN: 0
; COMPUTE_PGM_RSRC2:TGID_Z_EN: 0
; COMPUTE_PGM_RSRC2:TIDIG_COMP_CNT: 0
; COMPUTE_PGM_RSRC3_GFX90A:ACCUM_OFFSET: 9
; COMPUTE_PGM_RSRC3_GFX90A:TG_SPLIT: 0
	.section	.text._ZL15flash_attn_tileILi112ELi112ELi32ELi2ELb1EEvPKcS1_S1_S1_S1_PKiPfP15HIP_vector_typeIfLj2EEffffjfiS5_IjLj3EEiiiiiiiiiiiliiliiiiil,"axG",@progbits,_ZL15flash_attn_tileILi112ELi112ELi32ELi2ELb1EEvPKcS1_S1_S1_S1_PKiPfP15HIP_vector_typeIfLj2EEffffjfiS5_IjLj3EEiiiiiiiiiiiliiliiiiil,comdat
	.globl	_ZL15flash_attn_tileILi112ELi112ELi32ELi2ELb1EEvPKcS1_S1_S1_S1_PKiPfP15HIP_vector_typeIfLj2EEffffjfiS5_IjLj3EEiiiiiiiiiiiliiliiiiil ; -- Begin function _ZL15flash_attn_tileILi112ELi112ELi32ELi2ELb1EEvPKcS1_S1_S1_S1_PKiPfP15HIP_vector_typeIfLj2EEffffjfiS5_IjLj3EEiiiiiiiiiiiliiliiiiil
	.p2align	8
	.type	_ZL15flash_attn_tileILi112ELi112ELi32ELi2ELb1EEvPKcS1_S1_S1_S1_PKiPfP15HIP_vector_typeIfLj2EEffffjfiS5_IjLj3EEiiiiiiiiiiiliiliiiiil,@function
_ZL15flash_attn_tileILi112ELi112ELi32ELi2ELb1EEvPKcS1_S1_S1_S1_PKiPfP15HIP_vector_typeIfLj2EEffffjfiS5_IjLj3EEiiiiiiiiiiiliiliiiiil: ; @_ZL15flash_attn_tileILi112ELi112ELi32ELi2ELb1EEvPKcS1_S1_S1_S1_PKiPfP15HIP_vector_typeIfLj2EEffffjfiS5_IjLj3EEiiiiiiiiiiiliiliiiiil
; %bb.0:
	s_add_u32 s8, s0, 0xd0
	s_addc_u32 s9, s1, 0
	s_mov_b32 s32, 0
	s_getpc_b64 s[0:1]
	s_add_u32 s0, s0, _ZL14no_device_codePKciS0_iS0_@rel32@lo+4
	s_addc_u32 s1, s1, _ZL14no_device_codePKciS0_iS0_@rel32@hi+12
	s_swappc_b64 s[30:31], s[0:1]
	.section	.rodata,"a",@progbits
	.p2align	6, 0x0
	.amdhsa_kernel _ZL15flash_attn_tileILi112ELi112ELi32ELi2ELb1EEvPKcS1_S1_S1_S1_PKiPfP15HIP_vector_typeIfLj2EEffffjfiS5_IjLj3EEiiiiiiiiiiiliiliiiiil
		.amdhsa_group_segment_fixed_size 0
		.amdhsa_private_segment_fixed_size 16
		.amdhsa_kernarg_size 464
		.amdhsa_user_sgpr_count 2
		.amdhsa_user_sgpr_dispatch_ptr 0
		.amdhsa_user_sgpr_queue_ptr 0
		.amdhsa_user_sgpr_kernarg_segment_ptr 1
		.amdhsa_user_sgpr_dispatch_id 0
		.amdhsa_user_sgpr_kernarg_preload_length 0
		.amdhsa_user_sgpr_kernarg_preload_offset 0
		.amdhsa_user_sgpr_private_segment_size 0
		.amdhsa_uses_dynamic_stack 0
		.amdhsa_enable_private_segment 1
		.amdhsa_system_sgpr_workgroup_id_x 1
		.amdhsa_system_sgpr_workgroup_id_y 0
		.amdhsa_system_sgpr_workgroup_id_z 0
		.amdhsa_system_sgpr_workgroup_info 0
		.amdhsa_system_vgpr_workitem_id 0
		.amdhsa_next_free_vgpr 39
		.amdhsa_next_free_sgpr 34
		.amdhsa_accum_offset 40
		.amdhsa_reserve_vcc 1
		.amdhsa_float_round_mode_32 0
		.amdhsa_float_round_mode_16_64 0
		.amdhsa_float_denorm_mode_32 3
		.amdhsa_float_denorm_mode_16_64 3
		.amdhsa_dx10_clamp 1
		.amdhsa_ieee_mode 1
		.amdhsa_fp16_overflow 0
		.amdhsa_tg_split 0
		.amdhsa_exception_fp_ieee_invalid_op 0
		.amdhsa_exception_fp_denorm_src 0
		.amdhsa_exception_fp_ieee_div_zero 0
		.amdhsa_exception_fp_ieee_overflow 0
		.amdhsa_exception_fp_ieee_underflow 0
		.amdhsa_exception_fp_ieee_inexact 0
		.amdhsa_exception_int_div_zero 0
	.end_amdhsa_kernel
	.section	.text._ZL15flash_attn_tileILi112ELi112ELi32ELi2ELb1EEvPKcS1_S1_S1_S1_PKiPfP15HIP_vector_typeIfLj2EEffffjfiS5_IjLj3EEiiiiiiiiiiiliiliiiiil,"axG",@progbits,_ZL15flash_attn_tileILi112ELi112ELi32ELi2ELb1EEvPKcS1_S1_S1_S1_PKiPfP15HIP_vector_typeIfLj2EEffffjfiS5_IjLj3EEiiiiiiiiiiiliiliiiiil,comdat
.Lfunc_end83:
	.size	_ZL15flash_attn_tileILi112ELi112ELi32ELi2ELb1EEvPKcS1_S1_S1_S1_PKiPfP15HIP_vector_typeIfLj2EEffffjfiS5_IjLj3EEiiiiiiiiiiiliiliiiiil, .Lfunc_end83-_ZL15flash_attn_tileILi112ELi112ELi32ELi2ELb1EEvPKcS1_S1_S1_S1_PKiPfP15HIP_vector_typeIfLj2EEffffjfiS5_IjLj3EEiiiiiiiiiiiliiliiiiil
                                        ; -- End function
	.section	.AMDGPU.csdata,"",@progbits
; Kernel info:
; codeLenInByte = 40
; NumSgprs: 40
; NumVgprs: 39
; NumAgprs: 0
; TotalNumVgprs: 39
; ScratchSize: 16
; MemoryBound: 0
; FloatMode: 240
; IeeeMode: 1
; LDSByteSize: 0 bytes/workgroup (compile time only)
; SGPRBlocks: 4
; VGPRBlocks: 4
; NumSGPRsForWavesPerEU: 40
; NumVGPRsForWavesPerEU: 39
; AccumOffset: 40
; Occupancy: 8
; WaveLimiterHint : 1
; COMPUTE_PGM_RSRC2:SCRATCH_EN: 1
; COMPUTE_PGM_RSRC2:USER_SGPR: 2
; COMPUTE_PGM_RSRC2:TRAP_HANDLER: 0
; COMPUTE_PGM_RSRC2:TGID_X_EN: 1
; COMPUTE_PGM_RSRC2:TGID_Y_EN: 0
; COMPUTE_PGM_RSRC2:TGID_Z_EN: 0
; COMPUTE_PGM_RSRC2:TIDIG_COMP_CNT: 0
; COMPUTE_PGM_RSRC3_GFX90A:ACCUM_OFFSET: 9
; COMPUTE_PGM_RSRC3_GFX90A:TG_SPLIT: 0
	.section	.text._ZL15flash_attn_tileILi112ELi112ELi16ELi2ELb1EEvPKcS1_S1_S1_S1_PKiPfP15HIP_vector_typeIfLj2EEffffjfiS5_IjLj3EEiiiiiiiiiiiliiliiiiil,"axG",@progbits,_ZL15flash_attn_tileILi112ELi112ELi16ELi2ELb1EEvPKcS1_S1_S1_S1_PKiPfP15HIP_vector_typeIfLj2EEffffjfiS5_IjLj3EEiiiiiiiiiiiliiliiiiil,comdat
	.globl	_ZL15flash_attn_tileILi112ELi112ELi16ELi2ELb1EEvPKcS1_S1_S1_S1_PKiPfP15HIP_vector_typeIfLj2EEffffjfiS5_IjLj3EEiiiiiiiiiiiliiliiiiil ; -- Begin function _ZL15flash_attn_tileILi112ELi112ELi16ELi2ELb1EEvPKcS1_S1_S1_S1_PKiPfP15HIP_vector_typeIfLj2EEffffjfiS5_IjLj3EEiiiiiiiiiiiliiliiiiil
	.p2align	8
	.type	_ZL15flash_attn_tileILi112ELi112ELi16ELi2ELb1EEvPKcS1_S1_S1_S1_PKiPfP15HIP_vector_typeIfLj2EEffffjfiS5_IjLj3EEiiiiiiiiiiiliiliiiiil,@function
_ZL15flash_attn_tileILi112ELi112ELi16ELi2ELb1EEvPKcS1_S1_S1_S1_PKiPfP15HIP_vector_typeIfLj2EEffffjfiS5_IjLj3EEiiiiiiiiiiiliiliiiiil: ; @_ZL15flash_attn_tileILi112ELi112ELi16ELi2ELb1EEvPKcS1_S1_S1_S1_PKiPfP15HIP_vector_typeIfLj2EEffffjfiS5_IjLj3EEiiiiiiiiiiiliiliiiiil
; %bb.0:
	s_add_u32 s8, s0, 0xd0
	s_addc_u32 s9, s1, 0
	s_mov_b32 s32, 0
	s_getpc_b64 s[0:1]
	s_add_u32 s0, s0, _ZL14no_device_codePKciS0_iS0_@rel32@lo+4
	s_addc_u32 s1, s1, _ZL14no_device_codePKciS0_iS0_@rel32@hi+12
	s_swappc_b64 s[30:31], s[0:1]
	.section	.rodata,"a",@progbits
	.p2align	6, 0x0
	.amdhsa_kernel _ZL15flash_attn_tileILi112ELi112ELi16ELi2ELb1EEvPKcS1_S1_S1_S1_PKiPfP15HIP_vector_typeIfLj2EEffffjfiS5_IjLj3EEiiiiiiiiiiiliiliiiiil
		.amdhsa_group_segment_fixed_size 0
		.amdhsa_private_segment_fixed_size 16
		.amdhsa_kernarg_size 464
		.amdhsa_user_sgpr_count 2
		.amdhsa_user_sgpr_dispatch_ptr 0
		.amdhsa_user_sgpr_queue_ptr 0
		.amdhsa_user_sgpr_kernarg_segment_ptr 1
		.amdhsa_user_sgpr_dispatch_id 0
		.amdhsa_user_sgpr_kernarg_preload_length 0
		.amdhsa_user_sgpr_kernarg_preload_offset 0
		.amdhsa_user_sgpr_private_segment_size 0
		.amdhsa_uses_dynamic_stack 0
		.amdhsa_enable_private_segment 1
		.amdhsa_system_sgpr_workgroup_id_x 1
		.amdhsa_system_sgpr_workgroup_id_y 0
		.amdhsa_system_sgpr_workgroup_id_z 0
		.amdhsa_system_sgpr_workgroup_info 0
		.amdhsa_system_vgpr_workitem_id 0
		.amdhsa_next_free_vgpr 39
		.amdhsa_next_free_sgpr 34
		.amdhsa_accum_offset 40
		.amdhsa_reserve_vcc 1
		.amdhsa_float_round_mode_32 0
		.amdhsa_float_round_mode_16_64 0
		.amdhsa_float_denorm_mode_32 3
		.amdhsa_float_denorm_mode_16_64 3
		.amdhsa_dx10_clamp 1
		.amdhsa_ieee_mode 1
		.amdhsa_fp16_overflow 0
		.amdhsa_tg_split 0
		.amdhsa_exception_fp_ieee_invalid_op 0
		.amdhsa_exception_fp_denorm_src 0
		.amdhsa_exception_fp_ieee_div_zero 0
		.amdhsa_exception_fp_ieee_overflow 0
		.amdhsa_exception_fp_ieee_underflow 0
		.amdhsa_exception_fp_ieee_inexact 0
		.amdhsa_exception_int_div_zero 0
	.end_amdhsa_kernel
	.section	.text._ZL15flash_attn_tileILi112ELi112ELi16ELi2ELb1EEvPKcS1_S1_S1_S1_PKiPfP15HIP_vector_typeIfLj2EEffffjfiS5_IjLj3EEiiiiiiiiiiiliiliiiiil,"axG",@progbits,_ZL15flash_attn_tileILi112ELi112ELi16ELi2ELb1EEvPKcS1_S1_S1_S1_PKiPfP15HIP_vector_typeIfLj2EEffffjfiS5_IjLj3EEiiiiiiiiiiiliiliiiiil,comdat
.Lfunc_end84:
	.size	_ZL15flash_attn_tileILi112ELi112ELi16ELi2ELb1EEvPKcS1_S1_S1_S1_PKiPfP15HIP_vector_typeIfLj2EEffffjfiS5_IjLj3EEiiiiiiiiiiiliiliiiiil, .Lfunc_end84-_ZL15flash_attn_tileILi112ELi112ELi16ELi2ELb1EEvPKcS1_S1_S1_S1_PKiPfP15HIP_vector_typeIfLj2EEffffjfiS5_IjLj3EEiiiiiiiiiiiliiliiiiil
                                        ; -- End function
	.section	.AMDGPU.csdata,"",@progbits
; Kernel info:
; codeLenInByte = 40
; NumSgprs: 40
; NumVgprs: 39
; NumAgprs: 0
; TotalNumVgprs: 39
; ScratchSize: 16
; MemoryBound: 0
; FloatMode: 240
; IeeeMode: 1
; LDSByteSize: 0 bytes/workgroup (compile time only)
; SGPRBlocks: 4
; VGPRBlocks: 4
; NumSGPRsForWavesPerEU: 40
; NumVGPRsForWavesPerEU: 39
; AccumOffset: 40
; Occupancy: 8
; WaveLimiterHint : 1
; COMPUTE_PGM_RSRC2:SCRATCH_EN: 1
; COMPUTE_PGM_RSRC2:USER_SGPR: 2
; COMPUTE_PGM_RSRC2:TRAP_HANDLER: 0
; COMPUTE_PGM_RSRC2:TGID_X_EN: 1
; COMPUTE_PGM_RSRC2:TGID_Y_EN: 0
; COMPUTE_PGM_RSRC2:TGID_Z_EN: 0
; COMPUTE_PGM_RSRC2:TIDIG_COMP_CNT: 0
; COMPUTE_PGM_RSRC3_GFX90A:ACCUM_OFFSET: 9
; COMPUTE_PGM_RSRC3_GFX90A:TG_SPLIT: 0
	.section	.text._ZL15flash_attn_tileILi112ELi112ELi8ELi2ELb1EEvPKcS1_S1_S1_S1_PKiPfP15HIP_vector_typeIfLj2EEffffjfiS5_IjLj3EEiiiiiiiiiiiliiliiiiil,"axG",@progbits,_ZL15flash_attn_tileILi112ELi112ELi8ELi2ELb1EEvPKcS1_S1_S1_S1_PKiPfP15HIP_vector_typeIfLj2EEffffjfiS5_IjLj3EEiiiiiiiiiiiliiliiiiil,comdat
	.globl	_ZL15flash_attn_tileILi112ELi112ELi8ELi2ELb1EEvPKcS1_S1_S1_S1_PKiPfP15HIP_vector_typeIfLj2EEffffjfiS5_IjLj3EEiiiiiiiiiiiliiliiiiil ; -- Begin function _ZL15flash_attn_tileILi112ELi112ELi8ELi2ELb1EEvPKcS1_S1_S1_S1_PKiPfP15HIP_vector_typeIfLj2EEffffjfiS5_IjLj3EEiiiiiiiiiiiliiliiiiil
	.p2align	8
	.type	_ZL15flash_attn_tileILi112ELi112ELi8ELi2ELb1EEvPKcS1_S1_S1_S1_PKiPfP15HIP_vector_typeIfLj2EEffffjfiS5_IjLj3EEiiiiiiiiiiiliiliiiiil,@function
_ZL15flash_attn_tileILi112ELi112ELi8ELi2ELb1EEvPKcS1_S1_S1_S1_PKiPfP15HIP_vector_typeIfLj2EEffffjfiS5_IjLj3EEiiiiiiiiiiiliiliiiiil: ; @_ZL15flash_attn_tileILi112ELi112ELi8ELi2ELb1EEvPKcS1_S1_S1_S1_PKiPfP15HIP_vector_typeIfLj2EEffffjfiS5_IjLj3EEiiiiiiiiiiiliiliiiiil
; %bb.0:
	s_add_u32 s8, s0, 0xd0
	s_addc_u32 s9, s1, 0
	s_mov_b32 s32, 0
	s_getpc_b64 s[0:1]
	s_add_u32 s0, s0, _ZL14no_device_codePKciS0_iS0_@rel32@lo+4
	s_addc_u32 s1, s1, _ZL14no_device_codePKciS0_iS0_@rel32@hi+12
	s_swappc_b64 s[30:31], s[0:1]
	.section	.rodata,"a",@progbits
	.p2align	6, 0x0
	.amdhsa_kernel _ZL15flash_attn_tileILi112ELi112ELi8ELi2ELb1EEvPKcS1_S1_S1_S1_PKiPfP15HIP_vector_typeIfLj2EEffffjfiS5_IjLj3EEiiiiiiiiiiiliiliiiiil
		.amdhsa_group_segment_fixed_size 0
		.amdhsa_private_segment_fixed_size 16
		.amdhsa_kernarg_size 464
		.amdhsa_user_sgpr_count 2
		.amdhsa_user_sgpr_dispatch_ptr 0
		.amdhsa_user_sgpr_queue_ptr 0
		.amdhsa_user_sgpr_kernarg_segment_ptr 1
		.amdhsa_user_sgpr_dispatch_id 0
		.amdhsa_user_sgpr_kernarg_preload_length 0
		.amdhsa_user_sgpr_kernarg_preload_offset 0
		.amdhsa_user_sgpr_private_segment_size 0
		.amdhsa_uses_dynamic_stack 0
		.amdhsa_enable_private_segment 1
		.amdhsa_system_sgpr_workgroup_id_x 1
		.amdhsa_system_sgpr_workgroup_id_y 0
		.amdhsa_system_sgpr_workgroup_id_z 0
		.amdhsa_system_sgpr_workgroup_info 0
		.amdhsa_system_vgpr_workitem_id 0
		.amdhsa_next_free_vgpr 39
		.amdhsa_next_free_sgpr 34
		.amdhsa_accum_offset 40
		.amdhsa_reserve_vcc 1
		.amdhsa_float_round_mode_32 0
		.amdhsa_float_round_mode_16_64 0
		.amdhsa_float_denorm_mode_32 3
		.amdhsa_float_denorm_mode_16_64 3
		.amdhsa_dx10_clamp 1
		.amdhsa_ieee_mode 1
		.amdhsa_fp16_overflow 0
		.amdhsa_tg_split 0
		.amdhsa_exception_fp_ieee_invalid_op 0
		.amdhsa_exception_fp_denorm_src 0
		.amdhsa_exception_fp_ieee_div_zero 0
		.amdhsa_exception_fp_ieee_overflow 0
		.amdhsa_exception_fp_ieee_underflow 0
		.amdhsa_exception_fp_ieee_inexact 0
		.amdhsa_exception_int_div_zero 0
	.end_amdhsa_kernel
	.section	.text._ZL15flash_attn_tileILi112ELi112ELi8ELi2ELb1EEvPKcS1_S1_S1_S1_PKiPfP15HIP_vector_typeIfLj2EEffffjfiS5_IjLj3EEiiiiiiiiiiiliiliiiiil,"axG",@progbits,_ZL15flash_attn_tileILi112ELi112ELi8ELi2ELb1EEvPKcS1_S1_S1_S1_PKiPfP15HIP_vector_typeIfLj2EEffffjfiS5_IjLj3EEiiiiiiiiiiiliiliiiiil,comdat
.Lfunc_end85:
	.size	_ZL15flash_attn_tileILi112ELi112ELi8ELi2ELb1EEvPKcS1_S1_S1_S1_PKiPfP15HIP_vector_typeIfLj2EEffffjfiS5_IjLj3EEiiiiiiiiiiiliiliiiiil, .Lfunc_end85-_ZL15flash_attn_tileILi112ELi112ELi8ELi2ELb1EEvPKcS1_S1_S1_S1_PKiPfP15HIP_vector_typeIfLj2EEffffjfiS5_IjLj3EEiiiiiiiiiiiliiliiiiil
                                        ; -- End function
	.section	.AMDGPU.csdata,"",@progbits
; Kernel info:
; codeLenInByte = 40
; NumSgprs: 40
; NumVgprs: 39
; NumAgprs: 0
; TotalNumVgprs: 39
; ScratchSize: 16
; MemoryBound: 0
; FloatMode: 240
; IeeeMode: 1
; LDSByteSize: 0 bytes/workgroup (compile time only)
; SGPRBlocks: 4
; VGPRBlocks: 4
; NumSGPRsForWavesPerEU: 40
; NumVGPRsForWavesPerEU: 39
; AccumOffset: 40
; Occupancy: 8
; WaveLimiterHint : 1
; COMPUTE_PGM_RSRC2:SCRATCH_EN: 1
; COMPUTE_PGM_RSRC2:USER_SGPR: 2
; COMPUTE_PGM_RSRC2:TRAP_HANDLER: 0
; COMPUTE_PGM_RSRC2:TGID_X_EN: 1
; COMPUTE_PGM_RSRC2:TGID_Y_EN: 0
; COMPUTE_PGM_RSRC2:TGID_Z_EN: 0
; COMPUTE_PGM_RSRC2:TIDIG_COMP_CNT: 0
; COMPUTE_PGM_RSRC3_GFX90A:ACCUM_OFFSET: 9
; COMPUTE_PGM_RSRC3_GFX90A:TG_SPLIT: 0
	.section	.text._ZL15flash_attn_tileILi112ELi112ELi4ELi2ELb1EEvPKcS1_S1_S1_S1_PKiPfP15HIP_vector_typeIfLj2EEffffjfiS5_IjLj3EEiiiiiiiiiiiliiliiiiil,"axG",@progbits,_ZL15flash_attn_tileILi112ELi112ELi4ELi2ELb1EEvPKcS1_S1_S1_S1_PKiPfP15HIP_vector_typeIfLj2EEffffjfiS5_IjLj3EEiiiiiiiiiiiliiliiiiil,comdat
	.globl	_ZL15flash_attn_tileILi112ELi112ELi4ELi2ELb1EEvPKcS1_S1_S1_S1_PKiPfP15HIP_vector_typeIfLj2EEffffjfiS5_IjLj3EEiiiiiiiiiiiliiliiiiil ; -- Begin function _ZL15flash_attn_tileILi112ELi112ELi4ELi2ELb1EEvPKcS1_S1_S1_S1_PKiPfP15HIP_vector_typeIfLj2EEffffjfiS5_IjLj3EEiiiiiiiiiiiliiliiiiil
	.p2align	8
	.type	_ZL15flash_attn_tileILi112ELi112ELi4ELi2ELb1EEvPKcS1_S1_S1_S1_PKiPfP15HIP_vector_typeIfLj2EEffffjfiS5_IjLj3EEiiiiiiiiiiiliiliiiiil,@function
_ZL15flash_attn_tileILi112ELi112ELi4ELi2ELb1EEvPKcS1_S1_S1_S1_PKiPfP15HIP_vector_typeIfLj2EEffffjfiS5_IjLj3EEiiiiiiiiiiiliiliiiiil: ; @_ZL15flash_attn_tileILi112ELi112ELi4ELi2ELb1EEvPKcS1_S1_S1_S1_PKiPfP15HIP_vector_typeIfLj2EEffffjfiS5_IjLj3EEiiiiiiiiiiiliiliiiiil
; %bb.0:
	s_add_u32 s8, s0, 0xd0
	s_addc_u32 s9, s1, 0
	s_mov_b32 s32, 0
	s_getpc_b64 s[0:1]
	s_add_u32 s0, s0, _ZL14no_device_codePKciS0_iS0_@rel32@lo+4
	s_addc_u32 s1, s1, _ZL14no_device_codePKciS0_iS0_@rel32@hi+12
	s_swappc_b64 s[30:31], s[0:1]
	.section	.rodata,"a",@progbits
	.p2align	6, 0x0
	.amdhsa_kernel _ZL15flash_attn_tileILi112ELi112ELi4ELi2ELb1EEvPKcS1_S1_S1_S1_PKiPfP15HIP_vector_typeIfLj2EEffffjfiS5_IjLj3EEiiiiiiiiiiiliiliiiiil
		.amdhsa_group_segment_fixed_size 0
		.amdhsa_private_segment_fixed_size 16
		.amdhsa_kernarg_size 464
		.amdhsa_user_sgpr_count 2
		.amdhsa_user_sgpr_dispatch_ptr 0
		.amdhsa_user_sgpr_queue_ptr 0
		.amdhsa_user_sgpr_kernarg_segment_ptr 1
		.amdhsa_user_sgpr_dispatch_id 0
		.amdhsa_user_sgpr_kernarg_preload_length 0
		.amdhsa_user_sgpr_kernarg_preload_offset 0
		.amdhsa_user_sgpr_private_segment_size 0
		.amdhsa_uses_dynamic_stack 0
		.amdhsa_enable_private_segment 1
		.amdhsa_system_sgpr_workgroup_id_x 1
		.amdhsa_system_sgpr_workgroup_id_y 0
		.amdhsa_system_sgpr_workgroup_id_z 0
		.amdhsa_system_sgpr_workgroup_info 0
		.amdhsa_system_vgpr_workitem_id 0
		.amdhsa_next_free_vgpr 39
		.amdhsa_next_free_sgpr 34
		.amdhsa_accum_offset 40
		.amdhsa_reserve_vcc 1
		.amdhsa_float_round_mode_32 0
		.amdhsa_float_round_mode_16_64 0
		.amdhsa_float_denorm_mode_32 3
		.amdhsa_float_denorm_mode_16_64 3
		.amdhsa_dx10_clamp 1
		.amdhsa_ieee_mode 1
		.amdhsa_fp16_overflow 0
		.amdhsa_tg_split 0
		.amdhsa_exception_fp_ieee_invalid_op 0
		.amdhsa_exception_fp_denorm_src 0
		.amdhsa_exception_fp_ieee_div_zero 0
		.amdhsa_exception_fp_ieee_overflow 0
		.amdhsa_exception_fp_ieee_underflow 0
		.amdhsa_exception_fp_ieee_inexact 0
		.amdhsa_exception_int_div_zero 0
	.end_amdhsa_kernel
	.section	.text._ZL15flash_attn_tileILi112ELi112ELi4ELi2ELb1EEvPKcS1_S1_S1_S1_PKiPfP15HIP_vector_typeIfLj2EEffffjfiS5_IjLj3EEiiiiiiiiiiiliiliiiiil,"axG",@progbits,_ZL15flash_attn_tileILi112ELi112ELi4ELi2ELb1EEvPKcS1_S1_S1_S1_PKiPfP15HIP_vector_typeIfLj2EEffffjfiS5_IjLj3EEiiiiiiiiiiiliiliiiiil,comdat
.Lfunc_end86:
	.size	_ZL15flash_attn_tileILi112ELi112ELi4ELi2ELb1EEvPKcS1_S1_S1_S1_PKiPfP15HIP_vector_typeIfLj2EEffffjfiS5_IjLj3EEiiiiiiiiiiiliiliiiiil, .Lfunc_end86-_ZL15flash_attn_tileILi112ELi112ELi4ELi2ELb1EEvPKcS1_S1_S1_S1_PKiPfP15HIP_vector_typeIfLj2EEffffjfiS5_IjLj3EEiiiiiiiiiiiliiliiiiil
                                        ; -- End function
	.section	.AMDGPU.csdata,"",@progbits
; Kernel info:
; codeLenInByte = 40
; NumSgprs: 40
; NumVgprs: 39
; NumAgprs: 0
; TotalNumVgprs: 39
; ScratchSize: 16
; MemoryBound: 0
; FloatMode: 240
; IeeeMode: 1
; LDSByteSize: 0 bytes/workgroup (compile time only)
; SGPRBlocks: 4
; VGPRBlocks: 4
; NumSGPRsForWavesPerEU: 40
; NumVGPRsForWavesPerEU: 39
; AccumOffset: 40
; Occupancy: 8
; WaveLimiterHint : 1
; COMPUTE_PGM_RSRC2:SCRATCH_EN: 1
; COMPUTE_PGM_RSRC2:USER_SGPR: 2
; COMPUTE_PGM_RSRC2:TRAP_HANDLER: 0
; COMPUTE_PGM_RSRC2:TGID_X_EN: 1
; COMPUTE_PGM_RSRC2:TGID_Y_EN: 0
; COMPUTE_PGM_RSRC2:TGID_Z_EN: 0
; COMPUTE_PGM_RSRC2:TIDIG_COMP_CNT: 0
; COMPUTE_PGM_RSRC3_GFX90A:ACCUM_OFFSET: 9
; COMPUTE_PGM_RSRC3_GFX90A:TG_SPLIT: 0
	.section	.text._ZL15flash_attn_tileILi112ELi112ELi2ELi2ELb1EEvPKcS1_S1_S1_S1_PKiPfP15HIP_vector_typeIfLj2EEffffjfiS5_IjLj3EEiiiiiiiiiiiliiliiiiil,"axG",@progbits,_ZL15flash_attn_tileILi112ELi112ELi2ELi2ELb1EEvPKcS1_S1_S1_S1_PKiPfP15HIP_vector_typeIfLj2EEffffjfiS5_IjLj3EEiiiiiiiiiiiliiliiiiil,comdat
	.globl	_ZL15flash_attn_tileILi112ELi112ELi2ELi2ELb1EEvPKcS1_S1_S1_S1_PKiPfP15HIP_vector_typeIfLj2EEffffjfiS5_IjLj3EEiiiiiiiiiiiliiliiiiil ; -- Begin function _ZL15flash_attn_tileILi112ELi112ELi2ELi2ELb1EEvPKcS1_S1_S1_S1_PKiPfP15HIP_vector_typeIfLj2EEffffjfiS5_IjLj3EEiiiiiiiiiiiliiliiiiil
	.p2align	8
	.type	_ZL15flash_attn_tileILi112ELi112ELi2ELi2ELb1EEvPKcS1_S1_S1_S1_PKiPfP15HIP_vector_typeIfLj2EEffffjfiS5_IjLj3EEiiiiiiiiiiiliiliiiiil,@function
_ZL15flash_attn_tileILi112ELi112ELi2ELi2ELb1EEvPKcS1_S1_S1_S1_PKiPfP15HIP_vector_typeIfLj2EEffffjfiS5_IjLj3EEiiiiiiiiiiiliiliiiiil: ; @_ZL15flash_attn_tileILi112ELi112ELi2ELi2ELb1EEvPKcS1_S1_S1_S1_PKiPfP15HIP_vector_typeIfLj2EEffffjfiS5_IjLj3EEiiiiiiiiiiiliiliiiiil
; %bb.0:
	s_add_u32 s8, s0, 0xd0
	s_addc_u32 s9, s1, 0
	s_mov_b32 s32, 0
	s_getpc_b64 s[0:1]
	s_add_u32 s0, s0, _ZL14no_device_codePKciS0_iS0_@rel32@lo+4
	s_addc_u32 s1, s1, _ZL14no_device_codePKciS0_iS0_@rel32@hi+12
	s_swappc_b64 s[30:31], s[0:1]
	.section	.rodata,"a",@progbits
	.p2align	6, 0x0
	.amdhsa_kernel _ZL15flash_attn_tileILi112ELi112ELi2ELi2ELb1EEvPKcS1_S1_S1_S1_PKiPfP15HIP_vector_typeIfLj2EEffffjfiS5_IjLj3EEiiiiiiiiiiiliiliiiiil
		.amdhsa_group_segment_fixed_size 0
		.amdhsa_private_segment_fixed_size 16
		.amdhsa_kernarg_size 464
		.amdhsa_user_sgpr_count 2
		.amdhsa_user_sgpr_dispatch_ptr 0
		.amdhsa_user_sgpr_queue_ptr 0
		.amdhsa_user_sgpr_kernarg_segment_ptr 1
		.amdhsa_user_sgpr_dispatch_id 0
		.amdhsa_user_sgpr_kernarg_preload_length 0
		.amdhsa_user_sgpr_kernarg_preload_offset 0
		.amdhsa_user_sgpr_private_segment_size 0
		.amdhsa_uses_dynamic_stack 0
		.amdhsa_enable_private_segment 1
		.amdhsa_system_sgpr_workgroup_id_x 1
		.amdhsa_system_sgpr_workgroup_id_y 0
		.amdhsa_system_sgpr_workgroup_id_z 0
		.amdhsa_system_sgpr_workgroup_info 0
		.amdhsa_system_vgpr_workitem_id 0
		.amdhsa_next_free_vgpr 39
		.amdhsa_next_free_sgpr 34
		.amdhsa_accum_offset 40
		.amdhsa_reserve_vcc 1
		.amdhsa_float_round_mode_32 0
		.amdhsa_float_round_mode_16_64 0
		.amdhsa_float_denorm_mode_32 3
		.amdhsa_float_denorm_mode_16_64 3
		.amdhsa_dx10_clamp 1
		.amdhsa_ieee_mode 1
		.amdhsa_fp16_overflow 0
		.amdhsa_tg_split 0
		.amdhsa_exception_fp_ieee_invalid_op 0
		.amdhsa_exception_fp_denorm_src 0
		.amdhsa_exception_fp_ieee_div_zero 0
		.amdhsa_exception_fp_ieee_overflow 0
		.amdhsa_exception_fp_ieee_underflow 0
		.amdhsa_exception_fp_ieee_inexact 0
		.amdhsa_exception_int_div_zero 0
	.end_amdhsa_kernel
	.section	.text._ZL15flash_attn_tileILi112ELi112ELi2ELi2ELb1EEvPKcS1_S1_S1_S1_PKiPfP15HIP_vector_typeIfLj2EEffffjfiS5_IjLj3EEiiiiiiiiiiiliiliiiiil,"axG",@progbits,_ZL15flash_attn_tileILi112ELi112ELi2ELi2ELb1EEvPKcS1_S1_S1_S1_PKiPfP15HIP_vector_typeIfLj2EEffffjfiS5_IjLj3EEiiiiiiiiiiiliiliiiiil,comdat
.Lfunc_end87:
	.size	_ZL15flash_attn_tileILi112ELi112ELi2ELi2ELb1EEvPKcS1_S1_S1_S1_PKiPfP15HIP_vector_typeIfLj2EEffffjfiS5_IjLj3EEiiiiiiiiiiiliiliiiiil, .Lfunc_end87-_ZL15flash_attn_tileILi112ELi112ELi2ELi2ELb1EEvPKcS1_S1_S1_S1_PKiPfP15HIP_vector_typeIfLj2EEffffjfiS5_IjLj3EEiiiiiiiiiiiliiliiiiil
                                        ; -- End function
	.section	.AMDGPU.csdata,"",@progbits
; Kernel info:
; codeLenInByte = 40
; NumSgprs: 40
; NumVgprs: 39
; NumAgprs: 0
; TotalNumVgprs: 39
; ScratchSize: 16
; MemoryBound: 0
; FloatMode: 240
; IeeeMode: 1
; LDSByteSize: 0 bytes/workgroup (compile time only)
; SGPRBlocks: 4
; VGPRBlocks: 4
; NumSGPRsForWavesPerEU: 40
; NumVGPRsForWavesPerEU: 39
; AccumOffset: 40
; Occupancy: 8
; WaveLimiterHint : 1
; COMPUTE_PGM_RSRC2:SCRATCH_EN: 1
; COMPUTE_PGM_RSRC2:USER_SGPR: 2
; COMPUTE_PGM_RSRC2:TRAP_HANDLER: 0
; COMPUTE_PGM_RSRC2:TGID_X_EN: 1
; COMPUTE_PGM_RSRC2:TGID_Y_EN: 0
; COMPUTE_PGM_RSRC2:TGID_Z_EN: 0
; COMPUTE_PGM_RSRC2:TIDIG_COMP_CNT: 0
; COMPUTE_PGM_RSRC3_GFX90A:ACCUM_OFFSET: 9
; COMPUTE_PGM_RSRC3_GFX90A:TG_SPLIT: 0
	.section	.text._ZL15flash_attn_tileILi112ELi112ELi1ELi2ELb1EEvPKcS1_S1_S1_S1_PKiPfP15HIP_vector_typeIfLj2EEffffjfiS5_IjLj3EEiiiiiiiiiiiliiliiiiil,"axG",@progbits,_ZL15flash_attn_tileILi112ELi112ELi1ELi2ELb1EEvPKcS1_S1_S1_S1_PKiPfP15HIP_vector_typeIfLj2EEffffjfiS5_IjLj3EEiiiiiiiiiiiliiliiiiil,comdat
	.globl	_ZL15flash_attn_tileILi112ELi112ELi1ELi2ELb1EEvPKcS1_S1_S1_S1_PKiPfP15HIP_vector_typeIfLj2EEffffjfiS5_IjLj3EEiiiiiiiiiiiliiliiiiil ; -- Begin function _ZL15flash_attn_tileILi112ELi112ELi1ELi2ELb1EEvPKcS1_S1_S1_S1_PKiPfP15HIP_vector_typeIfLj2EEffffjfiS5_IjLj3EEiiiiiiiiiiiliiliiiiil
	.p2align	8
	.type	_ZL15flash_attn_tileILi112ELi112ELi1ELi2ELb1EEvPKcS1_S1_S1_S1_PKiPfP15HIP_vector_typeIfLj2EEffffjfiS5_IjLj3EEiiiiiiiiiiiliiliiiiil,@function
_ZL15flash_attn_tileILi112ELi112ELi1ELi2ELb1EEvPKcS1_S1_S1_S1_PKiPfP15HIP_vector_typeIfLj2EEffffjfiS5_IjLj3EEiiiiiiiiiiiliiliiiiil: ; @_ZL15flash_attn_tileILi112ELi112ELi1ELi2ELb1EEvPKcS1_S1_S1_S1_PKiPfP15HIP_vector_typeIfLj2EEffffjfiS5_IjLj3EEiiiiiiiiiiiliiliiiiil
; %bb.0:
	s_add_u32 s8, s0, 0xd0
	s_addc_u32 s9, s1, 0
	s_mov_b32 s32, 0
	s_getpc_b64 s[0:1]
	s_add_u32 s0, s0, _ZL14no_device_codePKciS0_iS0_@rel32@lo+4
	s_addc_u32 s1, s1, _ZL14no_device_codePKciS0_iS0_@rel32@hi+12
	s_swappc_b64 s[30:31], s[0:1]
	.section	.rodata,"a",@progbits
	.p2align	6, 0x0
	.amdhsa_kernel _ZL15flash_attn_tileILi112ELi112ELi1ELi2ELb1EEvPKcS1_S1_S1_S1_PKiPfP15HIP_vector_typeIfLj2EEffffjfiS5_IjLj3EEiiiiiiiiiiiliiliiiiil
		.amdhsa_group_segment_fixed_size 0
		.amdhsa_private_segment_fixed_size 16
		.amdhsa_kernarg_size 464
		.amdhsa_user_sgpr_count 2
		.amdhsa_user_sgpr_dispatch_ptr 0
		.amdhsa_user_sgpr_queue_ptr 0
		.amdhsa_user_sgpr_kernarg_segment_ptr 1
		.amdhsa_user_sgpr_dispatch_id 0
		.amdhsa_user_sgpr_kernarg_preload_length 0
		.amdhsa_user_sgpr_kernarg_preload_offset 0
		.amdhsa_user_sgpr_private_segment_size 0
		.amdhsa_uses_dynamic_stack 0
		.amdhsa_enable_private_segment 1
		.amdhsa_system_sgpr_workgroup_id_x 1
		.amdhsa_system_sgpr_workgroup_id_y 0
		.amdhsa_system_sgpr_workgroup_id_z 0
		.amdhsa_system_sgpr_workgroup_info 0
		.amdhsa_system_vgpr_workitem_id 0
		.amdhsa_next_free_vgpr 39
		.amdhsa_next_free_sgpr 34
		.amdhsa_accum_offset 40
		.amdhsa_reserve_vcc 1
		.amdhsa_float_round_mode_32 0
		.amdhsa_float_round_mode_16_64 0
		.amdhsa_float_denorm_mode_32 3
		.amdhsa_float_denorm_mode_16_64 3
		.amdhsa_dx10_clamp 1
		.amdhsa_ieee_mode 1
		.amdhsa_fp16_overflow 0
		.amdhsa_tg_split 0
		.amdhsa_exception_fp_ieee_invalid_op 0
		.amdhsa_exception_fp_denorm_src 0
		.amdhsa_exception_fp_ieee_div_zero 0
		.amdhsa_exception_fp_ieee_overflow 0
		.amdhsa_exception_fp_ieee_underflow 0
		.amdhsa_exception_fp_ieee_inexact 0
		.amdhsa_exception_int_div_zero 0
	.end_amdhsa_kernel
	.section	.text._ZL15flash_attn_tileILi112ELi112ELi1ELi2ELb1EEvPKcS1_S1_S1_S1_PKiPfP15HIP_vector_typeIfLj2EEffffjfiS5_IjLj3EEiiiiiiiiiiiliiliiiiil,"axG",@progbits,_ZL15flash_attn_tileILi112ELi112ELi1ELi2ELb1EEvPKcS1_S1_S1_S1_PKiPfP15HIP_vector_typeIfLj2EEffffjfiS5_IjLj3EEiiiiiiiiiiiliiliiiiil,comdat
.Lfunc_end88:
	.size	_ZL15flash_attn_tileILi112ELi112ELi1ELi2ELb1EEvPKcS1_S1_S1_S1_PKiPfP15HIP_vector_typeIfLj2EEffffjfiS5_IjLj3EEiiiiiiiiiiiliiliiiiil, .Lfunc_end88-_ZL15flash_attn_tileILi112ELi112ELi1ELi2ELb1EEvPKcS1_S1_S1_S1_PKiPfP15HIP_vector_typeIfLj2EEffffjfiS5_IjLj3EEiiiiiiiiiiiliiliiiiil
                                        ; -- End function
	.section	.AMDGPU.csdata,"",@progbits
; Kernel info:
; codeLenInByte = 40
; NumSgprs: 40
; NumVgprs: 39
; NumAgprs: 0
; TotalNumVgprs: 39
; ScratchSize: 16
; MemoryBound: 0
; FloatMode: 240
; IeeeMode: 1
; LDSByteSize: 0 bytes/workgroup (compile time only)
; SGPRBlocks: 4
; VGPRBlocks: 4
; NumSGPRsForWavesPerEU: 40
; NumVGPRsForWavesPerEU: 39
; AccumOffset: 40
; Occupancy: 8
; WaveLimiterHint : 1
; COMPUTE_PGM_RSRC2:SCRATCH_EN: 1
; COMPUTE_PGM_RSRC2:USER_SGPR: 2
; COMPUTE_PGM_RSRC2:TRAP_HANDLER: 0
; COMPUTE_PGM_RSRC2:TGID_X_EN: 1
; COMPUTE_PGM_RSRC2:TGID_Y_EN: 0
; COMPUTE_PGM_RSRC2:TGID_Z_EN: 0
; COMPUTE_PGM_RSRC2:TIDIG_COMP_CNT: 0
; COMPUTE_PGM_RSRC3_GFX90A:ACCUM_OFFSET: 9
; COMPUTE_PGM_RSRC3_GFX90A:TG_SPLIT: 0
	.section	.text._ZL15flash_attn_tileILi112ELi112ELi64ELi1ELb1EEvPKcS1_S1_S1_S1_PKiPfP15HIP_vector_typeIfLj2EEffffjfiS5_IjLj3EEiiiiiiiiiiiliiliiiiil,"axG",@progbits,_ZL15flash_attn_tileILi112ELi112ELi64ELi1ELb1EEvPKcS1_S1_S1_S1_PKiPfP15HIP_vector_typeIfLj2EEffffjfiS5_IjLj3EEiiiiiiiiiiiliiliiiiil,comdat
	.globl	_ZL15flash_attn_tileILi112ELi112ELi64ELi1ELb1EEvPKcS1_S1_S1_S1_PKiPfP15HIP_vector_typeIfLj2EEffffjfiS5_IjLj3EEiiiiiiiiiiiliiliiiiil ; -- Begin function _ZL15flash_attn_tileILi112ELi112ELi64ELi1ELb1EEvPKcS1_S1_S1_S1_PKiPfP15HIP_vector_typeIfLj2EEffffjfiS5_IjLj3EEiiiiiiiiiiiliiliiiiil
	.p2align	8
	.type	_ZL15flash_attn_tileILi112ELi112ELi64ELi1ELb1EEvPKcS1_S1_S1_S1_PKiPfP15HIP_vector_typeIfLj2EEffffjfiS5_IjLj3EEiiiiiiiiiiiliiliiiiil,@function
_ZL15flash_attn_tileILi112ELi112ELi64ELi1ELb1EEvPKcS1_S1_S1_S1_PKiPfP15HIP_vector_typeIfLj2EEffffjfiS5_IjLj3EEiiiiiiiiiiiliiliiiiil: ; @_ZL15flash_attn_tileILi112ELi112ELi64ELi1ELb1EEvPKcS1_S1_S1_S1_PKiPfP15HIP_vector_typeIfLj2EEffffjfiS5_IjLj3EEiiiiiiiiiiiliiliiiiil
; %bb.0:
	s_add_u32 s8, s0, 0xd0
	s_addc_u32 s9, s1, 0
	s_mov_b32 s32, 0
	s_getpc_b64 s[0:1]
	s_add_u32 s0, s0, _ZL14no_device_codePKciS0_iS0_@rel32@lo+4
	s_addc_u32 s1, s1, _ZL14no_device_codePKciS0_iS0_@rel32@hi+12
	s_swappc_b64 s[30:31], s[0:1]
	.section	.rodata,"a",@progbits
	.p2align	6, 0x0
	.amdhsa_kernel _ZL15flash_attn_tileILi112ELi112ELi64ELi1ELb1EEvPKcS1_S1_S1_S1_PKiPfP15HIP_vector_typeIfLj2EEffffjfiS5_IjLj3EEiiiiiiiiiiiliiliiiiil
		.amdhsa_group_segment_fixed_size 0
		.amdhsa_private_segment_fixed_size 16
		.amdhsa_kernarg_size 464
		.amdhsa_user_sgpr_count 2
		.amdhsa_user_sgpr_dispatch_ptr 0
		.amdhsa_user_sgpr_queue_ptr 0
		.amdhsa_user_sgpr_kernarg_segment_ptr 1
		.amdhsa_user_sgpr_dispatch_id 0
		.amdhsa_user_sgpr_kernarg_preload_length 0
		.amdhsa_user_sgpr_kernarg_preload_offset 0
		.amdhsa_user_sgpr_private_segment_size 0
		.amdhsa_uses_dynamic_stack 0
		.amdhsa_enable_private_segment 1
		.amdhsa_system_sgpr_workgroup_id_x 1
		.amdhsa_system_sgpr_workgroup_id_y 0
		.amdhsa_system_sgpr_workgroup_id_z 0
		.amdhsa_system_sgpr_workgroup_info 0
		.amdhsa_system_vgpr_workitem_id 0
		.amdhsa_next_free_vgpr 39
		.amdhsa_next_free_sgpr 34
		.amdhsa_accum_offset 40
		.amdhsa_reserve_vcc 1
		.amdhsa_float_round_mode_32 0
		.amdhsa_float_round_mode_16_64 0
		.amdhsa_float_denorm_mode_32 3
		.amdhsa_float_denorm_mode_16_64 3
		.amdhsa_dx10_clamp 1
		.amdhsa_ieee_mode 1
		.amdhsa_fp16_overflow 0
		.amdhsa_tg_split 0
		.amdhsa_exception_fp_ieee_invalid_op 0
		.amdhsa_exception_fp_denorm_src 0
		.amdhsa_exception_fp_ieee_div_zero 0
		.amdhsa_exception_fp_ieee_overflow 0
		.amdhsa_exception_fp_ieee_underflow 0
		.amdhsa_exception_fp_ieee_inexact 0
		.amdhsa_exception_int_div_zero 0
	.end_amdhsa_kernel
	.section	.text._ZL15flash_attn_tileILi112ELi112ELi64ELi1ELb1EEvPKcS1_S1_S1_S1_PKiPfP15HIP_vector_typeIfLj2EEffffjfiS5_IjLj3EEiiiiiiiiiiiliiliiiiil,"axG",@progbits,_ZL15flash_attn_tileILi112ELi112ELi64ELi1ELb1EEvPKcS1_S1_S1_S1_PKiPfP15HIP_vector_typeIfLj2EEffffjfiS5_IjLj3EEiiiiiiiiiiiliiliiiiil,comdat
.Lfunc_end89:
	.size	_ZL15flash_attn_tileILi112ELi112ELi64ELi1ELb1EEvPKcS1_S1_S1_S1_PKiPfP15HIP_vector_typeIfLj2EEffffjfiS5_IjLj3EEiiiiiiiiiiiliiliiiiil, .Lfunc_end89-_ZL15flash_attn_tileILi112ELi112ELi64ELi1ELb1EEvPKcS1_S1_S1_S1_PKiPfP15HIP_vector_typeIfLj2EEffffjfiS5_IjLj3EEiiiiiiiiiiiliiliiiiil
                                        ; -- End function
	.section	.AMDGPU.csdata,"",@progbits
; Kernel info:
; codeLenInByte = 40
; NumSgprs: 40
; NumVgprs: 39
; NumAgprs: 0
; TotalNumVgprs: 39
; ScratchSize: 16
; MemoryBound: 0
; FloatMode: 240
; IeeeMode: 1
; LDSByteSize: 0 bytes/workgroup (compile time only)
; SGPRBlocks: 4
; VGPRBlocks: 4
; NumSGPRsForWavesPerEU: 40
; NumVGPRsForWavesPerEU: 39
; AccumOffset: 40
; Occupancy: 8
; WaveLimiterHint : 1
; COMPUTE_PGM_RSRC2:SCRATCH_EN: 1
; COMPUTE_PGM_RSRC2:USER_SGPR: 2
; COMPUTE_PGM_RSRC2:TRAP_HANDLER: 0
; COMPUTE_PGM_RSRC2:TGID_X_EN: 1
; COMPUTE_PGM_RSRC2:TGID_Y_EN: 0
; COMPUTE_PGM_RSRC2:TGID_Z_EN: 0
; COMPUTE_PGM_RSRC2:TIDIG_COMP_CNT: 0
; COMPUTE_PGM_RSRC3_GFX90A:ACCUM_OFFSET: 9
; COMPUTE_PGM_RSRC3_GFX90A:TG_SPLIT: 0
	.section	.text._ZL15flash_attn_tileILi112ELi112ELi32ELi1ELb1EEvPKcS1_S1_S1_S1_PKiPfP15HIP_vector_typeIfLj2EEffffjfiS5_IjLj3EEiiiiiiiiiiiliiliiiiil,"axG",@progbits,_ZL15flash_attn_tileILi112ELi112ELi32ELi1ELb1EEvPKcS1_S1_S1_S1_PKiPfP15HIP_vector_typeIfLj2EEffffjfiS5_IjLj3EEiiiiiiiiiiiliiliiiiil,comdat
	.globl	_ZL15flash_attn_tileILi112ELi112ELi32ELi1ELb1EEvPKcS1_S1_S1_S1_PKiPfP15HIP_vector_typeIfLj2EEffffjfiS5_IjLj3EEiiiiiiiiiiiliiliiiiil ; -- Begin function _ZL15flash_attn_tileILi112ELi112ELi32ELi1ELb1EEvPKcS1_S1_S1_S1_PKiPfP15HIP_vector_typeIfLj2EEffffjfiS5_IjLj3EEiiiiiiiiiiiliiliiiiil
	.p2align	8
	.type	_ZL15flash_attn_tileILi112ELi112ELi32ELi1ELb1EEvPKcS1_S1_S1_S1_PKiPfP15HIP_vector_typeIfLj2EEffffjfiS5_IjLj3EEiiiiiiiiiiiliiliiiiil,@function
_ZL15flash_attn_tileILi112ELi112ELi32ELi1ELb1EEvPKcS1_S1_S1_S1_PKiPfP15HIP_vector_typeIfLj2EEffffjfiS5_IjLj3EEiiiiiiiiiiiliiliiiiil: ; @_ZL15flash_attn_tileILi112ELi112ELi32ELi1ELb1EEvPKcS1_S1_S1_S1_PKiPfP15HIP_vector_typeIfLj2EEffffjfiS5_IjLj3EEiiiiiiiiiiiliiliiiiil
; %bb.0:
	s_add_u32 s8, s0, 0xd0
	s_addc_u32 s9, s1, 0
	s_mov_b32 s32, 0
	s_getpc_b64 s[0:1]
	s_add_u32 s0, s0, _ZL14no_device_codePKciS0_iS0_@rel32@lo+4
	s_addc_u32 s1, s1, _ZL14no_device_codePKciS0_iS0_@rel32@hi+12
	s_swappc_b64 s[30:31], s[0:1]
	.section	.rodata,"a",@progbits
	.p2align	6, 0x0
	.amdhsa_kernel _ZL15flash_attn_tileILi112ELi112ELi32ELi1ELb1EEvPKcS1_S1_S1_S1_PKiPfP15HIP_vector_typeIfLj2EEffffjfiS5_IjLj3EEiiiiiiiiiiiliiliiiiil
		.amdhsa_group_segment_fixed_size 0
		.amdhsa_private_segment_fixed_size 16
		.amdhsa_kernarg_size 464
		.amdhsa_user_sgpr_count 2
		.amdhsa_user_sgpr_dispatch_ptr 0
		.amdhsa_user_sgpr_queue_ptr 0
		.amdhsa_user_sgpr_kernarg_segment_ptr 1
		.amdhsa_user_sgpr_dispatch_id 0
		.amdhsa_user_sgpr_kernarg_preload_length 0
		.amdhsa_user_sgpr_kernarg_preload_offset 0
		.amdhsa_user_sgpr_private_segment_size 0
		.amdhsa_uses_dynamic_stack 0
		.amdhsa_enable_private_segment 1
		.amdhsa_system_sgpr_workgroup_id_x 1
		.amdhsa_system_sgpr_workgroup_id_y 0
		.amdhsa_system_sgpr_workgroup_id_z 0
		.amdhsa_system_sgpr_workgroup_info 0
		.amdhsa_system_vgpr_workitem_id 0
		.amdhsa_next_free_vgpr 39
		.amdhsa_next_free_sgpr 34
		.amdhsa_accum_offset 40
		.amdhsa_reserve_vcc 1
		.amdhsa_float_round_mode_32 0
		.amdhsa_float_round_mode_16_64 0
		.amdhsa_float_denorm_mode_32 3
		.amdhsa_float_denorm_mode_16_64 3
		.amdhsa_dx10_clamp 1
		.amdhsa_ieee_mode 1
		.amdhsa_fp16_overflow 0
		.amdhsa_tg_split 0
		.amdhsa_exception_fp_ieee_invalid_op 0
		.amdhsa_exception_fp_denorm_src 0
		.amdhsa_exception_fp_ieee_div_zero 0
		.amdhsa_exception_fp_ieee_overflow 0
		.amdhsa_exception_fp_ieee_underflow 0
		.amdhsa_exception_fp_ieee_inexact 0
		.amdhsa_exception_int_div_zero 0
	.end_amdhsa_kernel
	.section	.text._ZL15flash_attn_tileILi112ELi112ELi32ELi1ELb1EEvPKcS1_S1_S1_S1_PKiPfP15HIP_vector_typeIfLj2EEffffjfiS5_IjLj3EEiiiiiiiiiiiliiliiiiil,"axG",@progbits,_ZL15flash_attn_tileILi112ELi112ELi32ELi1ELb1EEvPKcS1_S1_S1_S1_PKiPfP15HIP_vector_typeIfLj2EEffffjfiS5_IjLj3EEiiiiiiiiiiiliiliiiiil,comdat
.Lfunc_end90:
	.size	_ZL15flash_attn_tileILi112ELi112ELi32ELi1ELb1EEvPKcS1_S1_S1_S1_PKiPfP15HIP_vector_typeIfLj2EEffffjfiS5_IjLj3EEiiiiiiiiiiiliiliiiiil, .Lfunc_end90-_ZL15flash_attn_tileILi112ELi112ELi32ELi1ELb1EEvPKcS1_S1_S1_S1_PKiPfP15HIP_vector_typeIfLj2EEffffjfiS5_IjLj3EEiiiiiiiiiiiliiliiiiil
                                        ; -- End function
	.section	.AMDGPU.csdata,"",@progbits
; Kernel info:
; codeLenInByte = 40
; NumSgprs: 40
; NumVgprs: 39
; NumAgprs: 0
; TotalNumVgprs: 39
; ScratchSize: 16
; MemoryBound: 0
; FloatMode: 240
; IeeeMode: 1
; LDSByteSize: 0 bytes/workgroup (compile time only)
; SGPRBlocks: 4
; VGPRBlocks: 4
; NumSGPRsForWavesPerEU: 40
; NumVGPRsForWavesPerEU: 39
; AccumOffset: 40
; Occupancy: 8
; WaveLimiterHint : 1
; COMPUTE_PGM_RSRC2:SCRATCH_EN: 1
; COMPUTE_PGM_RSRC2:USER_SGPR: 2
; COMPUTE_PGM_RSRC2:TRAP_HANDLER: 0
; COMPUTE_PGM_RSRC2:TGID_X_EN: 1
; COMPUTE_PGM_RSRC2:TGID_Y_EN: 0
; COMPUTE_PGM_RSRC2:TGID_Z_EN: 0
; COMPUTE_PGM_RSRC2:TIDIG_COMP_CNT: 0
; COMPUTE_PGM_RSRC3_GFX90A:ACCUM_OFFSET: 9
; COMPUTE_PGM_RSRC3_GFX90A:TG_SPLIT: 0
	.section	.text._ZL15flash_attn_tileILi112ELi112ELi16ELi1ELb1EEvPKcS1_S1_S1_S1_PKiPfP15HIP_vector_typeIfLj2EEffffjfiS5_IjLj3EEiiiiiiiiiiiliiliiiiil,"axG",@progbits,_ZL15flash_attn_tileILi112ELi112ELi16ELi1ELb1EEvPKcS1_S1_S1_S1_PKiPfP15HIP_vector_typeIfLj2EEffffjfiS5_IjLj3EEiiiiiiiiiiiliiliiiiil,comdat
	.globl	_ZL15flash_attn_tileILi112ELi112ELi16ELi1ELb1EEvPKcS1_S1_S1_S1_PKiPfP15HIP_vector_typeIfLj2EEffffjfiS5_IjLj3EEiiiiiiiiiiiliiliiiiil ; -- Begin function _ZL15flash_attn_tileILi112ELi112ELi16ELi1ELb1EEvPKcS1_S1_S1_S1_PKiPfP15HIP_vector_typeIfLj2EEffffjfiS5_IjLj3EEiiiiiiiiiiiliiliiiiil
	.p2align	8
	.type	_ZL15flash_attn_tileILi112ELi112ELi16ELi1ELb1EEvPKcS1_S1_S1_S1_PKiPfP15HIP_vector_typeIfLj2EEffffjfiS5_IjLj3EEiiiiiiiiiiiliiliiiiil,@function
_ZL15flash_attn_tileILi112ELi112ELi16ELi1ELb1EEvPKcS1_S1_S1_S1_PKiPfP15HIP_vector_typeIfLj2EEffffjfiS5_IjLj3EEiiiiiiiiiiiliiliiiiil: ; @_ZL15flash_attn_tileILi112ELi112ELi16ELi1ELb1EEvPKcS1_S1_S1_S1_PKiPfP15HIP_vector_typeIfLj2EEffffjfiS5_IjLj3EEiiiiiiiiiiiliiliiiiil
; %bb.0:
	s_add_u32 s8, s0, 0xd0
	s_addc_u32 s9, s1, 0
	s_mov_b32 s32, 0
	s_getpc_b64 s[0:1]
	s_add_u32 s0, s0, _ZL14no_device_codePKciS0_iS0_@rel32@lo+4
	s_addc_u32 s1, s1, _ZL14no_device_codePKciS0_iS0_@rel32@hi+12
	s_swappc_b64 s[30:31], s[0:1]
	.section	.rodata,"a",@progbits
	.p2align	6, 0x0
	.amdhsa_kernel _ZL15flash_attn_tileILi112ELi112ELi16ELi1ELb1EEvPKcS1_S1_S1_S1_PKiPfP15HIP_vector_typeIfLj2EEffffjfiS5_IjLj3EEiiiiiiiiiiiliiliiiiil
		.amdhsa_group_segment_fixed_size 0
		.amdhsa_private_segment_fixed_size 16
		.amdhsa_kernarg_size 464
		.amdhsa_user_sgpr_count 2
		.amdhsa_user_sgpr_dispatch_ptr 0
		.amdhsa_user_sgpr_queue_ptr 0
		.amdhsa_user_sgpr_kernarg_segment_ptr 1
		.amdhsa_user_sgpr_dispatch_id 0
		.amdhsa_user_sgpr_kernarg_preload_length 0
		.amdhsa_user_sgpr_kernarg_preload_offset 0
		.amdhsa_user_sgpr_private_segment_size 0
		.amdhsa_uses_dynamic_stack 0
		.amdhsa_enable_private_segment 1
		.amdhsa_system_sgpr_workgroup_id_x 1
		.amdhsa_system_sgpr_workgroup_id_y 0
		.amdhsa_system_sgpr_workgroup_id_z 0
		.amdhsa_system_sgpr_workgroup_info 0
		.amdhsa_system_vgpr_workitem_id 0
		.amdhsa_next_free_vgpr 39
		.amdhsa_next_free_sgpr 34
		.amdhsa_accum_offset 40
		.amdhsa_reserve_vcc 1
		.amdhsa_float_round_mode_32 0
		.amdhsa_float_round_mode_16_64 0
		.amdhsa_float_denorm_mode_32 3
		.amdhsa_float_denorm_mode_16_64 3
		.amdhsa_dx10_clamp 1
		.amdhsa_ieee_mode 1
		.amdhsa_fp16_overflow 0
		.amdhsa_tg_split 0
		.amdhsa_exception_fp_ieee_invalid_op 0
		.amdhsa_exception_fp_denorm_src 0
		.amdhsa_exception_fp_ieee_div_zero 0
		.amdhsa_exception_fp_ieee_overflow 0
		.amdhsa_exception_fp_ieee_underflow 0
		.amdhsa_exception_fp_ieee_inexact 0
		.amdhsa_exception_int_div_zero 0
	.end_amdhsa_kernel
	.section	.text._ZL15flash_attn_tileILi112ELi112ELi16ELi1ELb1EEvPKcS1_S1_S1_S1_PKiPfP15HIP_vector_typeIfLj2EEffffjfiS5_IjLj3EEiiiiiiiiiiiliiliiiiil,"axG",@progbits,_ZL15flash_attn_tileILi112ELi112ELi16ELi1ELb1EEvPKcS1_S1_S1_S1_PKiPfP15HIP_vector_typeIfLj2EEffffjfiS5_IjLj3EEiiiiiiiiiiiliiliiiiil,comdat
.Lfunc_end91:
	.size	_ZL15flash_attn_tileILi112ELi112ELi16ELi1ELb1EEvPKcS1_S1_S1_S1_PKiPfP15HIP_vector_typeIfLj2EEffffjfiS5_IjLj3EEiiiiiiiiiiiliiliiiiil, .Lfunc_end91-_ZL15flash_attn_tileILi112ELi112ELi16ELi1ELb1EEvPKcS1_S1_S1_S1_PKiPfP15HIP_vector_typeIfLj2EEffffjfiS5_IjLj3EEiiiiiiiiiiiliiliiiiil
                                        ; -- End function
	.section	.AMDGPU.csdata,"",@progbits
; Kernel info:
; codeLenInByte = 40
; NumSgprs: 40
; NumVgprs: 39
; NumAgprs: 0
; TotalNumVgprs: 39
; ScratchSize: 16
; MemoryBound: 0
; FloatMode: 240
; IeeeMode: 1
; LDSByteSize: 0 bytes/workgroup (compile time only)
; SGPRBlocks: 4
; VGPRBlocks: 4
; NumSGPRsForWavesPerEU: 40
; NumVGPRsForWavesPerEU: 39
; AccumOffset: 40
; Occupancy: 8
; WaveLimiterHint : 1
; COMPUTE_PGM_RSRC2:SCRATCH_EN: 1
; COMPUTE_PGM_RSRC2:USER_SGPR: 2
; COMPUTE_PGM_RSRC2:TRAP_HANDLER: 0
; COMPUTE_PGM_RSRC2:TGID_X_EN: 1
; COMPUTE_PGM_RSRC2:TGID_Y_EN: 0
; COMPUTE_PGM_RSRC2:TGID_Z_EN: 0
; COMPUTE_PGM_RSRC2:TIDIG_COMP_CNT: 0
; COMPUTE_PGM_RSRC3_GFX90A:ACCUM_OFFSET: 9
; COMPUTE_PGM_RSRC3_GFX90A:TG_SPLIT: 0
	.section	.text._ZL15flash_attn_tileILi112ELi112ELi8ELi1ELb1EEvPKcS1_S1_S1_S1_PKiPfP15HIP_vector_typeIfLj2EEffffjfiS5_IjLj3EEiiiiiiiiiiiliiliiiiil,"axG",@progbits,_ZL15flash_attn_tileILi112ELi112ELi8ELi1ELb1EEvPKcS1_S1_S1_S1_PKiPfP15HIP_vector_typeIfLj2EEffffjfiS5_IjLj3EEiiiiiiiiiiiliiliiiiil,comdat
	.globl	_ZL15flash_attn_tileILi112ELi112ELi8ELi1ELb1EEvPKcS1_S1_S1_S1_PKiPfP15HIP_vector_typeIfLj2EEffffjfiS5_IjLj3EEiiiiiiiiiiiliiliiiiil ; -- Begin function _ZL15flash_attn_tileILi112ELi112ELi8ELi1ELb1EEvPKcS1_S1_S1_S1_PKiPfP15HIP_vector_typeIfLj2EEffffjfiS5_IjLj3EEiiiiiiiiiiiliiliiiiil
	.p2align	8
	.type	_ZL15flash_attn_tileILi112ELi112ELi8ELi1ELb1EEvPKcS1_S1_S1_S1_PKiPfP15HIP_vector_typeIfLj2EEffffjfiS5_IjLj3EEiiiiiiiiiiiliiliiiiil,@function
_ZL15flash_attn_tileILi112ELi112ELi8ELi1ELb1EEvPKcS1_S1_S1_S1_PKiPfP15HIP_vector_typeIfLj2EEffffjfiS5_IjLj3EEiiiiiiiiiiiliiliiiiil: ; @_ZL15flash_attn_tileILi112ELi112ELi8ELi1ELb1EEvPKcS1_S1_S1_S1_PKiPfP15HIP_vector_typeIfLj2EEffffjfiS5_IjLj3EEiiiiiiiiiiiliiliiiiil
; %bb.0:
	s_add_u32 s8, s0, 0xd0
	s_addc_u32 s9, s1, 0
	s_mov_b32 s32, 0
	s_getpc_b64 s[0:1]
	s_add_u32 s0, s0, _ZL14no_device_codePKciS0_iS0_@rel32@lo+4
	s_addc_u32 s1, s1, _ZL14no_device_codePKciS0_iS0_@rel32@hi+12
	s_swappc_b64 s[30:31], s[0:1]
	.section	.rodata,"a",@progbits
	.p2align	6, 0x0
	.amdhsa_kernel _ZL15flash_attn_tileILi112ELi112ELi8ELi1ELb1EEvPKcS1_S1_S1_S1_PKiPfP15HIP_vector_typeIfLj2EEffffjfiS5_IjLj3EEiiiiiiiiiiiliiliiiiil
		.amdhsa_group_segment_fixed_size 0
		.amdhsa_private_segment_fixed_size 16
		.amdhsa_kernarg_size 464
		.amdhsa_user_sgpr_count 2
		.amdhsa_user_sgpr_dispatch_ptr 0
		.amdhsa_user_sgpr_queue_ptr 0
		.amdhsa_user_sgpr_kernarg_segment_ptr 1
		.amdhsa_user_sgpr_dispatch_id 0
		.amdhsa_user_sgpr_kernarg_preload_length 0
		.amdhsa_user_sgpr_kernarg_preload_offset 0
		.amdhsa_user_sgpr_private_segment_size 0
		.amdhsa_uses_dynamic_stack 0
		.amdhsa_enable_private_segment 1
		.amdhsa_system_sgpr_workgroup_id_x 1
		.amdhsa_system_sgpr_workgroup_id_y 0
		.amdhsa_system_sgpr_workgroup_id_z 0
		.amdhsa_system_sgpr_workgroup_info 0
		.amdhsa_system_vgpr_workitem_id 0
		.amdhsa_next_free_vgpr 39
		.amdhsa_next_free_sgpr 34
		.amdhsa_accum_offset 40
		.amdhsa_reserve_vcc 1
		.amdhsa_float_round_mode_32 0
		.amdhsa_float_round_mode_16_64 0
		.amdhsa_float_denorm_mode_32 3
		.amdhsa_float_denorm_mode_16_64 3
		.amdhsa_dx10_clamp 1
		.amdhsa_ieee_mode 1
		.amdhsa_fp16_overflow 0
		.amdhsa_tg_split 0
		.amdhsa_exception_fp_ieee_invalid_op 0
		.amdhsa_exception_fp_denorm_src 0
		.amdhsa_exception_fp_ieee_div_zero 0
		.amdhsa_exception_fp_ieee_overflow 0
		.amdhsa_exception_fp_ieee_underflow 0
		.amdhsa_exception_fp_ieee_inexact 0
		.amdhsa_exception_int_div_zero 0
	.end_amdhsa_kernel
	.section	.text._ZL15flash_attn_tileILi112ELi112ELi8ELi1ELb1EEvPKcS1_S1_S1_S1_PKiPfP15HIP_vector_typeIfLj2EEffffjfiS5_IjLj3EEiiiiiiiiiiiliiliiiiil,"axG",@progbits,_ZL15flash_attn_tileILi112ELi112ELi8ELi1ELb1EEvPKcS1_S1_S1_S1_PKiPfP15HIP_vector_typeIfLj2EEffffjfiS5_IjLj3EEiiiiiiiiiiiliiliiiiil,comdat
.Lfunc_end92:
	.size	_ZL15flash_attn_tileILi112ELi112ELi8ELi1ELb1EEvPKcS1_S1_S1_S1_PKiPfP15HIP_vector_typeIfLj2EEffffjfiS5_IjLj3EEiiiiiiiiiiiliiliiiiil, .Lfunc_end92-_ZL15flash_attn_tileILi112ELi112ELi8ELi1ELb1EEvPKcS1_S1_S1_S1_PKiPfP15HIP_vector_typeIfLj2EEffffjfiS5_IjLj3EEiiiiiiiiiiiliiliiiiil
                                        ; -- End function
	.section	.AMDGPU.csdata,"",@progbits
; Kernel info:
; codeLenInByte = 40
; NumSgprs: 40
; NumVgprs: 39
; NumAgprs: 0
; TotalNumVgprs: 39
; ScratchSize: 16
; MemoryBound: 0
; FloatMode: 240
; IeeeMode: 1
; LDSByteSize: 0 bytes/workgroup (compile time only)
; SGPRBlocks: 4
; VGPRBlocks: 4
; NumSGPRsForWavesPerEU: 40
; NumVGPRsForWavesPerEU: 39
; AccumOffset: 40
; Occupancy: 8
; WaveLimiterHint : 1
; COMPUTE_PGM_RSRC2:SCRATCH_EN: 1
; COMPUTE_PGM_RSRC2:USER_SGPR: 2
; COMPUTE_PGM_RSRC2:TRAP_HANDLER: 0
; COMPUTE_PGM_RSRC2:TGID_X_EN: 1
; COMPUTE_PGM_RSRC2:TGID_Y_EN: 0
; COMPUTE_PGM_RSRC2:TGID_Z_EN: 0
; COMPUTE_PGM_RSRC2:TIDIG_COMP_CNT: 0
; COMPUTE_PGM_RSRC3_GFX90A:ACCUM_OFFSET: 9
; COMPUTE_PGM_RSRC3_GFX90A:TG_SPLIT: 0
	.section	.text._ZL15flash_attn_tileILi112ELi112ELi4ELi1ELb1EEvPKcS1_S1_S1_S1_PKiPfP15HIP_vector_typeIfLj2EEffffjfiS5_IjLj3EEiiiiiiiiiiiliiliiiiil,"axG",@progbits,_ZL15flash_attn_tileILi112ELi112ELi4ELi1ELb1EEvPKcS1_S1_S1_S1_PKiPfP15HIP_vector_typeIfLj2EEffffjfiS5_IjLj3EEiiiiiiiiiiiliiliiiiil,comdat
	.globl	_ZL15flash_attn_tileILi112ELi112ELi4ELi1ELb1EEvPKcS1_S1_S1_S1_PKiPfP15HIP_vector_typeIfLj2EEffffjfiS5_IjLj3EEiiiiiiiiiiiliiliiiiil ; -- Begin function _ZL15flash_attn_tileILi112ELi112ELi4ELi1ELb1EEvPKcS1_S1_S1_S1_PKiPfP15HIP_vector_typeIfLj2EEffffjfiS5_IjLj3EEiiiiiiiiiiiliiliiiiil
	.p2align	8
	.type	_ZL15flash_attn_tileILi112ELi112ELi4ELi1ELb1EEvPKcS1_S1_S1_S1_PKiPfP15HIP_vector_typeIfLj2EEffffjfiS5_IjLj3EEiiiiiiiiiiiliiliiiiil,@function
_ZL15flash_attn_tileILi112ELi112ELi4ELi1ELb1EEvPKcS1_S1_S1_S1_PKiPfP15HIP_vector_typeIfLj2EEffffjfiS5_IjLj3EEiiiiiiiiiiiliiliiiiil: ; @_ZL15flash_attn_tileILi112ELi112ELi4ELi1ELb1EEvPKcS1_S1_S1_S1_PKiPfP15HIP_vector_typeIfLj2EEffffjfiS5_IjLj3EEiiiiiiiiiiiliiliiiiil
; %bb.0:
	s_add_u32 s8, s0, 0xd0
	s_addc_u32 s9, s1, 0
	s_mov_b32 s32, 0
	s_getpc_b64 s[0:1]
	s_add_u32 s0, s0, _ZL14no_device_codePKciS0_iS0_@rel32@lo+4
	s_addc_u32 s1, s1, _ZL14no_device_codePKciS0_iS0_@rel32@hi+12
	s_swappc_b64 s[30:31], s[0:1]
	.section	.rodata,"a",@progbits
	.p2align	6, 0x0
	.amdhsa_kernel _ZL15flash_attn_tileILi112ELi112ELi4ELi1ELb1EEvPKcS1_S1_S1_S1_PKiPfP15HIP_vector_typeIfLj2EEffffjfiS5_IjLj3EEiiiiiiiiiiiliiliiiiil
		.amdhsa_group_segment_fixed_size 0
		.amdhsa_private_segment_fixed_size 16
		.amdhsa_kernarg_size 464
		.amdhsa_user_sgpr_count 2
		.amdhsa_user_sgpr_dispatch_ptr 0
		.amdhsa_user_sgpr_queue_ptr 0
		.amdhsa_user_sgpr_kernarg_segment_ptr 1
		.amdhsa_user_sgpr_dispatch_id 0
		.amdhsa_user_sgpr_kernarg_preload_length 0
		.amdhsa_user_sgpr_kernarg_preload_offset 0
		.amdhsa_user_sgpr_private_segment_size 0
		.amdhsa_uses_dynamic_stack 0
		.amdhsa_enable_private_segment 1
		.amdhsa_system_sgpr_workgroup_id_x 1
		.amdhsa_system_sgpr_workgroup_id_y 0
		.amdhsa_system_sgpr_workgroup_id_z 0
		.amdhsa_system_sgpr_workgroup_info 0
		.amdhsa_system_vgpr_workitem_id 0
		.amdhsa_next_free_vgpr 39
		.amdhsa_next_free_sgpr 34
		.amdhsa_accum_offset 40
		.amdhsa_reserve_vcc 1
		.amdhsa_float_round_mode_32 0
		.amdhsa_float_round_mode_16_64 0
		.amdhsa_float_denorm_mode_32 3
		.amdhsa_float_denorm_mode_16_64 3
		.amdhsa_dx10_clamp 1
		.amdhsa_ieee_mode 1
		.amdhsa_fp16_overflow 0
		.amdhsa_tg_split 0
		.amdhsa_exception_fp_ieee_invalid_op 0
		.amdhsa_exception_fp_denorm_src 0
		.amdhsa_exception_fp_ieee_div_zero 0
		.amdhsa_exception_fp_ieee_overflow 0
		.amdhsa_exception_fp_ieee_underflow 0
		.amdhsa_exception_fp_ieee_inexact 0
		.amdhsa_exception_int_div_zero 0
	.end_amdhsa_kernel
	.section	.text._ZL15flash_attn_tileILi112ELi112ELi4ELi1ELb1EEvPKcS1_S1_S1_S1_PKiPfP15HIP_vector_typeIfLj2EEffffjfiS5_IjLj3EEiiiiiiiiiiiliiliiiiil,"axG",@progbits,_ZL15flash_attn_tileILi112ELi112ELi4ELi1ELb1EEvPKcS1_S1_S1_S1_PKiPfP15HIP_vector_typeIfLj2EEffffjfiS5_IjLj3EEiiiiiiiiiiiliiliiiiil,comdat
.Lfunc_end93:
	.size	_ZL15flash_attn_tileILi112ELi112ELi4ELi1ELb1EEvPKcS1_S1_S1_S1_PKiPfP15HIP_vector_typeIfLj2EEffffjfiS5_IjLj3EEiiiiiiiiiiiliiliiiiil, .Lfunc_end93-_ZL15flash_attn_tileILi112ELi112ELi4ELi1ELb1EEvPKcS1_S1_S1_S1_PKiPfP15HIP_vector_typeIfLj2EEffffjfiS5_IjLj3EEiiiiiiiiiiiliiliiiiil
                                        ; -- End function
	.section	.AMDGPU.csdata,"",@progbits
; Kernel info:
; codeLenInByte = 40
; NumSgprs: 40
; NumVgprs: 39
; NumAgprs: 0
; TotalNumVgprs: 39
; ScratchSize: 16
; MemoryBound: 0
; FloatMode: 240
; IeeeMode: 1
; LDSByteSize: 0 bytes/workgroup (compile time only)
; SGPRBlocks: 4
; VGPRBlocks: 4
; NumSGPRsForWavesPerEU: 40
; NumVGPRsForWavesPerEU: 39
; AccumOffset: 40
; Occupancy: 8
; WaveLimiterHint : 1
; COMPUTE_PGM_RSRC2:SCRATCH_EN: 1
; COMPUTE_PGM_RSRC2:USER_SGPR: 2
; COMPUTE_PGM_RSRC2:TRAP_HANDLER: 0
; COMPUTE_PGM_RSRC2:TGID_X_EN: 1
; COMPUTE_PGM_RSRC2:TGID_Y_EN: 0
; COMPUTE_PGM_RSRC2:TGID_Z_EN: 0
; COMPUTE_PGM_RSRC2:TIDIG_COMP_CNT: 0
; COMPUTE_PGM_RSRC3_GFX90A:ACCUM_OFFSET: 9
; COMPUTE_PGM_RSRC3_GFX90A:TG_SPLIT: 0
	.section	.text._ZL15flash_attn_tileILi112ELi112ELi2ELi1ELb1EEvPKcS1_S1_S1_S1_PKiPfP15HIP_vector_typeIfLj2EEffffjfiS5_IjLj3EEiiiiiiiiiiiliiliiiiil,"axG",@progbits,_ZL15flash_attn_tileILi112ELi112ELi2ELi1ELb1EEvPKcS1_S1_S1_S1_PKiPfP15HIP_vector_typeIfLj2EEffffjfiS5_IjLj3EEiiiiiiiiiiiliiliiiiil,comdat
	.globl	_ZL15flash_attn_tileILi112ELi112ELi2ELi1ELb1EEvPKcS1_S1_S1_S1_PKiPfP15HIP_vector_typeIfLj2EEffffjfiS5_IjLj3EEiiiiiiiiiiiliiliiiiil ; -- Begin function _ZL15flash_attn_tileILi112ELi112ELi2ELi1ELb1EEvPKcS1_S1_S1_S1_PKiPfP15HIP_vector_typeIfLj2EEffffjfiS5_IjLj3EEiiiiiiiiiiiliiliiiiil
	.p2align	8
	.type	_ZL15flash_attn_tileILi112ELi112ELi2ELi1ELb1EEvPKcS1_S1_S1_S1_PKiPfP15HIP_vector_typeIfLj2EEffffjfiS5_IjLj3EEiiiiiiiiiiiliiliiiiil,@function
_ZL15flash_attn_tileILi112ELi112ELi2ELi1ELb1EEvPKcS1_S1_S1_S1_PKiPfP15HIP_vector_typeIfLj2EEffffjfiS5_IjLj3EEiiiiiiiiiiiliiliiiiil: ; @_ZL15flash_attn_tileILi112ELi112ELi2ELi1ELb1EEvPKcS1_S1_S1_S1_PKiPfP15HIP_vector_typeIfLj2EEffffjfiS5_IjLj3EEiiiiiiiiiiiliiliiiiil
; %bb.0:
	s_add_u32 s8, s0, 0xd0
	s_addc_u32 s9, s1, 0
	s_mov_b32 s32, 0
	s_getpc_b64 s[0:1]
	s_add_u32 s0, s0, _ZL14no_device_codePKciS0_iS0_@rel32@lo+4
	s_addc_u32 s1, s1, _ZL14no_device_codePKciS0_iS0_@rel32@hi+12
	s_swappc_b64 s[30:31], s[0:1]
	.section	.rodata,"a",@progbits
	.p2align	6, 0x0
	.amdhsa_kernel _ZL15flash_attn_tileILi112ELi112ELi2ELi1ELb1EEvPKcS1_S1_S1_S1_PKiPfP15HIP_vector_typeIfLj2EEffffjfiS5_IjLj3EEiiiiiiiiiiiliiliiiiil
		.amdhsa_group_segment_fixed_size 0
		.amdhsa_private_segment_fixed_size 16
		.amdhsa_kernarg_size 464
		.amdhsa_user_sgpr_count 2
		.amdhsa_user_sgpr_dispatch_ptr 0
		.amdhsa_user_sgpr_queue_ptr 0
		.amdhsa_user_sgpr_kernarg_segment_ptr 1
		.amdhsa_user_sgpr_dispatch_id 0
		.amdhsa_user_sgpr_kernarg_preload_length 0
		.amdhsa_user_sgpr_kernarg_preload_offset 0
		.amdhsa_user_sgpr_private_segment_size 0
		.amdhsa_uses_dynamic_stack 0
		.amdhsa_enable_private_segment 1
		.amdhsa_system_sgpr_workgroup_id_x 1
		.amdhsa_system_sgpr_workgroup_id_y 0
		.amdhsa_system_sgpr_workgroup_id_z 0
		.amdhsa_system_sgpr_workgroup_info 0
		.amdhsa_system_vgpr_workitem_id 0
		.amdhsa_next_free_vgpr 39
		.amdhsa_next_free_sgpr 34
		.amdhsa_accum_offset 40
		.amdhsa_reserve_vcc 1
		.amdhsa_float_round_mode_32 0
		.amdhsa_float_round_mode_16_64 0
		.amdhsa_float_denorm_mode_32 3
		.amdhsa_float_denorm_mode_16_64 3
		.amdhsa_dx10_clamp 1
		.amdhsa_ieee_mode 1
		.amdhsa_fp16_overflow 0
		.amdhsa_tg_split 0
		.amdhsa_exception_fp_ieee_invalid_op 0
		.amdhsa_exception_fp_denorm_src 0
		.amdhsa_exception_fp_ieee_div_zero 0
		.amdhsa_exception_fp_ieee_overflow 0
		.amdhsa_exception_fp_ieee_underflow 0
		.amdhsa_exception_fp_ieee_inexact 0
		.amdhsa_exception_int_div_zero 0
	.end_amdhsa_kernel
	.section	.text._ZL15flash_attn_tileILi112ELi112ELi2ELi1ELb1EEvPKcS1_S1_S1_S1_PKiPfP15HIP_vector_typeIfLj2EEffffjfiS5_IjLj3EEiiiiiiiiiiiliiliiiiil,"axG",@progbits,_ZL15flash_attn_tileILi112ELi112ELi2ELi1ELb1EEvPKcS1_S1_S1_S1_PKiPfP15HIP_vector_typeIfLj2EEffffjfiS5_IjLj3EEiiiiiiiiiiiliiliiiiil,comdat
.Lfunc_end94:
	.size	_ZL15flash_attn_tileILi112ELi112ELi2ELi1ELb1EEvPKcS1_S1_S1_S1_PKiPfP15HIP_vector_typeIfLj2EEffffjfiS5_IjLj3EEiiiiiiiiiiiliiliiiiil, .Lfunc_end94-_ZL15flash_attn_tileILi112ELi112ELi2ELi1ELb1EEvPKcS1_S1_S1_S1_PKiPfP15HIP_vector_typeIfLj2EEffffjfiS5_IjLj3EEiiiiiiiiiiiliiliiiiil
                                        ; -- End function
	.section	.AMDGPU.csdata,"",@progbits
; Kernel info:
; codeLenInByte = 40
; NumSgprs: 40
; NumVgprs: 39
; NumAgprs: 0
; TotalNumVgprs: 39
; ScratchSize: 16
; MemoryBound: 0
; FloatMode: 240
; IeeeMode: 1
; LDSByteSize: 0 bytes/workgroup (compile time only)
; SGPRBlocks: 4
; VGPRBlocks: 4
; NumSGPRsForWavesPerEU: 40
; NumVGPRsForWavesPerEU: 39
; AccumOffset: 40
; Occupancy: 8
; WaveLimiterHint : 1
; COMPUTE_PGM_RSRC2:SCRATCH_EN: 1
; COMPUTE_PGM_RSRC2:USER_SGPR: 2
; COMPUTE_PGM_RSRC2:TRAP_HANDLER: 0
; COMPUTE_PGM_RSRC2:TGID_X_EN: 1
; COMPUTE_PGM_RSRC2:TGID_Y_EN: 0
; COMPUTE_PGM_RSRC2:TGID_Z_EN: 0
; COMPUTE_PGM_RSRC2:TIDIG_COMP_CNT: 0
; COMPUTE_PGM_RSRC3_GFX90A:ACCUM_OFFSET: 9
; COMPUTE_PGM_RSRC3_GFX90A:TG_SPLIT: 0
	.text
	.p2alignl 6, 3212836864
	.fill 256, 4, 3212836864
	.type	.str.1,@object                  ; @.str.1
	.section	.rodata.str1.1,"aMS",@progbits,1
.str.1:
	.asciz	"/root/src/amdgpu-assembly/repos/ggml-org__llama.cpp/ggml/src/ggml-cuda/template-instances/../fattn-tile.cuh"
	.size	.str.1, 108

	.type	__FUNCTION__._ZL15flash_attn_tileILi112ELi112ELi8ELi8ELb1EEvPKcS1_S1_S1_S1_PKiPfP15HIP_vector_typeIfLj2EEffffjfiS5_IjLj3EEiiiiiiiiiiiliiliiiiil,@object ; @__FUNCTION__._ZL15flash_attn_tileILi112ELi112ELi8ELi8ELb1EEvPKcS1_S1_S1_S1_PKiPfP15HIP_vector_typeIfLj2EEffffjfiS5_IjLj3EEiiiiiiiiiiiliiliiiiil
__FUNCTION__._ZL15flash_attn_tileILi112ELi112ELi8ELi8ELb1EEvPKcS1_S1_S1_S1_PKiPfP15HIP_vector_typeIfLj2EEffffjfiS5_IjLj3EEiiiiiiiiiiiliiliiiiil:
	.asciz	"flash_attn_tile"
	.size	__FUNCTION__._ZL15flash_attn_tileILi112ELi112ELi8ELi8ELb1EEvPKcS1_S1_S1_S1_PKiPfP15HIP_vector_typeIfLj2EEffffjfiS5_IjLj3EEiiiiiiiiiiiliiliiiiil, 16

	.type	.str.3,@object                  ; @.str.3
.str.3:
	.asciz	"%s:%d: ERROR: HIP kernel %s has no device code compatible with HIP arch %d.\n"
	.size	.str.3, 77

	.type	__hip_cuid_6f49559169a34e1b,@object ; @__hip_cuid_6f49559169a34e1b
	.section	.bss,"aw",@nobits
	.globl	__hip_cuid_6f49559169a34e1b
__hip_cuid_6f49559169a34e1b:
	.byte	0                               ; 0x0
	.size	__hip_cuid_6f49559169a34e1b, 1

	.ident	"AMD clang version 19.0.0git (https://github.com/RadeonOpenCompute/llvm-project roc-6.4.0 25133 c7fe45cf4b819c5991fe208aaa96edf142730f1d)"
	.section	".note.GNU-stack","",@progbits
	.addrsig
	.addrsig_sym __hip_cuid_6f49559169a34e1b
	.amdgpu_metadata
---
amdhsa.kernels:
  - .agpr_count:     0
    .args:
      - .address_space:  global
        .offset:         0
        .size:           8
        .value_kind:     global_buffer
      - .address_space:  global
        .offset:         8
        .size:           8
        .value_kind:     global_buffer
      - .address_space:  global
        .offset:         16
        .size:           8
        .value_kind:     global_buffer
      - .address_space:  global
        .offset:         24
        .size:           8
        .value_kind:     global_buffer
      - .address_space:  global
        .offset:         32
        .size:           8
        .value_kind:     global_buffer
      - .address_space:  global
        .offset:         40
        .size:           8
        .value_kind:     global_buffer
      - .address_space:  global
        .offset:         48
        .size:           8
        .value_kind:     global_buffer
      - .address_space:  global
        .offset:         56
        .size:           8
        .value_kind:     global_buffer
      - .offset:         64
        .size:           4
        .value_kind:     by_value
      - .offset:         68
        .size:           4
        .value_kind:     by_value
      - .offset:         72
        .size:           4
        .value_kind:     by_value
      - .offset:         76
        .size:           4
        .value_kind:     by_value
      - .offset:         80
        .size:           4
        .value_kind:     by_value
      - .offset:         84
        .size:           4
        .value_kind:     by_value
      - .offset:         88
        .size:           4
        .value_kind:     by_value
      - .offset:         92
        .size:           12
        .value_kind:     by_value
      - .offset:         104
        .size:           4
        .value_kind:     by_value
      - .offset:         108
        .size:           4
        .value_kind:     by_value
      - .offset:         112
        .size:           4
        .value_kind:     by_value
      - .offset:         116
        .size:           4
        .value_kind:     by_value
      - .offset:         120
        .size:           4
        .value_kind:     by_value
      - .offset:         124
        .size:           4
        .value_kind:     by_value
      - .offset:         128
        .size:           4
        .value_kind:     by_value
      - .offset:         132
        .size:           4
        .value_kind:     by_value
      - .offset:         136
        .size:           4
        .value_kind:     by_value
      - .offset:         140
        .size:           4
        .value_kind:     by_value
      - .offset:         144
        .size:           4
        .value_kind:     by_value
      - .offset:         152
        .size:           8
        .value_kind:     by_value
      - .offset:         160
        .size:           4
        .value_kind:     by_value
      - .offset:         164
        .size:           4
        .value_kind:     by_value
      - .offset:         168
        .size:           8
        .value_kind:     by_value
      - .offset:         176
        .size:           4
        .value_kind:     by_value
      - .offset:         180
        .size:           4
        .value_kind:     by_value
      - .offset:         184
        .size:           4
        .value_kind:     by_value
      - .offset:         188
        .size:           4
        .value_kind:     by_value
      - .offset:         192
        .size:           4
        .value_kind:     by_value
      - .offset:         200
        .size:           8
        .value_kind:     by_value
      - .offset:         208
        .size:           4
        .value_kind:     hidden_block_count_x
      - .offset:         212
        .size:           4
        .value_kind:     hidden_block_count_y
      - .offset:         216
        .size:           4
        .value_kind:     hidden_block_count_z
      - .offset:         220
        .size:           2
        .value_kind:     hidden_group_size_x
      - .offset:         222
        .size:           2
        .value_kind:     hidden_group_size_y
      - .offset:         224
        .size:           2
        .value_kind:     hidden_group_size_z
      - .offset:         226
        .size:           2
        .value_kind:     hidden_remainder_x
      - .offset:         228
        .size:           2
        .value_kind:     hidden_remainder_y
      - .offset:         230
        .size:           2
        .value_kind:     hidden_remainder_z
      - .offset:         248
        .size:           8
        .value_kind:     hidden_global_offset_x
      - .offset:         256
        .size:           8
        .value_kind:     hidden_global_offset_y
      - .offset:         264
        .size:           8
        .value_kind:     hidden_global_offset_z
      - .offset:         272
        .size:           2
        .value_kind:     hidden_grid_dims
    .group_segment_fixed_size: 22592
    .kernarg_segment_align: 8
    .kernarg_segment_size: 464
    .language:       OpenCL C
    .language_version:
      - 2
      - 0
    .max_flat_workgroup_size: 256
    .name:           _ZL15flash_attn_tileILi112ELi112ELi8ELi8ELb0EEvPKcS1_S1_S1_S1_PKiPfP15HIP_vector_typeIfLj2EEffffjfiS5_IjLj3EEiiiiiiiiiiiliiliiiiil
    .private_segment_fixed_size: 0
    .sgpr_count:     84
    .sgpr_spill_count: 0
    .symbol:         _ZL15flash_attn_tileILi112ELi112ELi8ELi8ELb0EEvPKcS1_S1_S1_S1_PKiPfP15HIP_vector_typeIfLj2EEffffjfiS5_IjLj3EEiiiiiiiiiiiliiliiiiil.kd
    .uniform_work_group_size: 1
    .uses_dynamic_stack: false
    .vgpr_count:     192
    .vgpr_spill_count: 0
    .wavefront_size: 64
  - .agpr_count:     0
    .args:
      - .actual_access:  read_only
        .address_space:  global
        .offset:         0
        .size:           8
        .value_kind:     global_buffer
      - .actual_access:  write_only
        .address_space:  global
        .offset:         8
        .size:           8
        .value_kind:     global_buffer
      - .offset:         16
        .size:           4
        .value_kind:     by_value
      - .offset:         20
        .size:           4
        .value_kind:     by_value
      - .offset:         24
        .size:           4
        .value_kind:     by_value
      - .offset:         32
        .size:           4
        .value_kind:     hidden_block_count_x
      - .offset:         36
        .size:           4
        .value_kind:     hidden_block_count_y
      - .offset:         40
        .size:           4
        .value_kind:     hidden_block_count_z
      - .offset:         44
        .size:           2
        .value_kind:     hidden_group_size_x
      - .offset:         46
        .size:           2
        .value_kind:     hidden_group_size_y
      - .offset:         48
        .size:           2
        .value_kind:     hidden_group_size_z
      - .offset:         50
        .size:           2
        .value_kind:     hidden_remainder_x
      - .offset:         52
        .size:           2
        .value_kind:     hidden_remainder_y
      - .offset:         54
        .size:           2
        .value_kind:     hidden_remainder_z
      - .offset:         72
        .size:           8
        .value_kind:     hidden_global_offset_x
      - .offset:         80
        .size:           8
        .value_kind:     hidden_global_offset_y
      - .offset:         88
        .size:           8
        .value_kind:     hidden_global_offset_z
      - .offset:         96
        .size:           2
        .value_kind:     hidden_grid_dims
    .group_segment_fixed_size: 128
    .kernarg_segment_align: 8
    .kernarg_segment_size: 288
    .language:       OpenCL C
    .language_version:
      - 2
      - 0
    .max_flat_workgroup_size: 128
    .name:           _ZL25flash_attn_mask_to_KV_maxILi8EEvPK7__half2Piiii
    .private_segment_fixed_size: 0
    .sgpr_count:     56
    .sgpr_spill_count: 0
    .symbol:         _ZL25flash_attn_mask_to_KV_maxILi8EEvPK7__half2Piiii.kd
    .uniform_work_group_size: 1
    .uses_dynamic_stack: false
    .vgpr_count:     17
    .vgpr_spill_count: 0
    .wavefront_size: 64
  - .agpr_count:     0
    .args:
      - .address_space:  global
        .offset:         0
        .size:           8
        .value_kind:     global_buffer
      - .address_space:  global
        .offset:         8
        .size:           8
        .value_kind:     global_buffer
      - .offset:         16
        .size:           4
        .value_kind:     by_value
      - .offset:         20
        .size:           4
        .value_kind:     by_value
      - .offset:         24
        .size:           4
        .value_kind:     by_value
      - .offset:         28
        .size:           4
        .value_kind:     by_value
      - .offset:         32
        .size:           4
        .value_kind:     by_value
      - .offset:         36
        .size:           4
        .value_kind:     by_value
      - .offset:         40
        .size:           12
        .value_kind:     by_value
      - .offset:         52
        .size:           12
        .value_kind:     by_value
      - .offset:         64
        .size:           12
        .value_kind:     by_value
    .group_segment_fixed_size: 0
    .kernarg_segment_align: 8
    .kernarg_segment_size: 76
    .language:       OpenCL C
    .language_version:
      - 2
      - 0
    .max_flat_workgroup_size: 112
    .name:           _ZL33flash_attn_stream_k_fixup_uniformILi112ELi8ELi8EEvPfPK15HIP_vector_typeIfLj2EEiiiiiiS1_IjLj3EES5_S5_
    .private_segment_fixed_size: 0
    .sgpr_count:     26
    .sgpr_spill_count: 0
    .symbol:         _ZL33flash_attn_stream_k_fixup_uniformILi112ELi8ELi8EEvPfPK15HIP_vector_typeIfLj2EEiiiiiiS1_IjLj3EES5_S5_.kd
    .uniform_work_group_size: 1
    .uses_dynamic_stack: false
    .vgpr_count:     16
    .vgpr_spill_count: 0
    .wavefront_size: 64
  - .agpr_count:     0
    .args:
      - .address_space:  global
        .offset:         0
        .size:           8
        .value_kind:     global_buffer
      - .address_space:  global
        .offset:         8
        .size:           8
        .value_kind:     global_buffer
      - .offset:         16
        .size:           4
        .value_kind:     by_value
      - .offset:         20
        .size:           4
        .value_kind:     by_value
      - .offset:         24
        .size:           4
        .value_kind:     by_value
      - .offset:         28
        .size:           4
        .value_kind:     by_value
      - .offset:         32
        .size:           12
        .value_kind:     by_value
      - .offset:         44
        .size:           12
        .value_kind:     by_value
      - .offset:         56
        .size:           12
        .value_kind:     by_value
      - .offset:         68
        .size:           12
        .value_kind:     by_value
      - .offset:         80
        .size:           4
        .value_kind:     hidden_block_count_x
      - .offset:         84
        .size:           4
        .value_kind:     hidden_block_count_y
      - .offset:         88
        .size:           4
        .value_kind:     hidden_block_count_z
      - .offset:         92
        .size:           2
        .value_kind:     hidden_group_size_x
      - .offset:         94
        .size:           2
        .value_kind:     hidden_group_size_y
      - .offset:         96
        .size:           2
        .value_kind:     hidden_group_size_z
      - .offset:         98
        .size:           2
        .value_kind:     hidden_remainder_x
      - .offset:         100
        .size:           2
        .value_kind:     hidden_remainder_y
      - .offset:         102
        .size:           2
        .value_kind:     hidden_remainder_z
      - .offset:         120
        .size:           8
        .value_kind:     hidden_global_offset_x
      - .offset:         128
        .size:           8
        .value_kind:     hidden_global_offset_y
      - .offset:         136
        .size:           8
        .value_kind:     hidden_global_offset_z
      - .offset:         144
        .size:           2
        .value_kind:     hidden_grid_dims
    .group_segment_fixed_size: 0
    .kernarg_segment_align: 8
    .kernarg_segment_size: 336
    .language:       OpenCL C
    .language_version:
      - 2
      - 0
    .max_flat_workgroup_size: 112
    .name:           _ZL33flash_attn_stream_k_fixup_generalILi112ELi8ELi8EEvPfPK15HIP_vector_typeIfLj2EEiiiiS1_IjLj3EES5_S5_S5_
    .private_segment_fixed_size: 0
    .sgpr_count:     38
    .sgpr_spill_count: 0
    .symbol:         _ZL33flash_attn_stream_k_fixup_generalILi112ELi8ELi8EEvPfPK15HIP_vector_typeIfLj2EEiiiiS1_IjLj3EES5_S5_S5_.kd
    .uniform_work_group_size: 1
    .uses_dynamic_stack: false
    .vgpr_count:     22
    .vgpr_spill_count: 0
    .wavefront_size: 64
  - .agpr_count:     0
    .args:
      - .address_space:  global
        .offset:         0
        .size:           8
        .value_kind:     global_buffer
      - .address_space:  global
        .offset:         8
        .size:           8
        .value_kind:     global_buffer
      - .address_space:  global
        .offset:         16
        .size:           8
        .value_kind:     global_buffer
      - .offset:         24
        .size:           4
        .value_kind:     by_value
      - .offset:         32
        .size:           4
        .value_kind:     hidden_block_count_x
      - .offset:         36
        .size:           4
        .value_kind:     hidden_block_count_y
      - .offset:         40
        .size:           4
        .value_kind:     hidden_block_count_z
      - .offset:         44
        .size:           2
        .value_kind:     hidden_group_size_x
      - .offset:         46
        .size:           2
        .value_kind:     hidden_group_size_y
      - .offset:         48
        .size:           2
        .value_kind:     hidden_group_size_z
      - .offset:         50
        .size:           2
        .value_kind:     hidden_remainder_x
      - .offset:         52
        .size:           2
        .value_kind:     hidden_remainder_y
      - .offset:         54
        .size:           2
        .value_kind:     hidden_remainder_z
      - .offset:         72
        .size:           8
        .value_kind:     hidden_global_offset_x
      - .offset:         80
        .size:           8
        .value_kind:     hidden_global_offset_y
      - .offset:         88
        .size:           8
        .value_kind:     hidden_global_offset_z
      - .offset:         96
        .size:           2
        .value_kind:     hidden_grid_dims
      - .offset:         152
        .size:           4
        .value_kind:     hidden_dynamic_lds_size
    .group_segment_fixed_size: 0
    .kernarg_segment_align: 8
    .kernarg_segment_size: 288
    .language:       OpenCL C
    .language_version:
      - 2
      - 0
    .max_flat_workgroup_size: 112
    .name:           _ZL26flash_attn_combine_resultsILi112EEvPKfPK15HIP_vector_typeIfLj2EEPfi
    .private_segment_fixed_size: 0
    .sgpr_count:     38
    .sgpr_spill_count: 0
    .symbol:         _ZL26flash_attn_combine_resultsILi112EEvPKfPK15HIP_vector_typeIfLj2EEPfi.kd
    .uniform_work_group_size: 1
    .uses_dynamic_stack: false
    .vgpr_count:     51
    .vgpr_spill_count: 0
    .wavefront_size: 64
  - .agpr_count:     0
    .args:
      - .address_space:  global
        .offset:         0
        .size:           8
        .value_kind:     global_buffer
      - .address_space:  global
        .offset:         8
        .size:           8
        .value_kind:     global_buffer
      - .address_space:  global
        .offset:         16
        .size:           8
        .value_kind:     global_buffer
      - .address_space:  global
        .offset:         24
        .size:           8
        .value_kind:     global_buffer
      - .address_space:  global
        .offset:         32
        .size:           8
        .value_kind:     global_buffer
      - .address_space:  global
        .offset:         40
        .size:           8
        .value_kind:     global_buffer
      - .address_space:  global
        .offset:         48
        .size:           8
        .value_kind:     global_buffer
      - .address_space:  global
        .offset:         56
        .size:           8
        .value_kind:     global_buffer
      - .offset:         64
        .size:           4
        .value_kind:     by_value
      - .offset:         68
        .size:           4
        .value_kind:     by_value
      - .offset:         72
        .size:           4
        .value_kind:     by_value
      - .offset:         76
        .size:           4
        .value_kind:     by_value
      - .offset:         80
        .size:           4
        .value_kind:     by_value
      - .offset:         84
        .size:           4
        .value_kind:     by_value
      - .offset:         88
        .size:           4
        .value_kind:     by_value
      - .offset:         92
        .size:           12
        .value_kind:     by_value
      - .offset:         104
        .size:           4
        .value_kind:     by_value
      - .offset:         108
        .size:           4
        .value_kind:     by_value
      - .offset:         112
        .size:           4
        .value_kind:     by_value
      - .offset:         116
        .size:           4
        .value_kind:     by_value
      - .offset:         120
        .size:           4
        .value_kind:     by_value
      - .offset:         124
        .size:           4
        .value_kind:     by_value
      - .offset:         128
        .size:           4
        .value_kind:     by_value
      - .offset:         132
        .size:           4
        .value_kind:     by_value
      - .offset:         136
        .size:           4
        .value_kind:     by_value
      - .offset:         140
        .size:           4
        .value_kind:     by_value
      - .offset:         144
        .size:           4
        .value_kind:     by_value
      - .offset:         152
        .size:           8
        .value_kind:     by_value
      - .offset:         160
        .size:           4
        .value_kind:     by_value
      - .offset:         164
        .size:           4
        .value_kind:     by_value
      - .offset:         168
        .size:           8
        .value_kind:     by_value
      - .offset:         176
        .size:           4
        .value_kind:     by_value
      - .offset:         180
        .size:           4
        .value_kind:     by_value
      - .offset:         184
        .size:           4
        .value_kind:     by_value
      - .offset:         188
        .size:           4
        .value_kind:     by_value
      - .offset:         192
        .size:           4
        .value_kind:     by_value
      - .offset:         200
        .size:           8
        .value_kind:     by_value
      - .offset:         208
        .size:           4
        .value_kind:     hidden_block_count_x
      - .offset:         212
        .size:           4
        .value_kind:     hidden_block_count_y
      - .offset:         216
        .size:           4
        .value_kind:     hidden_block_count_z
      - .offset:         220
        .size:           2
        .value_kind:     hidden_group_size_x
      - .offset:         222
        .size:           2
        .value_kind:     hidden_group_size_y
      - .offset:         224
        .size:           2
        .value_kind:     hidden_group_size_z
      - .offset:         226
        .size:           2
        .value_kind:     hidden_remainder_x
      - .offset:         228
        .size:           2
        .value_kind:     hidden_remainder_y
      - .offset:         230
        .size:           2
        .value_kind:     hidden_remainder_z
      - .offset:         248
        .size:           8
        .value_kind:     hidden_global_offset_x
      - .offset:         256
        .size:           8
        .value_kind:     hidden_global_offset_y
      - .offset:         264
        .size:           8
        .value_kind:     hidden_global_offset_z
      - .offset:         272
        .size:           2
        .value_kind:     hidden_grid_dims
    .group_segment_fixed_size: 13376
    .kernarg_segment_align: 8
    .kernarg_segment_size: 464
    .language:       OpenCL C
    .language_version:
      - 2
      - 0
    .max_flat_workgroup_size: 256
    .name:           _ZL15flash_attn_tileILi112ELi112ELi4ELi8ELb0EEvPKcS1_S1_S1_S1_PKiPfP15HIP_vector_typeIfLj2EEffffjfiS5_IjLj3EEiiiiiiiiiiiliiliiiiil
    .private_segment_fixed_size: 0
    .sgpr_count:     68
    .sgpr_spill_count: 0
    .symbol:         _ZL15flash_attn_tileILi112ELi112ELi4ELi8ELb0EEvPKcS1_S1_S1_S1_PKiPfP15HIP_vector_typeIfLj2EEffffjfiS5_IjLj3EEiiiiiiiiiiiliiliiiiil.kd
    .uniform_work_group_size: 1
    .uses_dynamic_stack: false
    .vgpr_count:     138
    .vgpr_spill_count: 0
    .wavefront_size: 64
  - .agpr_count:     0
    .args:
      - .actual_access:  read_only
        .address_space:  global
        .offset:         0
        .size:           8
        .value_kind:     global_buffer
      - .actual_access:  write_only
        .address_space:  global
        .offset:         8
        .size:           8
        .value_kind:     global_buffer
      - .offset:         16
        .size:           4
        .value_kind:     by_value
      - .offset:         20
        .size:           4
        .value_kind:     by_value
      - .offset:         24
        .size:           4
        .value_kind:     by_value
      - .offset:         32
        .size:           4
        .value_kind:     hidden_block_count_x
      - .offset:         36
        .size:           4
        .value_kind:     hidden_block_count_y
      - .offset:         40
        .size:           4
        .value_kind:     hidden_block_count_z
      - .offset:         44
        .size:           2
        .value_kind:     hidden_group_size_x
      - .offset:         46
        .size:           2
        .value_kind:     hidden_group_size_y
      - .offset:         48
        .size:           2
        .value_kind:     hidden_group_size_z
      - .offset:         50
        .size:           2
        .value_kind:     hidden_remainder_x
      - .offset:         52
        .size:           2
        .value_kind:     hidden_remainder_y
      - .offset:         54
        .size:           2
        .value_kind:     hidden_remainder_z
      - .offset:         72
        .size:           8
        .value_kind:     hidden_global_offset_x
      - .offset:         80
        .size:           8
        .value_kind:     hidden_global_offset_y
      - .offset:         88
        .size:           8
        .value_kind:     hidden_global_offset_z
      - .offset:         96
        .size:           2
        .value_kind:     hidden_grid_dims
    .group_segment_fixed_size: 128
    .kernarg_segment_align: 8
    .kernarg_segment_size: 288
    .language:       OpenCL C
    .language_version:
      - 2
      - 0
    .max_flat_workgroup_size: 128
    .name:           _ZL25flash_attn_mask_to_KV_maxILi4EEvPK7__half2Piiii
    .private_segment_fixed_size: 0
    .sgpr_count:     42
    .sgpr_spill_count: 0
    .symbol:         _ZL25flash_attn_mask_to_KV_maxILi4EEvPK7__half2Piiii.kd
    .uniform_work_group_size: 1
    .uses_dynamic_stack: false
    .vgpr_count:     17
    .vgpr_spill_count: 0
    .wavefront_size: 64
  - .agpr_count:     0
    .args:
      - .address_space:  global
        .offset:         0
        .size:           8
        .value_kind:     global_buffer
      - .address_space:  global
        .offset:         8
        .size:           8
        .value_kind:     global_buffer
      - .offset:         16
        .size:           4
        .value_kind:     by_value
      - .offset:         20
        .size:           4
        .value_kind:     by_value
      - .offset:         24
        .size:           4
        .value_kind:     by_value
      - .offset:         28
        .size:           4
        .value_kind:     by_value
      - .offset:         32
        .size:           4
        .value_kind:     by_value
      - .offset:         36
        .size:           4
        .value_kind:     by_value
      - .offset:         40
        .size:           12
        .value_kind:     by_value
      - .offset:         52
        .size:           12
        .value_kind:     by_value
      - .offset:         64
        .size:           12
        .value_kind:     by_value
    .group_segment_fixed_size: 0
    .kernarg_segment_align: 8
    .kernarg_segment_size: 76
    .language:       OpenCL C
    .language_version:
      - 2
      - 0
    .max_flat_workgroup_size: 112
    .name:           _ZL33flash_attn_stream_k_fixup_uniformILi112ELi4ELi8EEvPfPK15HIP_vector_typeIfLj2EEiiiiiiS1_IjLj3EES5_S5_
    .private_segment_fixed_size: 0
    .sgpr_count:     26
    .sgpr_spill_count: 0
    .symbol:         _ZL33flash_attn_stream_k_fixup_uniformILi112ELi4ELi8EEvPfPK15HIP_vector_typeIfLj2EEiiiiiiS1_IjLj3EES5_S5_.kd
    .uniform_work_group_size: 1
    .uses_dynamic_stack: false
    .vgpr_count:     16
    .vgpr_spill_count: 0
    .wavefront_size: 64
  - .agpr_count:     0
    .args:
      - .address_space:  global
        .offset:         0
        .size:           8
        .value_kind:     global_buffer
      - .address_space:  global
        .offset:         8
        .size:           8
        .value_kind:     global_buffer
      - .offset:         16
        .size:           4
        .value_kind:     by_value
      - .offset:         20
        .size:           4
        .value_kind:     by_value
      - .offset:         24
        .size:           4
        .value_kind:     by_value
      - .offset:         28
        .size:           4
        .value_kind:     by_value
      - .offset:         32
        .size:           12
        .value_kind:     by_value
      - .offset:         44
        .size:           12
        .value_kind:     by_value
      - .offset:         56
        .size:           12
        .value_kind:     by_value
      - .offset:         68
        .size:           12
        .value_kind:     by_value
      - .offset:         80
        .size:           4
        .value_kind:     hidden_block_count_x
      - .offset:         84
        .size:           4
        .value_kind:     hidden_block_count_y
      - .offset:         88
        .size:           4
        .value_kind:     hidden_block_count_z
      - .offset:         92
        .size:           2
        .value_kind:     hidden_group_size_x
      - .offset:         94
        .size:           2
        .value_kind:     hidden_group_size_y
      - .offset:         96
        .size:           2
        .value_kind:     hidden_group_size_z
      - .offset:         98
        .size:           2
        .value_kind:     hidden_remainder_x
      - .offset:         100
        .size:           2
        .value_kind:     hidden_remainder_y
      - .offset:         102
        .size:           2
        .value_kind:     hidden_remainder_z
      - .offset:         120
        .size:           8
        .value_kind:     hidden_global_offset_x
      - .offset:         128
        .size:           8
        .value_kind:     hidden_global_offset_y
      - .offset:         136
        .size:           8
        .value_kind:     hidden_global_offset_z
      - .offset:         144
        .size:           2
        .value_kind:     hidden_grid_dims
    .group_segment_fixed_size: 0
    .kernarg_segment_align: 8
    .kernarg_segment_size: 336
    .language:       OpenCL C
    .language_version:
      - 2
      - 0
    .max_flat_workgroup_size: 112
    .name:           _ZL33flash_attn_stream_k_fixup_generalILi112ELi4ELi8EEvPfPK15HIP_vector_typeIfLj2EEiiiiS1_IjLj3EES5_S5_S5_
    .private_segment_fixed_size: 0
    .sgpr_count:     38
    .sgpr_spill_count: 0
    .symbol:         _ZL33flash_attn_stream_k_fixup_generalILi112ELi4ELi8EEvPfPK15HIP_vector_typeIfLj2EEiiiiS1_IjLj3EES5_S5_S5_.kd
    .uniform_work_group_size: 1
    .uses_dynamic_stack: false
    .vgpr_count:     22
    .vgpr_spill_count: 0
    .wavefront_size: 64
  - .agpr_count:     0
    .args:
      - .address_space:  global
        .offset:         0
        .size:           8
        .value_kind:     global_buffer
      - .address_space:  global
        .offset:         8
        .size:           8
        .value_kind:     global_buffer
      - .address_space:  global
        .offset:         16
        .size:           8
        .value_kind:     global_buffer
      - .address_space:  global
        .offset:         24
        .size:           8
        .value_kind:     global_buffer
      - .address_space:  global
        .offset:         32
        .size:           8
        .value_kind:     global_buffer
      - .address_space:  global
        .offset:         40
        .size:           8
        .value_kind:     global_buffer
      - .address_space:  global
        .offset:         48
        .size:           8
        .value_kind:     global_buffer
      - .address_space:  global
        .offset:         56
        .size:           8
        .value_kind:     global_buffer
      - .offset:         64
        .size:           4
        .value_kind:     by_value
      - .offset:         68
        .size:           4
        .value_kind:     by_value
      - .offset:         72
        .size:           4
        .value_kind:     by_value
      - .offset:         76
        .size:           4
        .value_kind:     by_value
      - .offset:         80
        .size:           4
        .value_kind:     by_value
      - .offset:         84
        .size:           4
        .value_kind:     by_value
      - .offset:         88
        .size:           4
        .value_kind:     by_value
      - .offset:         92
        .size:           12
        .value_kind:     by_value
      - .offset:         104
        .size:           4
        .value_kind:     by_value
      - .offset:         108
        .size:           4
        .value_kind:     by_value
      - .offset:         112
        .size:           4
        .value_kind:     by_value
      - .offset:         116
        .size:           4
        .value_kind:     by_value
      - .offset:         120
        .size:           4
        .value_kind:     by_value
      - .offset:         124
        .size:           4
        .value_kind:     by_value
      - .offset:         128
        .size:           4
        .value_kind:     by_value
      - .offset:         132
        .size:           4
        .value_kind:     by_value
      - .offset:         136
        .size:           4
        .value_kind:     by_value
      - .offset:         140
        .size:           4
        .value_kind:     by_value
      - .offset:         144
        .size:           4
        .value_kind:     by_value
      - .offset:         152
        .size:           8
        .value_kind:     by_value
      - .offset:         160
        .size:           4
        .value_kind:     by_value
      - .offset:         164
        .size:           4
        .value_kind:     by_value
      - .offset:         168
        .size:           8
        .value_kind:     by_value
      - .offset:         176
        .size:           4
        .value_kind:     by_value
      - .offset:         180
        .size:           4
        .value_kind:     by_value
      - .offset:         184
        .size:           4
        .value_kind:     by_value
      - .offset:         188
        .size:           4
        .value_kind:     by_value
      - .offset:         192
        .size:           4
        .value_kind:     by_value
      - .offset:         200
        .size:           8
        .value_kind:     by_value
      - .offset:         208
        .size:           4
        .value_kind:     hidden_block_count_x
      - .offset:         212
        .size:           4
        .value_kind:     hidden_block_count_y
      - .offset:         216
        .size:           4
        .value_kind:     hidden_block_count_z
      - .offset:         220
        .size:           2
        .value_kind:     hidden_group_size_x
      - .offset:         222
        .size:           2
        .value_kind:     hidden_group_size_y
      - .offset:         224
        .size:           2
        .value_kind:     hidden_group_size_z
      - .offset:         226
        .size:           2
        .value_kind:     hidden_remainder_x
      - .offset:         228
        .size:           2
        .value_kind:     hidden_remainder_y
      - .offset:         230
        .size:           2
        .value_kind:     hidden_remainder_z
      - .offset:         248
        .size:           8
        .value_kind:     hidden_global_offset_x
      - .offset:         256
        .size:           8
        .value_kind:     hidden_global_offset_y
      - .offset:         264
        .size:           8
        .value_kind:     hidden_global_offset_z
      - .offset:         272
        .size:           2
        .value_kind:     hidden_grid_dims
    .group_segment_fixed_size: 8768
    .kernarg_segment_align: 8
    .kernarg_segment_size: 464
    .language:       OpenCL C
    .language_version:
      - 2
      - 0
    .max_flat_workgroup_size: 256
    .name:           _ZL15flash_attn_tileILi112ELi112ELi2ELi8ELb0EEvPKcS1_S1_S1_S1_PKiPfP15HIP_vector_typeIfLj2EEffffjfiS5_IjLj3EEiiiiiiiiiiiliiliiiiil
    .private_segment_fixed_size: 0
    .sgpr_count:     60
    .sgpr_spill_count: 0
    .symbol:         _ZL15flash_attn_tileILi112ELi112ELi2ELi8ELb0EEvPKcS1_S1_S1_S1_PKiPfP15HIP_vector_typeIfLj2EEffffjfiS5_IjLj3EEiiiiiiiiiiiliiliiiiil.kd
    .uniform_work_group_size: 1
    .uses_dynamic_stack: false
    .vgpr_count:     110
    .vgpr_spill_count: 0
    .wavefront_size: 64
  - .agpr_count:     0
    .args:
      - .actual_access:  read_only
        .address_space:  global
        .offset:         0
        .size:           8
        .value_kind:     global_buffer
      - .actual_access:  write_only
        .address_space:  global
        .offset:         8
        .size:           8
        .value_kind:     global_buffer
      - .offset:         16
        .size:           4
        .value_kind:     by_value
      - .offset:         20
        .size:           4
        .value_kind:     by_value
      - .offset:         24
        .size:           4
        .value_kind:     by_value
      - .offset:         32
        .size:           4
        .value_kind:     hidden_block_count_x
      - .offset:         36
        .size:           4
        .value_kind:     hidden_block_count_y
      - .offset:         40
        .size:           4
        .value_kind:     hidden_block_count_z
      - .offset:         44
        .size:           2
        .value_kind:     hidden_group_size_x
      - .offset:         46
        .size:           2
        .value_kind:     hidden_group_size_y
      - .offset:         48
        .size:           2
        .value_kind:     hidden_group_size_z
      - .offset:         50
        .size:           2
        .value_kind:     hidden_remainder_x
      - .offset:         52
        .size:           2
        .value_kind:     hidden_remainder_y
      - .offset:         54
        .size:           2
        .value_kind:     hidden_remainder_z
      - .offset:         72
        .size:           8
        .value_kind:     hidden_global_offset_x
      - .offset:         80
        .size:           8
        .value_kind:     hidden_global_offset_y
      - .offset:         88
        .size:           8
        .value_kind:     hidden_global_offset_z
      - .offset:         96
        .size:           2
        .value_kind:     hidden_grid_dims
    .group_segment_fixed_size: 128
    .kernarg_segment_align: 8
    .kernarg_segment_size: 288
    .language:       OpenCL C
    .language_version:
      - 2
      - 0
    .max_flat_workgroup_size: 128
    .name:           _ZL25flash_attn_mask_to_KV_maxILi2EEvPK7__half2Piiii
    .private_segment_fixed_size: 0
    .sgpr_count:     32
    .sgpr_spill_count: 0
    .symbol:         _ZL25flash_attn_mask_to_KV_maxILi2EEvPK7__half2Piiii.kd
    .uniform_work_group_size: 1
    .uses_dynamic_stack: false
    .vgpr_count:     17
    .vgpr_spill_count: 0
    .wavefront_size: 64
  - .agpr_count:     0
    .args:
      - .address_space:  global
        .offset:         0
        .size:           8
        .value_kind:     global_buffer
      - .address_space:  global
        .offset:         8
        .size:           8
        .value_kind:     global_buffer
      - .offset:         16
        .size:           4
        .value_kind:     by_value
      - .offset:         20
        .size:           4
        .value_kind:     by_value
      - .offset:         24
        .size:           4
        .value_kind:     by_value
      - .offset:         28
        .size:           4
        .value_kind:     by_value
      - .offset:         32
        .size:           4
        .value_kind:     by_value
      - .offset:         36
        .size:           4
        .value_kind:     by_value
      - .offset:         40
        .size:           12
        .value_kind:     by_value
      - .offset:         52
        .size:           12
        .value_kind:     by_value
      - .offset:         64
        .size:           12
        .value_kind:     by_value
    .group_segment_fixed_size: 0
    .kernarg_segment_align: 8
    .kernarg_segment_size: 76
    .language:       OpenCL C
    .language_version:
      - 2
      - 0
    .max_flat_workgroup_size: 112
    .name:           _ZL33flash_attn_stream_k_fixup_uniformILi112ELi2ELi8EEvPfPK15HIP_vector_typeIfLj2EEiiiiiiS1_IjLj3EES5_S5_
    .private_segment_fixed_size: 0
    .sgpr_count:     26
    .sgpr_spill_count: 0
    .symbol:         _ZL33flash_attn_stream_k_fixup_uniformILi112ELi2ELi8EEvPfPK15HIP_vector_typeIfLj2EEiiiiiiS1_IjLj3EES5_S5_.kd
    .uniform_work_group_size: 1
    .uses_dynamic_stack: false
    .vgpr_count:     16
    .vgpr_spill_count: 0
    .wavefront_size: 64
  - .agpr_count:     0
    .args:
      - .address_space:  global
        .offset:         0
        .size:           8
        .value_kind:     global_buffer
      - .address_space:  global
        .offset:         8
        .size:           8
        .value_kind:     global_buffer
      - .offset:         16
        .size:           4
        .value_kind:     by_value
      - .offset:         20
        .size:           4
        .value_kind:     by_value
      - .offset:         24
        .size:           4
        .value_kind:     by_value
      - .offset:         28
        .size:           4
        .value_kind:     by_value
      - .offset:         32
        .size:           12
        .value_kind:     by_value
      - .offset:         44
        .size:           12
        .value_kind:     by_value
      - .offset:         56
        .size:           12
        .value_kind:     by_value
      - .offset:         68
        .size:           12
        .value_kind:     by_value
      - .offset:         80
        .size:           4
        .value_kind:     hidden_block_count_x
      - .offset:         84
        .size:           4
        .value_kind:     hidden_block_count_y
      - .offset:         88
        .size:           4
        .value_kind:     hidden_block_count_z
      - .offset:         92
        .size:           2
        .value_kind:     hidden_group_size_x
      - .offset:         94
        .size:           2
        .value_kind:     hidden_group_size_y
      - .offset:         96
        .size:           2
        .value_kind:     hidden_group_size_z
      - .offset:         98
        .size:           2
        .value_kind:     hidden_remainder_x
      - .offset:         100
        .size:           2
        .value_kind:     hidden_remainder_y
      - .offset:         102
        .size:           2
        .value_kind:     hidden_remainder_z
      - .offset:         120
        .size:           8
        .value_kind:     hidden_global_offset_x
      - .offset:         128
        .size:           8
        .value_kind:     hidden_global_offset_y
      - .offset:         136
        .size:           8
        .value_kind:     hidden_global_offset_z
      - .offset:         144
        .size:           2
        .value_kind:     hidden_grid_dims
    .group_segment_fixed_size: 0
    .kernarg_segment_align: 8
    .kernarg_segment_size: 336
    .language:       OpenCL C
    .language_version:
      - 2
      - 0
    .max_flat_workgroup_size: 112
    .name:           _ZL33flash_attn_stream_k_fixup_generalILi112ELi2ELi8EEvPfPK15HIP_vector_typeIfLj2EEiiiiS1_IjLj3EES5_S5_S5_
    .private_segment_fixed_size: 0
    .sgpr_count:     38
    .sgpr_spill_count: 0
    .symbol:         _ZL33flash_attn_stream_k_fixup_generalILi112ELi2ELi8EEvPfPK15HIP_vector_typeIfLj2EEiiiiS1_IjLj3EES5_S5_S5_.kd
    .uniform_work_group_size: 1
    .uses_dynamic_stack: false
    .vgpr_count:     22
    .vgpr_spill_count: 0
    .wavefront_size: 64
  - .agpr_count:     0
    .args:
      - .address_space:  global
        .offset:         0
        .size:           8
        .value_kind:     global_buffer
      - .address_space:  global
        .offset:         8
        .size:           8
        .value_kind:     global_buffer
      - .address_space:  global
        .offset:         16
        .size:           8
        .value_kind:     global_buffer
      - .address_space:  global
        .offset:         24
        .size:           8
        .value_kind:     global_buffer
      - .address_space:  global
        .offset:         32
        .size:           8
        .value_kind:     global_buffer
      - .address_space:  global
        .offset:         40
        .size:           8
        .value_kind:     global_buffer
      - .address_space:  global
        .offset:         48
        .size:           8
        .value_kind:     global_buffer
      - .address_space:  global
        .offset:         56
        .size:           8
        .value_kind:     global_buffer
      - .offset:         64
        .size:           4
        .value_kind:     by_value
      - .offset:         68
        .size:           4
        .value_kind:     by_value
      - .offset:         72
        .size:           4
        .value_kind:     by_value
      - .offset:         76
        .size:           4
        .value_kind:     by_value
      - .offset:         80
        .size:           4
        .value_kind:     by_value
      - .offset:         84
        .size:           4
        .value_kind:     by_value
      - .offset:         88
        .size:           4
        .value_kind:     by_value
      - .offset:         92
        .size:           12
        .value_kind:     by_value
      - .offset:         104
        .size:           4
        .value_kind:     by_value
      - .offset:         108
        .size:           4
        .value_kind:     by_value
      - .offset:         112
        .size:           4
        .value_kind:     by_value
      - .offset:         116
        .size:           4
        .value_kind:     by_value
      - .offset:         120
        .size:           4
        .value_kind:     by_value
      - .offset:         124
        .size:           4
        .value_kind:     by_value
      - .offset:         128
        .size:           4
        .value_kind:     by_value
      - .offset:         132
        .size:           4
        .value_kind:     by_value
      - .offset:         136
        .size:           4
        .value_kind:     by_value
      - .offset:         140
        .size:           4
        .value_kind:     by_value
      - .offset:         144
        .size:           4
        .value_kind:     by_value
      - .offset:         152
        .size:           8
        .value_kind:     by_value
      - .offset:         160
        .size:           4
        .value_kind:     by_value
      - .offset:         164
        .size:           4
        .value_kind:     by_value
      - .offset:         168
        .size:           8
        .value_kind:     by_value
      - .offset:         176
        .size:           4
        .value_kind:     by_value
      - .offset:         180
        .size:           4
        .value_kind:     by_value
      - .offset:         184
        .size:           4
        .value_kind:     by_value
      - .offset:         188
        .size:           4
        .value_kind:     by_value
      - .offset:         192
        .size:           4
        .value_kind:     by_value
      - .offset:         200
        .size:           8
        .value_kind:     by_value
      - .offset:         208
        .size:           4
        .value_kind:     hidden_block_count_x
      - .offset:         212
        .size:           4
        .value_kind:     hidden_block_count_y
      - .offset:         216
        .size:           4
        .value_kind:     hidden_block_count_z
      - .offset:         220
        .size:           2
        .value_kind:     hidden_group_size_x
      - .offset:         222
        .size:           2
        .value_kind:     hidden_group_size_y
      - .offset:         224
        .size:           2
        .value_kind:     hidden_group_size_z
      - .offset:         226
        .size:           2
        .value_kind:     hidden_remainder_x
      - .offset:         228
        .size:           2
        .value_kind:     hidden_remainder_y
      - .offset:         230
        .size:           2
        .value_kind:     hidden_remainder_z
      - .offset:         248
        .size:           8
        .value_kind:     hidden_global_offset_x
      - .offset:         256
        .size:           8
        .value_kind:     hidden_global_offset_y
      - .offset:         264
        .size:           8
        .value_kind:     hidden_global_offset_z
      - .offset:         272
        .size:           2
        .value_kind:     hidden_grid_dims
    .group_segment_fixed_size: 6464
    .kernarg_segment_align: 8
    .kernarg_segment_size: 464
    .language:       OpenCL C
    .language_version:
      - 2
      - 0
    .max_flat_workgroup_size: 256
    .name:           _ZL15flash_attn_tileILi112ELi112ELi1ELi8ELb0EEvPKcS1_S1_S1_S1_PKiPfP15HIP_vector_typeIfLj2EEffffjfiS5_IjLj3EEiiiiiiiiiiiliiliiiiil
    .private_segment_fixed_size: 0
    .sgpr_count:     56
    .sgpr_spill_count: 0
    .symbol:         _ZL15flash_attn_tileILi112ELi112ELi1ELi8ELb0EEvPKcS1_S1_S1_S1_PKiPfP15HIP_vector_typeIfLj2EEffffjfiS5_IjLj3EEiiiiiiiiiiiliiliiiiil.kd
    .uniform_work_group_size: 1
    .uses_dynamic_stack: false
    .vgpr_count:     96
    .vgpr_spill_count: 0
    .wavefront_size: 64
  - .agpr_count:     0
    .args:
      - .actual_access:  read_only
        .address_space:  global
        .offset:         0
        .size:           8
        .value_kind:     global_buffer
      - .actual_access:  write_only
        .address_space:  global
        .offset:         8
        .size:           8
        .value_kind:     global_buffer
      - .offset:         16
        .size:           4
        .value_kind:     by_value
      - .offset:         20
        .size:           4
        .value_kind:     by_value
      - .offset:         24
        .size:           4
        .value_kind:     by_value
      - .offset:         32
        .size:           4
        .value_kind:     hidden_block_count_x
      - .offset:         36
        .size:           4
        .value_kind:     hidden_block_count_y
      - .offset:         40
        .size:           4
        .value_kind:     hidden_block_count_z
      - .offset:         44
        .size:           2
        .value_kind:     hidden_group_size_x
      - .offset:         46
        .size:           2
        .value_kind:     hidden_group_size_y
      - .offset:         48
        .size:           2
        .value_kind:     hidden_group_size_z
      - .offset:         50
        .size:           2
        .value_kind:     hidden_remainder_x
      - .offset:         52
        .size:           2
        .value_kind:     hidden_remainder_y
      - .offset:         54
        .size:           2
        .value_kind:     hidden_remainder_z
      - .offset:         72
        .size:           8
        .value_kind:     hidden_global_offset_x
      - .offset:         80
        .size:           8
        .value_kind:     hidden_global_offset_y
      - .offset:         88
        .size:           8
        .value_kind:     hidden_global_offset_z
      - .offset:         96
        .size:           2
        .value_kind:     hidden_grid_dims
    .group_segment_fixed_size: 128
    .kernarg_segment_align: 8
    .kernarg_segment_size: 288
    .language:       OpenCL C
    .language_version:
      - 2
      - 0
    .max_flat_workgroup_size: 128
    .name:           _ZL25flash_attn_mask_to_KV_maxILi1EEvPK7__half2Piiii
    .private_segment_fixed_size: 0
    .sgpr_count:     26
    .sgpr_spill_count: 0
    .symbol:         _ZL25flash_attn_mask_to_KV_maxILi1EEvPK7__half2Piiii.kd
    .uniform_work_group_size: 1
    .uses_dynamic_stack: false
    .vgpr_count:     18
    .vgpr_spill_count: 0
    .wavefront_size: 64
  - .agpr_count:     0
    .args:
      - .address_space:  global
        .offset:         0
        .size:           8
        .value_kind:     global_buffer
      - .address_space:  global
        .offset:         8
        .size:           8
        .value_kind:     global_buffer
      - .offset:         16
        .size:           4
        .value_kind:     by_value
      - .offset:         20
        .size:           4
        .value_kind:     by_value
      - .offset:         24
        .size:           4
        .value_kind:     by_value
      - .offset:         28
        .size:           4
        .value_kind:     by_value
      - .offset:         32
        .size:           4
        .value_kind:     by_value
      - .offset:         36
        .size:           4
        .value_kind:     by_value
      - .offset:         40
        .size:           12
        .value_kind:     by_value
      - .offset:         52
        .size:           12
        .value_kind:     by_value
      - .offset:         64
        .size:           12
        .value_kind:     by_value
    .group_segment_fixed_size: 0
    .kernarg_segment_align: 8
    .kernarg_segment_size: 76
    .language:       OpenCL C
    .language_version:
      - 2
      - 0
    .max_flat_workgroup_size: 112
    .name:           _ZL33flash_attn_stream_k_fixup_uniformILi112ELi1ELi8EEvPfPK15HIP_vector_typeIfLj2EEiiiiiiS1_IjLj3EES5_S5_
    .private_segment_fixed_size: 0
    .sgpr_count:     26
    .sgpr_spill_count: 0
    .symbol:         _ZL33flash_attn_stream_k_fixup_uniformILi112ELi1ELi8EEvPfPK15HIP_vector_typeIfLj2EEiiiiiiS1_IjLj3EES5_S5_.kd
    .uniform_work_group_size: 1
    .uses_dynamic_stack: false
    .vgpr_count:     16
    .vgpr_spill_count: 0
    .wavefront_size: 64
  - .agpr_count:     0
    .args:
      - .address_space:  global
        .offset:         0
        .size:           8
        .value_kind:     global_buffer
      - .address_space:  global
        .offset:         8
        .size:           8
        .value_kind:     global_buffer
      - .offset:         16
        .size:           4
        .value_kind:     by_value
      - .offset:         20
        .size:           4
        .value_kind:     by_value
      - .offset:         24
        .size:           4
        .value_kind:     by_value
      - .offset:         28
        .size:           4
        .value_kind:     by_value
      - .offset:         32
        .size:           12
        .value_kind:     by_value
      - .offset:         44
        .size:           12
        .value_kind:     by_value
      - .offset:         56
        .size:           12
        .value_kind:     by_value
      - .offset:         68
        .size:           12
        .value_kind:     by_value
      - .offset:         80
        .size:           4
        .value_kind:     hidden_block_count_x
      - .offset:         84
        .size:           4
        .value_kind:     hidden_block_count_y
      - .offset:         88
        .size:           4
        .value_kind:     hidden_block_count_z
      - .offset:         92
        .size:           2
        .value_kind:     hidden_group_size_x
      - .offset:         94
        .size:           2
        .value_kind:     hidden_group_size_y
      - .offset:         96
        .size:           2
        .value_kind:     hidden_group_size_z
      - .offset:         98
        .size:           2
        .value_kind:     hidden_remainder_x
      - .offset:         100
        .size:           2
        .value_kind:     hidden_remainder_y
      - .offset:         102
        .size:           2
        .value_kind:     hidden_remainder_z
      - .offset:         120
        .size:           8
        .value_kind:     hidden_global_offset_x
      - .offset:         128
        .size:           8
        .value_kind:     hidden_global_offset_y
      - .offset:         136
        .size:           8
        .value_kind:     hidden_global_offset_z
      - .offset:         144
        .size:           2
        .value_kind:     hidden_grid_dims
    .group_segment_fixed_size: 0
    .kernarg_segment_align: 8
    .kernarg_segment_size: 336
    .language:       OpenCL C
    .language_version:
      - 2
      - 0
    .max_flat_workgroup_size: 112
    .name:           _ZL33flash_attn_stream_k_fixup_generalILi112ELi1ELi8EEvPfPK15HIP_vector_typeIfLj2EEiiiiS1_IjLj3EES5_S5_S5_
    .private_segment_fixed_size: 0
    .sgpr_count:     38
    .sgpr_spill_count: 0
    .symbol:         _ZL33flash_attn_stream_k_fixup_generalILi112ELi1ELi8EEvPfPK15HIP_vector_typeIfLj2EEiiiiS1_IjLj3EES5_S5_S5_.kd
    .uniform_work_group_size: 1
    .uses_dynamic_stack: false
    .vgpr_count:     22
    .vgpr_spill_count: 0
    .wavefront_size: 64
  - .agpr_count:     0
    .args:
      - .address_space:  global
        .offset:         0
        .size:           8
        .value_kind:     global_buffer
      - .address_space:  global
        .offset:         8
        .size:           8
        .value_kind:     global_buffer
      - .address_space:  global
        .offset:         16
        .size:           8
        .value_kind:     global_buffer
      - .address_space:  global
        .offset:         24
        .size:           8
        .value_kind:     global_buffer
      - .address_space:  global
        .offset:         32
        .size:           8
        .value_kind:     global_buffer
      - .address_space:  global
        .offset:         40
        .size:           8
        .value_kind:     global_buffer
      - .address_space:  global
        .offset:         48
        .size:           8
        .value_kind:     global_buffer
      - .address_space:  global
        .offset:         56
        .size:           8
        .value_kind:     global_buffer
      - .offset:         64
        .size:           4
        .value_kind:     by_value
      - .offset:         68
        .size:           4
        .value_kind:     by_value
      - .offset:         72
        .size:           4
        .value_kind:     by_value
      - .offset:         76
        .size:           4
        .value_kind:     by_value
      - .offset:         80
        .size:           4
        .value_kind:     by_value
      - .offset:         84
        .size:           4
        .value_kind:     by_value
      - .offset:         88
        .size:           4
        .value_kind:     by_value
      - .offset:         92
        .size:           12
        .value_kind:     by_value
      - .offset:         104
        .size:           4
        .value_kind:     by_value
      - .offset:         108
        .size:           4
        .value_kind:     by_value
      - .offset:         112
        .size:           4
        .value_kind:     by_value
      - .offset:         116
        .size:           4
        .value_kind:     by_value
      - .offset:         120
        .size:           4
        .value_kind:     by_value
      - .offset:         124
        .size:           4
        .value_kind:     by_value
      - .offset:         128
        .size:           4
        .value_kind:     by_value
      - .offset:         132
        .size:           4
        .value_kind:     by_value
      - .offset:         136
        .size:           4
        .value_kind:     by_value
      - .offset:         140
        .size:           4
        .value_kind:     by_value
      - .offset:         144
        .size:           4
        .value_kind:     by_value
      - .offset:         152
        .size:           8
        .value_kind:     by_value
      - .offset:         160
        .size:           4
        .value_kind:     by_value
      - .offset:         164
        .size:           4
        .value_kind:     by_value
      - .offset:         168
        .size:           8
        .value_kind:     by_value
      - .offset:         176
        .size:           4
        .value_kind:     by_value
      - .offset:         180
        .size:           4
        .value_kind:     by_value
      - .offset:         184
        .size:           4
        .value_kind:     by_value
      - .offset:         188
        .size:           4
        .value_kind:     by_value
      - .offset:         192
        .size:           4
        .value_kind:     by_value
      - .offset:         200
        .size:           8
        .value_kind:     by_value
      - .offset:         208
        .size:           4
        .value_kind:     hidden_block_count_x
      - .offset:         212
        .size:           4
        .value_kind:     hidden_block_count_y
      - .offset:         216
        .size:           4
        .value_kind:     hidden_block_count_z
      - .offset:         220
        .size:           2
        .value_kind:     hidden_group_size_x
      - .offset:         222
        .size:           2
        .value_kind:     hidden_group_size_y
      - .offset:         224
        .size:           2
        .value_kind:     hidden_group_size_z
      - .offset:         226
        .size:           2
        .value_kind:     hidden_remainder_x
      - .offset:         228
        .size:           2
        .value_kind:     hidden_remainder_y
      - .offset:         230
        .size:           2
        .value_kind:     hidden_remainder_z
      - .offset:         248
        .size:           8
        .value_kind:     hidden_global_offset_x
      - .offset:         256
        .size:           8
        .value_kind:     hidden_global_offset_y
      - .offset:         264
        .size:           8
        .value_kind:     hidden_global_offset_z
      - .offset:         272
        .size:           2
        .value_kind:     hidden_grid_dims
    .group_segment_fixed_size: 22592
    .kernarg_segment_align: 8
    .kernarg_segment_size: 464
    .language:       OpenCL C
    .language_version:
      - 2
      - 0
    .max_flat_workgroup_size: 256
    .name:           _ZL15flash_attn_tileILi112ELi112ELi16ELi4ELb0EEvPKcS1_S1_S1_S1_PKiPfP15HIP_vector_typeIfLj2EEffffjfiS5_IjLj3EEiiiiiiiiiiiliiliiiiil
    .private_segment_fixed_size: 0
    .sgpr_count:     85
    .sgpr_spill_count: 0
    .symbol:         _ZL15flash_attn_tileILi112ELi112ELi16ELi4ELb0EEvPKcS1_S1_S1_S1_PKiPfP15HIP_vector_typeIfLj2EEffffjfiS5_IjLj3EEiiiiiiiiiiiliiliiiiil.kd
    .uniform_work_group_size: 1
    .uses_dynamic_stack: false
    .vgpr_count:     198
    .vgpr_spill_count: 0
    .wavefront_size: 64
  - .agpr_count:     0
    .args:
      - .actual_access:  read_only
        .address_space:  global
        .offset:         0
        .size:           8
        .value_kind:     global_buffer
      - .actual_access:  write_only
        .address_space:  global
        .offset:         8
        .size:           8
        .value_kind:     global_buffer
      - .offset:         16
        .size:           4
        .value_kind:     by_value
      - .offset:         20
        .size:           4
        .value_kind:     by_value
      - .offset:         24
        .size:           4
        .value_kind:     by_value
      - .offset:         32
        .size:           4
        .value_kind:     hidden_block_count_x
      - .offset:         36
        .size:           4
        .value_kind:     hidden_block_count_y
      - .offset:         40
        .size:           4
        .value_kind:     hidden_block_count_z
      - .offset:         44
        .size:           2
        .value_kind:     hidden_group_size_x
      - .offset:         46
        .size:           2
        .value_kind:     hidden_group_size_y
      - .offset:         48
        .size:           2
        .value_kind:     hidden_group_size_z
      - .offset:         50
        .size:           2
        .value_kind:     hidden_remainder_x
      - .offset:         52
        .size:           2
        .value_kind:     hidden_remainder_y
      - .offset:         54
        .size:           2
        .value_kind:     hidden_remainder_z
      - .offset:         72
        .size:           8
        .value_kind:     hidden_global_offset_x
      - .offset:         80
        .size:           8
        .value_kind:     hidden_global_offset_y
      - .offset:         88
        .size:           8
        .value_kind:     hidden_global_offset_z
      - .offset:         96
        .size:           2
        .value_kind:     hidden_grid_dims
    .group_segment_fixed_size: 128
    .kernarg_segment_align: 8
    .kernarg_segment_size: 288
    .language:       OpenCL C
    .language_version:
      - 2
      - 0
    .max_flat_workgroup_size: 128
    .name:           _ZL25flash_attn_mask_to_KV_maxILi16EEvPK7__half2Piiii
    .private_segment_fixed_size: 0
    .sgpr_count:     88
    .sgpr_spill_count: 0
    .symbol:         _ZL25flash_attn_mask_to_KV_maxILi16EEvPK7__half2Piiii.kd
    .uniform_work_group_size: 1
    .uses_dynamic_stack: false
    .vgpr_count:     12
    .vgpr_spill_count: 0
    .wavefront_size: 64
  - .agpr_count:     0
    .args:
      - .address_space:  global
        .offset:         0
        .size:           8
        .value_kind:     global_buffer
      - .address_space:  global
        .offset:         8
        .size:           8
        .value_kind:     global_buffer
      - .offset:         16
        .size:           4
        .value_kind:     by_value
      - .offset:         20
        .size:           4
        .value_kind:     by_value
      - .offset:         24
        .size:           4
        .value_kind:     by_value
      - .offset:         28
        .size:           4
        .value_kind:     by_value
      - .offset:         32
        .size:           4
        .value_kind:     by_value
      - .offset:         36
        .size:           4
        .value_kind:     by_value
      - .offset:         40
        .size:           12
        .value_kind:     by_value
      - .offset:         52
        .size:           12
        .value_kind:     by_value
      - .offset:         64
        .size:           12
        .value_kind:     by_value
    .group_segment_fixed_size: 0
    .kernarg_segment_align: 8
    .kernarg_segment_size: 76
    .language:       OpenCL C
    .language_version:
      - 2
      - 0
    .max_flat_workgroup_size: 112
    .name:           _ZL33flash_attn_stream_k_fixup_uniformILi112ELi16ELi4EEvPfPK15HIP_vector_typeIfLj2EEiiiiiiS1_IjLj3EES5_S5_
    .private_segment_fixed_size: 0
    .sgpr_count:     26
    .sgpr_spill_count: 0
    .symbol:         _ZL33flash_attn_stream_k_fixup_uniformILi112ELi16ELi4EEvPfPK15HIP_vector_typeIfLj2EEiiiiiiS1_IjLj3EES5_S5_.kd
    .uniform_work_group_size: 1
    .uses_dynamic_stack: false
    .vgpr_count:     16
    .vgpr_spill_count: 0
    .wavefront_size: 64
  - .agpr_count:     0
    .args:
      - .address_space:  global
        .offset:         0
        .size:           8
        .value_kind:     global_buffer
      - .address_space:  global
        .offset:         8
        .size:           8
        .value_kind:     global_buffer
      - .offset:         16
        .size:           4
        .value_kind:     by_value
      - .offset:         20
        .size:           4
        .value_kind:     by_value
      - .offset:         24
        .size:           4
        .value_kind:     by_value
      - .offset:         28
        .size:           4
        .value_kind:     by_value
      - .offset:         32
        .size:           12
        .value_kind:     by_value
      - .offset:         44
        .size:           12
        .value_kind:     by_value
      - .offset:         56
        .size:           12
        .value_kind:     by_value
      - .offset:         68
        .size:           12
        .value_kind:     by_value
      - .offset:         80
        .size:           4
        .value_kind:     hidden_block_count_x
      - .offset:         84
        .size:           4
        .value_kind:     hidden_block_count_y
      - .offset:         88
        .size:           4
        .value_kind:     hidden_block_count_z
      - .offset:         92
        .size:           2
        .value_kind:     hidden_group_size_x
      - .offset:         94
        .size:           2
        .value_kind:     hidden_group_size_y
      - .offset:         96
        .size:           2
        .value_kind:     hidden_group_size_z
      - .offset:         98
        .size:           2
        .value_kind:     hidden_remainder_x
      - .offset:         100
        .size:           2
        .value_kind:     hidden_remainder_y
      - .offset:         102
        .size:           2
        .value_kind:     hidden_remainder_z
      - .offset:         120
        .size:           8
        .value_kind:     hidden_global_offset_x
      - .offset:         128
        .size:           8
        .value_kind:     hidden_global_offset_y
      - .offset:         136
        .size:           8
        .value_kind:     hidden_global_offset_z
      - .offset:         144
        .size:           2
        .value_kind:     hidden_grid_dims
    .group_segment_fixed_size: 0
    .kernarg_segment_align: 8
    .kernarg_segment_size: 336
    .language:       OpenCL C
    .language_version:
      - 2
      - 0
    .max_flat_workgroup_size: 112
    .name:           _ZL33flash_attn_stream_k_fixup_generalILi112ELi16ELi4EEvPfPK15HIP_vector_typeIfLj2EEiiiiS1_IjLj3EES5_S5_S5_
    .private_segment_fixed_size: 0
    .sgpr_count:     38
    .sgpr_spill_count: 0
    .symbol:         _ZL33flash_attn_stream_k_fixup_generalILi112ELi16ELi4EEvPfPK15HIP_vector_typeIfLj2EEiiiiS1_IjLj3EES5_S5_S5_.kd
    .uniform_work_group_size: 1
    .uses_dynamic_stack: false
    .vgpr_count:     22
    .vgpr_spill_count: 0
    .wavefront_size: 64
  - .agpr_count:     0
    .args:
      - .address_space:  global
        .offset:         0
        .size:           8
        .value_kind:     global_buffer
      - .address_space:  global
        .offset:         8
        .size:           8
        .value_kind:     global_buffer
      - .address_space:  global
        .offset:         16
        .size:           8
        .value_kind:     global_buffer
      - .address_space:  global
        .offset:         24
        .size:           8
        .value_kind:     global_buffer
      - .address_space:  global
        .offset:         32
        .size:           8
        .value_kind:     global_buffer
      - .address_space:  global
        .offset:         40
        .size:           8
        .value_kind:     global_buffer
      - .address_space:  global
        .offset:         48
        .size:           8
        .value_kind:     global_buffer
      - .address_space:  global
        .offset:         56
        .size:           8
        .value_kind:     global_buffer
      - .offset:         64
        .size:           4
        .value_kind:     by_value
      - .offset:         68
        .size:           4
        .value_kind:     by_value
      - .offset:         72
        .size:           4
        .value_kind:     by_value
      - .offset:         76
        .size:           4
        .value_kind:     by_value
      - .offset:         80
        .size:           4
        .value_kind:     by_value
      - .offset:         84
        .size:           4
        .value_kind:     by_value
      - .offset:         88
        .size:           4
        .value_kind:     by_value
      - .offset:         92
        .size:           12
        .value_kind:     by_value
      - .offset:         104
        .size:           4
        .value_kind:     by_value
      - .offset:         108
        .size:           4
        .value_kind:     by_value
      - .offset:         112
        .size:           4
        .value_kind:     by_value
      - .offset:         116
        .size:           4
        .value_kind:     by_value
      - .offset:         120
        .size:           4
        .value_kind:     by_value
      - .offset:         124
        .size:           4
        .value_kind:     by_value
      - .offset:         128
        .size:           4
        .value_kind:     by_value
      - .offset:         132
        .size:           4
        .value_kind:     by_value
      - .offset:         136
        .size:           4
        .value_kind:     by_value
      - .offset:         140
        .size:           4
        .value_kind:     by_value
      - .offset:         144
        .size:           4
        .value_kind:     by_value
      - .offset:         152
        .size:           8
        .value_kind:     by_value
      - .offset:         160
        .size:           4
        .value_kind:     by_value
      - .offset:         164
        .size:           4
        .value_kind:     by_value
      - .offset:         168
        .size:           8
        .value_kind:     by_value
      - .offset:         176
        .size:           4
        .value_kind:     by_value
      - .offset:         180
        .size:           4
        .value_kind:     by_value
      - .offset:         184
        .size:           4
        .value_kind:     by_value
      - .offset:         188
        .size:           4
        .value_kind:     by_value
      - .offset:         192
        .size:           4
        .value_kind:     by_value
      - .offset:         200
        .size:           8
        .value_kind:     by_value
      - .offset:         208
        .size:           4
        .value_kind:     hidden_block_count_x
      - .offset:         212
        .size:           4
        .value_kind:     hidden_block_count_y
      - .offset:         216
        .size:           4
        .value_kind:     hidden_block_count_z
      - .offset:         220
        .size:           2
        .value_kind:     hidden_group_size_x
      - .offset:         222
        .size:           2
        .value_kind:     hidden_group_size_y
      - .offset:         224
        .size:           2
        .value_kind:     hidden_group_size_z
      - .offset:         226
        .size:           2
        .value_kind:     hidden_remainder_x
      - .offset:         228
        .size:           2
        .value_kind:     hidden_remainder_y
      - .offset:         230
        .size:           2
        .value_kind:     hidden_remainder_z
      - .offset:         248
        .size:           8
        .value_kind:     hidden_global_offset_x
      - .offset:         256
        .size:           8
        .value_kind:     hidden_global_offset_y
      - .offset:         264
        .size:           8
        .value_kind:     hidden_global_offset_z
      - .offset:         272
        .size:           2
        .value_kind:     hidden_grid_dims
    .group_segment_fixed_size: 13376
    .kernarg_segment_align: 8
    .kernarg_segment_size: 464
    .language:       OpenCL C
    .language_version:
      - 2
      - 0
    .max_flat_workgroup_size: 256
    .name:           _ZL15flash_attn_tileILi112ELi112ELi8ELi4ELb0EEvPKcS1_S1_S1_S1_PKiPfP15HIP_vector_typeIfLj2EEffffjfiS5_IjLj3EEiiiiiiiiiiiliiliiiiil
    .private_segment_fixed_size: 0
    .sgpr_count:     68
    .sgpr_spill_count: 0
    .symbol:         _ZL15flash_attn_tileILi112ELi112ELi8ELi4ELb0EEvPKcS1_S1_S1_S1_PKiPfP15HIP_vector_typeIfLj2EEffffjfiS5_IjLj3EEiiiiiiiiiiiliiliiiiil.kd
    .uniform_work_group_size: 1
    .uses_dynamic_stack: false
    .vgpr_count:     138
    .vgpr_spill_count: 0
    .wavefront_size: 64
  - .agpr_count:     0
    .args:
      - .address_space:  global
        .offset:         0
        .size:           8
        .value_kind:     global_buffer
      - .address_space:  global
        .offset:         8
        .size:           8
        .value_kind:     global_buffer
      - .offset:         16
        .size:           4
        .value_kind:     by_value
      - .offset:         20
        .size:           4
        .value_kind:     by_value
      - .offset:         24
        .size:           4
        .value_kind:     by_value
      - .offset:         28
        .size:           4
        .value_kind:     by_value
      - .offset:         32
        .size:           4
        .value_kind:     by_value
      - .offset:         36
        .size:           4
        .value_kind:     by_value
      - .offset:         40
        .size:           12
        .value_kind:     by_value
      - .offset:         52
        .size:           12
        .value_kind:     by_value
      - .offset:         64
        .size:           12
        .value_kind:     by_value
    .group_segment_fixed_size: 0
    .kernarg_segment_align: 8
    .kernarg_segment_size: 76
    .language:       OpenCL C
    .language_version:
      - 2
      - 0
    .max_flat_workgroup_size: 112
    .name:           _ZL33flash_attn_stream_k_fixup_uniformILi112ELi8ELi4EEvPfPK15HIP_vector_typeIfLj2EEiiiiiiS1_IjLj3EES5_S5_
    .private_segment_fixed_size: 0
    .sgpr_count:     26
    .sgpr_spill_count: 0
    .symbol:         _ZL33flash_attn_stream_k_fixup_uniformILi112ELi8ELi4EEvPfPK15HIP_vector_typeIfLj2EEiiiiiiS1_IjLj3EES5_S5_.kd
    .uniform_work_group_size: 1
    .uses_dynamic_stack: false
    .vgpr_count:     16
    .vgpr_spill_count: 0
    .wavefront_size: 64
  - .agpr_count:     0
    .args:
      - .address_space:  global
        .offset:         0
        .size:           8
        .value_kind:     global_buffer
      - .address_space:  global
        .offset:         8
        .size:           8
        .value_kind:     global_buffer
      - .offset:         16
        .size:           4
        .value_kind:     by_value
      - .offset:         20
        .size:           4
        .value_kind:     by_value
      - .offset:         24
        .size:           4
        .value_kind:     by_value
      - .offset:         28
        .size:           4
        .value_kind:     by_value
      - .offset:         32
        .size:           12
        .value_kind:     by_value
      - .offset:         44
        .size:           12
        .value_kind:     by_value
      - .offset:         56
        .size:           12
        .value_kind:     by_value
      - .offset:         68
        .size:           12
        .value_kind:     by_value
      - .offset:         80
        .size:           4
        .value_kind:     hidden_block_count_x
      - .offset:         84
        .size:           4
        .value_kind:     hidden_block_count_y
      - .offset:         88
        .size:           4
        .value_kind:     hidden_block_count_z
      - .offset:         92
        .size:           2
        .value_kind:     hidden_group_size_x
      - .offset:         94
        .size:           2
        .value_kind:     hidden_group_size_y
      - .offset:         96
        .size:           2
        .value_kind:     hidden_group_size_z
      - .offset:         98
        .size:           2
        .value_kind:     hidden_remainder_x
      - .offset:         100
        .size:           2
        .value_kind:     hidden_remainder_y
      - .offset:         102
        .size:           2
        .value_kind:     hidden_remainder_z
      - .offset:         120
        .size:           8
        .value_kind:     hidden_global_offset_x
      - .offset:         128
        .size:           8
        .value_kind:     hidden_global_offset_y
      - .offset:         136
        .size:           8
        .value_kind:     hidden_global_offset_z
      - .offset:         144
        .size:           2
        .value_kind:     hidden_grid_dims
    .group_segment_fixed_size: 0
    .kernarg_segment_align: 8
    .kernarg_segment_size: 336
    .language:       OpenCL C
    .language_version:
      - 2
      - 0
    .max_flat_workgroup_size: 112
    .name:           _ZL33flash_attn_stream_k_fixup_generalILi112ELi8ELi4EEvPfPK15HIP_vector_typeIfLj2EEiiiiS1_IjLj3EES5_S5_S5_
    .private_segment_fixed_size: 0
    .sgpr_count:     38
    .sgpr_spill_count: 0
    .symbol:         _ZL33flash_attn_stream_k_fixup_generalILi112ELi8ELi4EEvPfPK15HIP_vector_typeIfLj2EEiiiiS1_IjLj3EES5_S5_S5_.kd
    .uniform_work_group_size: 1
    .uses_dynamic_stack: false
    .vgpr_count:     22
    .vgpr_spill_count: 0
    .wavefront_size: 64
  - .agpr_count:     0
    .args:
      - .address_space:  global
        .offset:         0
        .size:           8
        .value_kind:     global_buffer
      - .address_space:  global
        .offset:         8
        .size:           8
        .value_kind:     global_buffer
      - .address_space:  global
        .offset:         16
        .size:           8
        .value_kind:     global_buffer
      - .address_space:  global
        .offset:         24
        .size:           8
        .value_kind:     global_buffer
      - .address_space:  global
        .offset:         32
        .size:           8
        .value_kind:     global_buffer
      - .address_space:  global
        .offset:         40
        .size:           8
        .value_kind:     global_buffer
      - .address_space:  global
        .offset:         48
        .size:           8
        .value_kind:     global_buffer
      - .address_space:  global
        .offset:         56
        .size:           8
        .value_kind:     global_buffer
      - .offset:         64
        .size:           4
        .value_kind:     by_value
      - .offset:         68
        .size:           4
        .value_kind:     by_value
      - .offset:         72
        .size:           4
        .value_kind:     by_value
      - .offset:         76
        .size:           4
        .value_kind:     by_value
      - .offset:         80
        .size:           4
        .value_kind:     by_value
      - .offset:         84
        .size:           4
        .value_kind:     by_value
      - .offset:         88
        .size:           4
        .value_kind:     by_value
      - .offset:         92
        .size:           12
        .value_kind:     by_value
      - .offset:         104
        .size:           4
        .value_kind:     by_value
      - .offset:         108
        .size:           4
        .value_kind:     by_value
      - .offset:         112
        .size:           4
        .value_kind:     by_value
      - .offset:         116
        .size:           4
        .value_kind:     by_value
      - .offset:         120
        .size:           4
        .value_kind:     by_value
      - .offset:         124
        .size:           4
        .value_kind:     by_value
      - .offset:         128
        .size:           4
        .value_kind:     by_value
      - .offset:         132
        .size:           4
        .value_kind:     by_value
      - .offset:         136
        .size:           4
        .value_kind:     by_value
      - .offset:         140
        .size:           4
        .value_kind:     by_value
      - .offset:         144
        .size:           4
        .value_kind:     by_value
      - .offset:         152
        .size:           8
        .value_kind:     by_value
      - .offset:         160
        .size:           4
        .value_kind:     by_value
      - .offset:         164
        .size:           4
        .value_kind:     by_value
      - .offset:         168
        .size:           8
        .value_kind:     by_value
      - .offset:         176
        .size:           4
        .value_kind:     by_value
      - .offset:         180
        .size:           4
        .value_kind:     by_value
      - .offset:         184
        .size:           4
        .value_kind:     by_value
      - .offset:         188
        .size:           4
        .value_kind:     by_value
      - .offset:         192
        .size:           4
        .value_kind:     by_value
      - .offset:         200
        .size:           8
        .value_kind:     by_value
      - .offset:         208
        .size:           4
        .value_kind:     hidden_block_count_x
      - .offset:         212
        .size:           4
        .value_kind:     hidden_block_count_y
      - .offset:         216
        .size:           4
        .value_kind:     hidden_block_count_z
      - .offset:         220
        .size:           2
        .value_kind:     hidden_group_size_x
      - .offset:         222
        .size:           2
        .value_kind:     hidden_group_size_y
      - .offset:         224
        .size:           2
        .value_kind:     hidden_group_size_z
      - .offset:         226
        .size:           2
        .value_kind:     hidden_remainder_x
      - .offset:         228
        .size:           2
        .value_kind:     hidden_remainder_y
      - .offset:         230
        .size:           2
        .value_kind:     hidden_remainder_z
      - .offset:         248
        .size:           8
        .value_kind:     hidden_global_offset_x
      - .offset:         256
        .size:           8
        .value_kind:     hidden_global_offset_y
      - .offset:         264
        .size:           8
        .value_kind:     hidden_global_offset_z
      - .offset:         272
        .size:           2
        .value_kind:     hidden_grid_dims
    .group_segment_fixed_size: 8768
    .kernarg_segment_align: 8
    .kernarg_segment_size: 464
    .language:       OpenCL C
    .language_version:
      - 2
      - 0
    .max_flat_workgroup_size: 256
    .name:           _ZL15flash_attn_tileILi112ELi112ELi4ELi4ELb0EEvPKcS1_S1_S1_S1_PKiPfP15HIP_vector_typeIfLj2EEffffjfiS5_IjLj3EEiiiiiiiiiiiliiliiiiil
    .private_segment_fixed_size: 0
    .sgpr_count:     60
    .sgpr_spill_count: 0
    .symbol:         _ZL15flash_attn_tileILi112ELi112ELi4ELi4ELb0EEvPKcS1_S1_S1_S1_PKiPfP15HIP_vector_typeIfLj2EEffffjfiS5_IjLj3EEiiiiiiiiiiiliiliiiiil.kd
    .uniform_work_group_size: 1
    .uses_dynamic_stack: false
    .vgpr_count:     110
    .vgpr_spill_count: 0
    .wavefront_size: 64
  - .agpr_count:     0
    .args:
      - .address_space:  global
        .offset:         0
        .size:           8
        .value_kind:     global_buffer
      - .address_space:  global
        .offset:         8
        .size:           8
        .value_kind:     global_buffer
      - .offset:         16
        .size:           4
        .value_kind:     by_value
      - .offset:         20
        .size:           4
        .value_kind:     by_value
      - .offset:         24
        .size:           4
        .value_kind:     by_value
      - .offset:         28
        .size:           4
        .value_kind:     by_value
      - .offset:         32
        .size:           4
        .value_kind:     by_value
      - .offset:         36
        .size:           4
        .value_kind:     by_value
      - .offset:         40
        .size:           12
        .value_kind:     by_value
      - .offset:         52
        .size:           12
        .value_kind:     by_value
      - .offset:         64
        .size:           12
        .value_kind:     by_value
    .group_segment_fixed_size: 0
    .kernarg_segment_align: 8
    .kernarg_segment_size: 76
    .language:       OpenCL C
    .language_version:
      - 2
      - 0
    .max_flat_workgroup_size: 112
    .name:           _ZL33flash_attn_stream_k_fixup_uniformILi112ELi4ELi4EEvPfPK15HIP_vector_typeIfLj2EEiiiiiiS1_IjLj3EES5_S5_
    .private_segment_fixed_size: 0
    .sgpr_count:     26
    .sgpr_spill_count: 0
    .symbol:         _ZL33flash_attn_stream_k_fixup_uniformILi112ELi4ELi4EEvPfPK15HIP_vector_typeIfLj2EEiiiiiiS1_IjLj3EES5_S5_.kd
    .uniform_work_group_size: 1
    .uses_dynamic_stack: false
    .vgpr_count:     16
    .vgpr_spill_count: 0
    .wavefront_size: 64
  - .agpr_count:     0
    .args:
      - .address_space:  global
        .offset:         0
        .size:           8
        .value_kind:     global_buffer
      - .address_space:  global
        .offset:         8
        .size:           8
        .value_kind:     global_buffer
      - .offset:         16
        .size:           4
        .value_kind:     by_value
      - .offset:         20
        .size:           4
        .value_kind:     by_value
      - .offset:         24
        .size:           4
        .value_kind:     by_value
      - .offset:         28
        .size:           4
        .value_kind:     by_value
      - .offset:         32
        .size:           12
        .value_kind:     by_value
      - .offset:         44
        .size:           12
        .value_kind:     by_value
      - .offset:         56
        .size:           12
        .value_kind:     by_value
      - .offset:         68
        .size:           12
        .value_kind:     by_value
      - .offset:         80
        .size:           4
        .value_kind:     hidden_block_count_x
      - .offset:         84
        .size:           4
        .value_kind:     hidden_block_count_y
      - .offset:         88
        .size:           4
        .value_kind:     hidden_block_count_z
      - .offset:         92
        .size:           2
        .value_kind:     hidden_group_size_x
      - .offset:         94
        .size:           2
        .value_kind:     hidden_group_size_y
      - .offset:         96
        .size:           2
        .value_kind:     hidden_group_size_z
      - .offset:         98
        .size:           2
        .value_kind:     hidden_remainder_x
      - .offset:         100
        .size:           2
        .value_kind:     hidden_remainder_y
      - .offset:         102
        .size:           2
        .value_kind:     hidden_remainder_z
      - .offset:         120
        .size:           8
        .value_kind:     hidden_global_offset_x
      - .offset:         128
        .size:           8
        .value_kind:     hidden_global_offset_y
      - .offset:         136
        .size:           8
        .value_kind:     hidden_global_offset_z
      - .offset:         144
        .size:           2
        .value_kind:     hidden_grid_dims
    .group_segment_fixed_size: 0
    .kernarg_segment_align: 8
    .kernarg_segment_size: 336
    .language:       OpenCL C
    .language_version:
      - 2
      - 0
    .max_flat_workgroup_size: 112
    .name:           _ZL33flash_attn_stream_k_fixup_generalILi112ELi4ELi4EEvPfPK15HIP_vector_typeIfLj2EEiiiiS1_IjLj3EES5_S5_S5_
    .private_segment_fixed_size: 0
    .sgpr_count:     38
    .sgpr_spill_count: 0
    .symbol:         _ZL33flash_attn_stream_k_fixup_generalILi112ELi4ELi4EEvPfPK15HIP_vector_typeIfLj2EEiiiiS1_IjLj3EES5_S5_S5_.kd
    .uniform_work_group_size: 1
    .uses_dynamic_stack: false
    .vgpr_count:     22
    .vgpr_spill_count: 0
    .wavefront_size: 64
  - .agpr_count:     0
    .args:
      - .address_space:  global
        .offset:         0
        .size:           8
        .value_kind:     global_buffer
      - .address_space:  global
        .offset:         8
        .size:           8
        .value_kind:     global_buffer
      - .address_space:  global
        .offset:         16
        .size:           8
        .value_kind:     global_buffer
      - .address_space:  global
        .offset:         24
        .size:           8
        .value_kind:     global_buffer
      - .address_space:  global
        .offset:         32
        .size:           8
        .value_kind:     global_buffer
      - .address_space:  global
        .offset:         40
        .size:           8
        .value_kind:     global_buffer
      - .address_space:  global
        .offset:         48
        .size:           8
        .value_kind:     global_buffer
      - .address_space:  global
        .offset:         56
        .size:           8
        .value_kind:     global_buffer
      - .offset:         64
        .size:           4
        .value_kind:     by_value
      - .offset:         68
        .size:           4
        .value_kind:     by_value
      - .offset:         72
        .size:           4
        .value_kind:     by_value
      - .offset:         76
        .size:           4
        .value_kind:     by_value
      - .offset:         80
        .size:           4
        .value_kind:     by_value
      - .offset:         84
        .size:           4
        .value_kind:     by_value
      - .offset:         88
        .size:           4
        .value_kind:     by_value
      - .offset:         92
        .size:           12
        .value_kind:     by_value
      - .offset:         104
        .size:           4
        .value_kind:     by_value
      - .offset:         108
        .size:           4
        .value_kind:     by_value
      - .offset:         112
        .size:           4
        .value_kind:     by_value
      - .offset:         116
        .size:           4
        .value_kind:     by_value
      - .offset:         120
        .size:           4
        .value_kind:     by_value
      - .offset:         124
        .size:           4
        .value_kind:     by_value
      - .offset:         128
        .size:           4
        .value_kind:     by_value
      - .offset:         132
        .size:           4
        .value_kind:     by_value
      - .offset:         136
        .size:           4
        .value_kind:     by_value
      - .offset:         140
        .size:           4
        .value_kind:     by_value
      - .offset:         144
        .size:           4
        .value_kind:     by_value
      - .offset:         152
        .size:           8
        .value_kind:     by_value
      - .offset:         160
        .size:           4
        .value_kind:     by_value
      - .offset:         164
        .size:           4
        .value_kind:     by_value
      - .offset:         168
        .size:           8
        .value_kind:     by_value
      - .offset:         176
        .size:           4
        .value_kind:     by_value
      - .offset:         180
        .size:           4
        .value_kind:     by_value
      - .offset:         184
        .size:           4
        .value_kind:     by_value
      - .offset:         188
        .size:           4
        .value_kind:     by_value
      - .offset:         192
        .size:           4
        .value_kind:     by_value
      - .offset:         200
        .size:           8
        .value_kind:     by_value
      - .offset:         208
        .size:           4
        .value_kind:     hidden_block_count_x
      - .offset:         212
        .size:           4
        .value_kind:     hidden_block_count_y
      - .offset:         216
        .size:           4
        .value_kind:     hidden_block_count_z
      - .offset:         220
        .size:           2
        .value_kind:     hidden_group_size_x
      - .offset:         222
        .size:           2
        .value_kind:     hidden_group_size_y
      - .offset:         224
        .size:           2
        .value_kind:     hidden_group_size_z
      - .offset:         226
        .size:           2
        .value_kind:     hidden_remainder_x
      - .offset:         228
        .size:           2
        .value_kind:     hidden_remainder_y
      - .offset:         230
        .size:           2
        .value_kind:     hidden_remainder_z
      - .offset:         248
        .size:           8
        .value_kind:     hidden_global_offset_x
      - .offset:         256
        .size:           8
        .value_kind:     hidden_global_offset_y
      - .offset:         264
        .size:           8
        .value_kind:     hidden_global_offset_z
      - .offset:         272
        .size:           2
        .value_kind:     hidden_grid_dims
    .group_segment_fixed_size: 6464
    .kernarg_segment_align: 8
    .kernarg_segment_size: 464
    .language:       OpenCL C
    .language_version:
      - 2
      - 0
    .max_flat_workgroup_size: 256
    .name:           _ZL15flash_attn_tileILi112ELi112ELi2ELi4ELb0EEvPKcS1_S1_S1_S1_PKiPfP15HIP_vector_typeIfLj2EEffffjfiS5_IjLj3EEiiiiiiiiiiiliiliiiiil
    .private_segment_fixed_size: 0
    .sgpr_count:     55
    .sgpr_spill_count: 0
    .symbol:         _ZL15flash_attn_tileILi112ELi112ELi2ELi4ELb0EEvPKcS1_S1_S1_S1_PKiPfP15HIP_vector_typeIfLj2EEffffjfiS5_IjLj3EEiiiiiiiiiiiliiliiiiil.kd
    .uniform_work_group_size: 1
    .uses_dynamic_stack: false
    .vgpr_count:     96
    .vgpr_spill_count: 0
    .wavefront_size: 64
  - .agpr_count:     0
    .args:
      - .address_space:  global
        .offset:         0
        .size:           8
        .value_kind:     global_buffer
      - .address_space:  global
        .offset:         8
        .size:           8
        .value_kind:     global_buffer
      - .offset:         16
        .size:           4
        .value_kind:     by_value
      - .offset:         20
        .size:           4
        .value_kind:     by_value
      - .offset:         24
        .size:           4
        .value_kind:     by_value
      - .offset:         28
        .size:           4
        .value_kind:     by_value
      - .offset:         32
        .size:           4
        .value_kind:     by_value
      - .offset:         36
        .size:           4
        .value_kind:     by_value
      - .offset:         40
        .size:           12
        .value_kind:     by_value
      - .offset:         52
        .size:           12
        .value_kind:     by_value
      - .offset:         64
        .size:           12
        .value_kind:     by_value
    .group_segment_fixed_size: 0
    .kernarg_segment_align: 8
    .kernarg_segment_size: 76
    .language:       OpenCL C
    .language_version:
      - 2
      - 0
    .max_flat_workgroup_size: 112
    .name:           _ZL33flash_attn_stream_k_fixup_uniformILi112ELi2ELi4EEvPfPK15HIP_vector_typeIfLj2EEiiiiiiS1_IjLj3EES5_S5_
    .private_segment_fixed_size: 0
    .sgpr_count:     26
    .sgpr_spill_count: 0
    .symbol:         _ZL33flash_attn_stream_k_fixup_uniformILi112ELi2ELi4EEvPfPK15HIP_vector_typeIfLj2EEiiiiiiS1_IjLj3EES5_S5_.kd
    .uniform_work_group_size: 1
    .uses_dynamic_stack: false
    .vgpr_count:     16
    .vgpr_spill_count: 0
    .wavefront_size: 64
  - .agpr_count:     0
    .args:
      - .address_space:  global
        .offset:         0
        .size:           8
        .value_kind:     global_buffer
      - .address_space:  global
        .offset:         8
        .size:           8
        .value_kind:     global_buffer
      - .offset:         16
        .size:           4
        .value_kind:     by_value
      - .offset:         20
        .size:           4
        .value_kind:     by_value
      - .offset:         24
        .size:           4
        .value_kind:     by_value
      - .offset:         28
        .size:           4
        .value_kind:     by_value
      - .offset:         32
        .size:           12
        .value_kind:     by_value
      - .offset:         44
        .size:           12
        .value_kind:     by_value
      - .offset:         56
        .size:           12
        .value_kind:     by_value
      - .offset:         68
        .size:           12
        .value_kind:     by_value
      - .offset:         80
        .size:           4
        .value_kind:     hidden_block_count_x
      - .offset:         84
        .size:           4
        .value_kind:     hidden_block_count_y
      - .offset:         88
        .size:           4
        .value_kind:     hidden_block_count_z
      - .offset:         92
        .size:           2
        .value_kind:     hidden_group_size_x
      - .offset:         94
        .size:           2
        .value_kind:     hidden_group_size_y
      - .offset:         96
        .size:           2
        .value_kind:     hidden_group_size_z
      - .offset:         98
        .size:           2
        .value_kind:     hidden_remainder_x
      - .offset:         100
        .size:           2
        .value_kind:     hidden_remainder_y
      - .offset:         102
        .size:           2
        .value_kind:     hidden_remainder_z
      - .offset:         120
        .size:           8
        .value_kind:     hidden_global_offset_x
      - .offset:         128
        .size:           8
        .value_kind:     hidden_global_offset_y
      - .offset:         136
        .size:           8
        .value_kind:     hidden_global_offset_z
      - .offset:         144
        .size:           2
        .value_kind:     hidden_grid_dims
    .group_segment_fixed_size: 0
    .kernarg_segment_align: 8
    .kernarg_segment_size: 336
    .language:       OpenCL C
    .language_version:
      - 2
      - 0
    .max_flat_workgroup_size: 112
    .name:           _ZL33flash_attn_stream_k_fixup_generalILi112ELi2ELi4EEvPfPK15HIP_vector_typeIfLj2EEiiiiS1_IjLj3EES5_S5_S5_
    .private_segment_fixed_size: 0
    .sgpr_count:     38
    .sgpr_spill_count: 0
    .symbol:         _ZL33flash_attn_stream_k_fixup_generalILi112ELi2ELi4EEvPfPK15HIP_vector_typeIfLj2EEiiiiS1_IjLj3EES5_S5_S5_.kd
    .uniform_work_group_size: 1
    .uses_dynamic_stack: false
    .vgpr_count:     22
    .vgpr_spill_count: 0
    .wavefront_size: 64
  - .agpr_count:     0
    .args:
      - .address_space:  global
        .offset:         0
        .size:           8
        .value_kind:     global_buffer
      - .address_space:  global
        .offset:         8
        .size:           8
        .value_kind:     global_buffer
      - .address_space:  global
        .offset:         16
        .size:           8
        .value_kind:     global_buffer
      - .address_space:  global
        .offset:         24
        .size:           8
        .value_kind:     global_buffer
      - .address_space:  global
        .offset:         32
        .size:           8
        .value_kind:     global_buffer
      - .address_space:  global
        .offset:         40
        .size:           8
        .value_kind:     global_buffer
      - .address_space:  global
        .offset:         48
        .size:           8
        .value_kind:     global_buffer
      - .address_space:  global
        .offset:         56
        .size:           8
        .value_kind:     global_buffer
      - .offset:         64
        .size:           4
        .value_kind:     by_value
      - .offset:         68
        .size:           4
        .value_kind:     by_value
      - .offset:         72
        .size:           4
        .value_kind:     by_value
      - .offset:         76
        .size:           4
        .value_kind:     by_value
      - .offset:         80
        .size:           4
        .value_kind:     by_value
      - .offset:         84
        .size:           4
        .value_kind:     by_value
      - .offset:         88
        .size:           4
        .value_kind:     by_value
      - .offset:         92
        .size:           12
        .value_kind:     by_value
      - .offset:         104
        .size:           4
        .value_kind:     by_value
      - .offset:         108
        .size:           4
        .value_kind:     by_value
      - .offset:         112
        .size:           4
        .value_kind:     by_value
      - .offset:         116
        .size:           4
        .value_kind:     by_value
      - .offset:         120
        .size:           4
        .value_kind:     by_value
      - .offset:         124
        .size:           4
        .value_kind:     by_value
      - .offset:         128
        .size:           4
        .value_kind:     by_value
      - .offset:         132
        .size:           4
        .value_kind:     by_value
      - .offset:         136
        .size:           4
        .value_kind:     by_value
      - .offset:         140
        .size:           4
        .value_kind:     by_value
      - .offset:         144
        .size:           4
        .value_kind:     by_value
      - .offset:         152
        .size:           8
        .value_kind:     by_value
      - .offset:         160
        .size:           4
        .value_kind:     by_value
      - .offset:         164
        .size:           4
        .value_kind:     by_value
      - .offset:         168
        .size:           8
        .value_kind:     by_value
      - .offset:         176
        .size:           4
        .value_kind:     by_value
      - .offset:         180
        .size:           4
        .value_kind:     by_value
      - .offset:         184
        .size:           4
        .value_kind:     by_value
      - .offset:         188
        .size:           4
        .value_kind:     by_value
      - .offset:         192
        .size:           4
        .value_kind:     by_value
      - .offset:         200
        .size:           8
        .value_kind:     by_value
      - .offset:         208
        .size:           4
        .value_kind:     hidden_block_count_x
      - .offset:         212
        .size:           4
        .value_kind:     hidden_block_count_y
      - .offset:         216
        .size:           4
        .value_kind:     hidden_block_count_z
      - .offset:         220
        .size:           2
        .value_kind:     hidden_group_size_x
      - .offset:         222
        .size:           2
        .value_kind:     hidden_group_size_y
      - .offset:         224
        .size:           2
        .value_kind:     hidden_group_size_z
      - .offset:         226
        .size:           2
        .value_kind:     hidden_remainder_x
      - .offset:         228
        .size:           2
        .value_kind:     hidden_remainder_y
      - .offset:         230
        .size:           2
        .value_kind:     hidden_remainder_z
      - .offset:         248
        .size:           8
        .value_kind:     hidden_global_offset_x
      - .offset:         256
        .size:           8
        .value_kind:     hidden_global_offset_y
      - .offset:         264
        .size:           8
        .value_kind:     hidden_global_offset_z
      - .offset:         272
        .size:           2
        .value_kind:     hidden_grid_dims
    .group_segment_fixed_size: 5312
    .kernarg_segment_align: 8
    .kernarg_segment_size: 464
    .language:       OpenCL C
    .language_version:
      - 2
      - 0
    .max_flat_workgroup_size: 128
    .name:           _ZL15flash_attn_tileILi112ELi112ELi1ELi4ELb0EEvPKcS1_S1_S1_S1_PKiPfP15HIP_vector_typeIfLj2EEffffjfiS5_IjLj3EEiiiiiiiiiiiliiliiiiil
    .private_segment_fixed_size: 0
    .sgpr_count:     52
    .sgpr_spill_count: 0
    .symbol:         _ZL15flash_attn_tileILi112ELi112ELi1ELi4ELb0EEvPKcS1_S1_S1_S1_PKiPfP15HIP_vector_typeIfLj2EEffffjfiS5_IjLj3EEiiiiiiiiiiiliiliiiiil.kd
    .uniform_work_group_size: 1
    .uses_dynamic_stack: false
    .vgpr_count:     98
    .vgpr_spill_count: 0
    .wavefront_size: 64
  - .agpr_count:     0
    .args:
      - .address_space:  global
        .offset:         0
        .size:           8
        .value_kind:     global_buffer
      - .address_space:  global
        .offset:         8
        .size:           8
        .value_kind:     global_buffer
      - .offset:         16
        .size:           4
        .value_kind:     by_value
      - .offset:         20
        .size:           4
        .value_kind:     by_value
      - .offset:         24
        .size:           4
        .value_kind:     by_value
      - .offset:         28
        .size:           4
        .value_kind:     by_value
      - .offset:         32
        .size:           4
        .value_kind:     by_value
      - .offset:         36
        .size:           4
        .value_kind:     by_value
      - .offset:         40
        .size:           12
        .value_kind:     by_value
      - .offset:         52
        .size:           12
        .value_kind:     by_value
      - .offset:         64
        .size:           12
        .value_kind:     by_value
    .group_segment_fixed_size: 0
    .kernarg_segment_align: 8
    .kernarg_segment_size: 76
    .language:       OpenCL C
    .language_version:
      - 2
      - 0
    .max_flat_workgroup_size: 112
    .name:           _ZL33flash_attn_stream_k_fixup_uniformILi112ELi1ELi4EEvPfPK15HIP_vector_typeIfLj2EEiiiiiiS1_IjLj3EES5_S5_
    .private_segment_fixed_size: 0
    .sgpr_count:     26
    .sgpr_spill_count: 0
    .symbol:         _ZL33flash_attn_stream_k_fixup_uniformILi112ELi1ELi4EEvPfPK15HIP_vector_typeIfLj2EEiiiiiiS1_IjLj3EES5_S5_.kd
    .uniform_work_group_size: 1
    .uses_dynamic_stack: false
    .vgpr_count:     16
    .vgpr_spill_count: 0
    .wavefront_size: 64
  - .agpr_count:     0
    .args:
      - .address_space:  global
        .offset:         0
        .size:           8
        .value_kind:     global_buffer
      - .address_space:  global
        .offset:         8
        .size:           8
        .value_kind:     global_buffer
      - .offset:         16
        .size:           4
        .value_kind:     by_value
      - .offset:         20
        .size:           4
        .value_kind:     by_value
      - .offset:         24
        .size:           4
        .value_kind:     by_value
      - .offset:         28
        .size:           4
        .value_kind:     by_value
      - .offset:         32
        .size:           12
        .value_kind:     by_value
      - .offset:         44
        .size:           12
        .value_kind:     by_value
      - .offset:         56
        .size:           12
        .value_kind:     by_value
      - .offset:         68
        .size:           12
        .value_kind:     by_value
      - .offset:         80
        .size:           4
        .value_kind:     hidden_block_count_x
      - .offset:         84
        .size:           4
        .value_kind:     hidden_block_count_y
      - .offset:         88
        .size:           4
        .value_kind:     hidden_block_count_z
      - .offset:         92
        .size:           2
        .value_kind:     hidden_group_size_x
      - .offset:         94
        .size:           2
        .value_kind:     hidden_group_size_y
      - .offset:         96
        .size:           2
        .value_kind:     hidden_group_size_z
      - .offset:         98
        .size:           2
        .value_kind:     hidden_remainder_x
      - .offset:         100
        .size:           2
        .value_kind:     hidden_remainder_y
      - .offset:         102
        .size:           2
        .value_kind:     hidden_remainder_z
      - .offset:         120
        .size:           8
        .value_kind:     hidden_global_offset_x
      - .offset:         128
        .size:           8
        .value_kind:     hidden_global_offset_y
      - .offset:         136
        .size:           8
        .value_kind:     hidden_global_offset_z
      - .offset:         144
        .size:           2
        .value_kind:     hidden_grid_dims
    .group_segment_fixed_size: 0
    .kernarg_segment_align: 8
    .kernarg_segment_size: 336
    .language:       OpenCL C
    .language_version:
      - 2
      - 0
    .max_flat_workgroup_size: 112
    .name:           _ZL33flash_attn_stream_k_fixup_generalILi112ELi1ELi4EEvPfPK15HIP_vector_typeIfLj2EEiiiiS1_IjLj3EES5_S5_S5_
    .private_segment_fixed_size: 0
    .sgpr_count:     38
    .sgpr_spill_count: 0
    .symbol:         _ZL33flash_attn_stream_k_fixup_generalILi112ELi1ELi4EEvPfPK15HIP_vector_typeIfLj2EEiiiiS1_IjLj3EES5_S5_S5_.kd
    .uniform_work_group_size: 1
    .uses_dynamic_stack: false
    .vgpr_count:     22
    .vgpr_spill_count: 0
    .wavefront_size: 64
  - .agpr_count:     0
    .args:
      - .address_space:  global
        .offset:         0
        .size:           8
        .value_kind:     global_buffer
      - .address_space:  global
        .offset:         8
        .size:           8
        .value_kind:     global_buffer
      - .address_space:  global
        .offset:         16
        .size:           8
        .value_kind:     global_buffer
      - .address_space:  global
        .offset:         24
        .size:           8
        .value_kind:     global_buffer
      - .address_space:  global
        .offset:         32
        .size:           8
        .value_kind:     global_buffer
      - .address_space:  global
        .offset:         40
        .size:           8
        .value_kind:     global_buffer
      - .address_space:  global
        .offset:         48
        .size:           8
        .value_kind:     global_buffer
      - .address_space:  global
        .offset:         56
        .size:           8
        .value_kind:     global_buffer
      - .offset:         64
        .size:           4
        .value_kind:     by_value
      - .offset:         68
        .size:           4
        .value_kind:     by_value
      - .offset:         72
        .size:           4
        .value_kind:     by_value
      - .offset:         76
        .size:           4
        .value_kind:     by_value
      - .offset:         80
        .size:           4
        .value_kind:     by_value
      - .offset:         84
        .size:           4
        .value_kind:     by_value
      - .offset:         88
        .size:           4
        .value_kind:     by_value
      - .offset:         92
        .size:           12
        .value_kind:     by_value
      - .offset:         104
        .size:           4
        .value_kind:     by_value
      - .offset:         108
        .size:           4
        .value_kind:     by_value
      - .offset:         112
        .size:           4
        .value_kind:     by_value
      - .offset:         116
        .size:           4
        .value_kind:     by_value
      - .offset:         120
        .size:           4
        .value_kind:     by_value
      - .offset:         124
        .size:           4
        .value_kind:     by_value
      - .offset:         128
        .size:           4
        .value_kind:     by_value
      - .offset:         132
        .size:           4
        .value_kind:     by_value
      - .offset:         136
        .size:           4
        .value_kind:     by_value
      - .offset:         140
        .size:           4
        .value_kind:     by_value
      - .offset:         144
        .size:           4
        .value_kind:     by_value
      - .offset:         152
        .size:           8
        .value_kind:     by_value
      - .offset:         160
        .size:           4
        .value_kind:     by_value
      - .offset:         164
        .size:           4
        .value_kind:     by_value
      - .offset:         168
        .size:           8
        .value_kind:     by_value
      - .offset:         176
        .size:           4
        .value_kind:     by_value
      - .offset:         180
        .size:           4
        .value_kind:     by_value
      - .offset:         184
        .size:           4
        .value_kind:     by_value
      - .offset:         188
        .size:           4
        .value_kind:     by_value
      - .offset:         192
        .size:           4
        .value_kind:     by_value
      - .offset:         200
        .size:           8
        .value_kind:     by_value
      - .offset:         208
        .size:           4
        .value_kind:     hidden_block_count_x
      - .offset:         212
        .size:           4
        .value_kind:     hidden_block_count_y
      - .offset:         216
        .size:           4
        .value_kind:     hidden_block_count_z
      - .offset:         220
        .size:           2
        .value_kind:     hidden_group_size_x
      - .offset:         222
        .size:           2
        .value_kind:     hidden_group_size_y
      - .offset:         224
        .size:           2
        .value_kind:     hidden_group_size_z
      - .offset:         226
        .size:           2
        .value_kind:     hidden_remainder_x
      - .offset:         228
        .size:           2
        .value_kind:     hidden_remainder_y
      - .offset:         230
        .size:           2
        .value_kind:     hidden_remainder_z
      - .offset:         248
        .size:           8
        .value_kind:     hidden_global_offset_x
      - .offset:         256
        .size:           8
        .value_kind:     hidden_global_offset_y
      - .offset:         264
        .size:           8
        .value_kind:     hidden_global_offset_z
      - .offset:         272
        .size:           2
        .value_kind:     hidden_grid_dims
    .group_segment_fixed_size: 22592
    .kernarg_segment_align: 8
    .kernarg_segment_size: 464
    .language:       OpenCL C
    .language_version:
      - 2
      - 0
    .max_flat_workgroup_size: 256
    .name:           _ZL15flash_attn_tileILi112ELi112ELi32ELi2ELb0EEvPKcS1_S1_S1_S1_PKiPfP15HIP_vector_typeIfLj2EEffffjfiS5_IjLj3EEiiiiiiiiiiiliiliiiiil
    .private_segment_fixed_size: 0
    .sgpr_count:     85
    .sgpr_spill_count: 0
    .symbol:         _ZL15flash_attn_tileILi112ELi112ELi32ELi2ELb0EEvPKcS1_S1_S1_S1_PKiPfP15HIP_vector_typeIfLj2EEffffjfiS5_IjLj3EEiiiiiiiiiiiliiliiiiil.kd
    .uniform_work_group_size: 1
    .uses_dynamic_stack: false
    .vgpr_count:     202
    .vgpr_spill_count: 0
    .wavefront_size: 64
  - .agpr_count:     0
    .args:
      - .actual_access:  read_only
        .address_space:  global
        .offset:         0
        .size:           8
        .value_kind:     global_buffer
      - .actual_access:  write_only
        .address_space:  global
        .offset:         8
        .size:           8
        .value_kind:     global_buffer
      - .offset:         16
        .size:           4
        .value_kind:     by_value
      - .offset:         20
        .size:           4
        .value_kind:     by_value
      - .offset:         24
        .size:           4
        .value_kind:     by_value
      - .offset:         32
        .size:           4
        .value_kind:     hidden_block_count_x
      - .offset:         36
        .size:           4
        .value_kind:     hidden_block_count_y
      - .offset:         40
        .size:           4
        .value_kind:     hidden_block_count_z
      - .offset:         44
        .size:           2
        .value_kind:     hidden_group_size_x
      - .offset:         46
        .size:           2
        .value_kind:     hidden_group_size_y
      - .offset:         48
        .size:           2
        .value_kind:     hidden_group_size_z
      - .offset:         50
        .size:           2
        .value_kind:     hidden_remainder_x
      - .offset:         52
        .size:           2
        .value_kind:     hidden_remainder_y
      - .offset:         54
        .size:           2
        .value_kind:     hidden_remainder_z
      - .offset:         72
        .size:           8
        .value_kind:     hidden_global_offset_x
      - .offset:         80
        .size:           8
        .value_kind:     hidden_global_offset_y
      - .offset:         88
        .size:           8
        .value_kind:     hidden_global_offset_z
      - .offset:         96
        .size:           2
        .value_kind:     hidden_grid_dims
    .group_segment_fixed_size: 128
    .kernarg_segment_align: 8
    .kernarg_segment_size: 288
    .language:       OpenCL C
    .language_version:
      - 2
      - 0
    .max_flat_workgroup_size: 128
    .name:           _ZL25flash_attn_mask_to_KV_maxILi32EEvPK7__half2Piiii
    .private_segment_fixed_size: 0
    .sgpr_count:     106
    .sgpr_spill_count: 44
    .symbol:         _ZL25flash_attn_mask_to_KV_maxILi32EEvPK7__half2Piiii.kd
    .uniform_work_group_size: 1
    .uses_dynamic_stack: false
    .vgpr_count:     13
    .vgpr_spill_count: 0
    .wavefront_size: 64
  - .agpr_count:     0
    .args:
      - .address_space:  global
        .offset:         0
        .size:           8
        .value_kind:     global_buffer
      - .address_space:  global
        .offset:         8
        .size:           8
        .value_kind:     global_buffer
      - .offset:         16
        .size:           4
        .value_kind:     by_value
      - .offset:         20
        .size:           4
        .value_kind:     by_value
      - .offset:         24
        .size:           4
        .value_kind:     by_value
      - .offset:         28
        .size:           4
        .value_kind:     by_value
      - .offset:         32
        .size:           4
        .value_kind:     by_value
      - .offset:         36
        .size:           4
        .value_kind:     by_value
      - .offset:         40
        .size:           12
        .value_kind:     by_value
      - .offset:         52
        .size:           12
        .value_kind:     by_value
      - .offset:         64
        .size:           12
        .value_kind:     by_value
    .group_segment_fixed_size: 0
    .kernarg_segment_align: 8
    .kernarg_segment_size: 76
    .language:       OpenCL C
    .language_version:
      - 2
      - 0
    .max_flat_workgroup_size: 112
    .name:           _ZL33flash_attn_stream_k_fixup_uniformILi112ELi32ELi2EEvPfPK15HIP_vector_typeIfLj2EEiiiiiiS1_IjLj3EES5_S5_
    .private_segment_fixed_size: 0
    .sgpr_count:     26
    .sgpr_spill_count: 0
    .symbol:         _ZL33flash_attn_stream_k_fixup_uniformILi112ELi32ELi2EEvPfPK15HIP_vector_typeIfLj2EEiiiiiiS1_IjLj3EES5_S5_.kd
    .uniform_work_group_size: 1
    .uses_dynamic_stack: false
    .vgpr_count:     16
    .vgpr_spill_count: 0
    .wavefront_size: 64
  - .agpr_count:     0
    .args:
      - .address_space:  global
        .offset:         0
        .size:           8
        .value_kind:     global_buffer
      - .address_space:  global
        .offset:         8
        .size:           8
        .value_kind:     global_buffer
      - .offset:         16
        .size:           4
        .value_kind:     by_value
      - .offset:         20
        .size:           4
        .value_kind:     by_value
      - .offset:         24
        .size:           4
        .value_kind:     by_value
      - .offset:         28
        .size:           4
        .value_kind:     by_value
      - .offset:         32
        .size:           12
        .value_kind:     by_value
      - .offset:         44
        .size:           12
        .value_kind:     by_value
      - .offset:         56
        .size:           12
        .value_kind:     by_value
      - .offset:         68
        .size:           12
        .value_kind:     by_value
      - .offset:         80
        .size:           4
        .value_kind:     hidden_block_count_x
      - .offset:         84
        .size:           4
        .value_kind:     hidden_block_count_y
      - .offset:         88
        .size:           4
        .value_kind:     hidden_block_count_z
      - .offset:         92
        .size:           2
        .value_kind:     hidden_group_size_x
      - .offset:         94
        .size:           2
        .value_kind:     hidden_group_size_y
      - .offset:         96
        .size:           2
        .value_kind:     hidden_group_size_z
      - .offset:         98
        .size:           2
        .value_kind:     hidden_remainder_x
      - .offset:         100
        .size:           2
        .value_kind:     hidden_remainder_y
      - .offset:         102
        .size:           2
        .value_kind:     hidden_remainder_z
      - .offset:         120
        .size:           8
        .value_kind:     hidden_global_offset_x
      - .offset:         128
        .size:           8
        .value_kind:     hidden_global_offset_y
      - .offset:         136
        .size:           8
        .value_kind:     hidden_global_offset_z
      - .offset:         144
        .size:           2
        .value_kind:     hidden_grid_dims
    .group_segment_fixed_size: 0
    .kernarg_segment_align: 8
    .kernarg_segment_size: 336
    .language:       OpenCL C
    .language_version:
      - 2
      - 0
    .max_flat_workgroup_size: 112
    .name:           _ZL33flash_attn_stream_k_fixup_generalILi112ELi32ELi2EEvPfPK15HIP_vector_typeIfLj2EEiiiiS1_IjLj3EES5_S5_S5_
    .private_segment_fixed_size: 0
    .sgpr_count:     38
    .sgpr_spill_count: 0
    .symbol:         _ZL33flash_attn_stream_k_fixup_generalILi112ELi32ELi2EEvPfPK15HIP_vector_typeIfLj2EEiiiiS1_IjLj3EES5_S5_S5_.kd
    .uniform_work_group_size: 1
    .uses_dynamic_stack: false
    .vgpr_count:     22
    .vgpr_spill_count: 0
    .wavefront_size: 64
  - .agpr_count:     0
    .args:
      - .address_space:  global
        .offset:         0
        .size:           8
        .value_kind:     global_buffer
      - .address_space:  global
        .offset:         8
        .size:           8
        .value_kind:     global_buffer
      - .address_space:  global
        .offset:         16
        .size:           8
        .value_kind:     global_buffer
      - .address_space:  global
        .offset:         24
        .size:           8
        .value_kind:     global_buffer
      - .address_space:  global
        .offset:         32
        .size:           8
        .value_kind:     global_buffer
      - .address_space:  global
        .offset:         40
        .size:           8
        .value_kind:     global_buffer
      - .address_space:  global
        .offset:         48
        .size:           8
        .value_kind:     global_buffer
      - .address_space:  global
        .offset:         56
        .size:           8
        .value_kind:     global_buffer
      - .offset:         64
        .size:           4
        .value_kind:     by_value
      - .offset:         68
        .size:           4
        .value_kind:     by_value
      - .offset:         72
        .size:           4
        .value_kind:     by_value
      - .offset:         76
        .size:           4
        .value_kind:     by_value
      - .offset:         80
        .size:           4
        .value_kind:     by_value
      - .offset:         84
        .size:           4
        .value_kind:     by_value
      - .offset:         88
        .size:           4
        .value_kind:     by_value
      - .offset:         92
        .size:           12
        .value_kind:     by_value
      - .offset:         104
        .size:           4
        .value_kind:     by_value
      - .offset:         108
        .size:           4
        .value_kind:     by_value
      - .offset:         112
        .size:           4
        .value_kind:     by_value
      - .offset:         116
        .size:           4
        .value_kind:     by_value
      - .offset:         120
        .size:           4
        .value_kind:     by_value
      - .offset:         124
        .size:           4
        .value_kind:     by_value
      - .offset:         128
        .size:           4
        .value_kind:     by_value
      - .offset:         132
        .size:           4
        .value_kind:     by_value
      - .offset:         136
        .size:           4
        .value_kind:     by_value
      - .offset:         140
        .size:           4
        .value_kind:     by_value
      - .offset:         144
        .size:           4
        .value_kind:     by_value
      - .offset:         152
        .size:           8
        .value_kind:     by_value
      - .offset:         160
        .size:           4
        .value_kind:     by_value
      - .offset:         164
        .size:           4
        .value_kind:     by_value
      - .offset:         168
        .size:           8
        .value_kind:     by_value
      - .offset:         176
        .size:           4
        .value_kind:     by_value
      - .offset:         180
        .size:           4
        .value_kind:     by_value
      - .offset:         184
        .size:           4
        .value_kind:     by_value
      - .offset:         188
        .size:           4
        .value_kind:     by_value
      - .offset:         192
        .size:           4
        .value_kind:     by_value
      - .offset:         200
        .size:           8
        .value_kind:     by_value
      - .offset:         208
        .size:           4
        .value_kind:     hidden_block_count_x
      - .offset:         212
        .size:           4
        .value_kind:     hidden_block_count_y
      - .offset:         216
        .size:           4
        .value_kind:     hidden_block_count_z
      - .offset:         220
        .size:           2
        .value_kind:     hidden_group_size_x
      - .offset:         222
        .size:           2
        .value_kind:     hidden_group_size_y
      - .offset:         224
        .size:           2
        .value_kind:     hidden_group_size_z
      - .offset:         226
        .size:           2
        .value_kind:     hidden_remainder_x
      - .offset:         228
        .size:           2
        .value_kind:     hidden_remainder_y
      - .offset:         230
        .size:           2
        .value_kind:     hidden_remainder_z
      - .offset:         248
        .size:           8
        .value_kind:     hidden_global_offset_x
      - .offset:         256
        .size:           8
        .value_kind:     hidden_global_offset_y
      - .offset:         264
        .size:           8
        .value_kind:     hidden_global_offset_z
      - .offset:         272
        .size:           2
        .value_kind:     hidden_grid_dims
    .group_segment_fixed_size: 13376
    .kernarg_segment_align: 8
    .kernarg_segment_size: 464
    .language:       OpenCL C
    .language_version:
      - 2
      - 0
    .max_flat_workgroup_size: 256
    .name:           _ZL15flash_attn_tileILi112ELi112ELi16ELi2ELb0EEvPKcS1_S1_S1_S1_PKiPfP15HIP_vector_typeIfLj2EEffffjfiS5_IjLj3EEiiiiiiiiiiiliiliiiiil
    .private_segment_fixed_size: 0
    .sgpr_count:     69
    .sgpr_spill_count: 0
    .symbol:         _ZL15flash_attn_tileILi112ELi112ELi16ELi2ELb0EEvPKcS1_S1_S1_S1_PKiPfP15HIP_vector_typeIfLj2EEffffjfiS5_IjLj3EEiiiiiiiiiiiliiliiiiil.kd
    .uniform_work_group_size: 1
    .uses_dynamic_stack: false
    .vgpr_count:     140
    .vgpr_spill_count: 0
    .wavefront_size: 64
  - .agpr_count:     0
    .args:
      - .address_space:  global
        .offset:         0
        .size:           8
        .value_kind:     global_buffer
      - .address_space:  global
        .offset:         8
        .size:           8
        .value_kind:     global_buffer
      - .offset:         16
        .size:           4
        .value_kind:     by_value
      - .offset:         20
        .size:           4
        .value_kind:     by_value
      - .offset:         24
        .size:           4
        .value_kind:     by_value
      - .offset:         28
        .size:           4
        .value_kind:     by_value
      - .offset:         32
        .size:           4
        .value_kind:     by_value
      - .offset:         36
        .size:           4
        .value_kind:     by_value
      - .offset:         40
        .size:           12
        .value_kind:     by_value
      - .offset:         52
        .size:           12
        .value_kind:     by_value
      - .offset:         64
        .size:           12
        .value_kind:     by_value
    .group_segment_fixed_size: 0
    .kernarg_segment_align: 8
    .kernarg_segment_size: 76
    .language:       OpenCL C
    .language_version:
      - 2
      - 0
    .max_flat_workgroup_size: 112
    .name:           _ZL33flash_attn_stream_k_fixup_uniformILi112ELi16ELi2EEvPfPK15HIP_vector_typeIfLj2EEiiiiiiS1_IjLj3EES5_S5_
    .private_segment_fixed_size: 0
    .sgpr_count:     26
    .sgpr_spill_count: 0
    .symbol:         _ZL33flash_attn_stream_k_fixup_uniformILi112ELi16ELi2EEvPfPK15HIP_vector_typeIfLj2EEiiiiiiS1_IjLj3EES5_S5_.kd
    .uniform_work_group_size: 1
    .uses_dynamic_stack: false
    .vgpr_count:     16
    .vgpr_spill_count: 0
    .wavefront_size: 64
  - .agpr_count:     0
    .args:
      - .address_space:  global
        .offset:         0
        .size:           8
        .value_kind:     global_buffer
      - .address_space:  global
        .offset:         8
        .size:           8
        .value_kind:     global_buffer
      - .offset:         16
        .size:           4
        .value_kind:     by_value
      - .offset:         20
        .size:           4
        .value_kind:     by_value
      - .offset:         24
        .size:           4
        .value_kind:     by_value
      - .offset:         28
        .size:           4
        .value_kind:     by_value
      - .offset:         32
        .size:           12
        .value_kind:     by_value
      - .offset:         44
        .size:           12
        .value_kind:     by_value
      - .offset:         56
        .size:           12
        .value_kind:     by_value
      - .offset:         68
        .size:           12
        .value_kind:     by_value
      - .offset:         80
        .size:           4
        .value_kind:     hidden_block_count_x
      - .offset:         84
        .size:           4
        .value_kind:     hidden_block_count_y
      - .offset:         88
        .size:           4
        .value_kind:     hidden_block_count_z
      - .offset:         92
        .size:           2
        .value_kind:     hidden_group_size_x
      - .offset:         94
        .size:           2
        .value_kind:     hidden_group_size_y
      - .offset:         96
        .size:           2
        .value_kind:     hidden_group_size_z
      - .offset:         98
        .size:           2
        .value_kind:     hidden_remainder_x
      - .offset:         100
        .size:           2
        .value_kind:     hidden_remainder_y
      - .offset:         102
        .size:           2
        .value_kind:     hidden_remainder_z
      - .offset:         120
        .size:           8
        .value_kind:     hidden_global_offset_x
      - .offset:         128
        .size:           8
        .value_kind:     hidden_global_offset_y
      - .offset:         136
        .size:           8
        .value_kind:     hidden_global_offset_z
      - .offset:         144
        .size:           2
        .value_kind:     hidden_grid_dims
    .group_segment_fixed_size: 0
    .kernarg_segment_align: 8
    .kernarg_segment_size: 336
    .language:       OpenCL C
    .language_version:
      - 2
      - 0
    .max_flat_workgroup_size: 112
    .name:           _ZL33flash_attn_stream_k_fixup_generalILi112ELi16ELi2EEvPfPK15HIP_vector_typeIfLj2EEiiiiS1_IjLj3EES5_S5_S5_
    .private_segment_fixed_size: 0
    .sgpr_count:     38
    .sgpr_spill_count: 0
    .symbol:         _ZL33flash_attn_stream_k_fixup_generalILi112ELi16ELi2EEvPfPK15HIP_vector_typeIfLj2EEiiiiS1_IjLj3EES5_S5_S5_.kd
    .uniform_work_group_size: 1
    .uses_dynamic_stack: false
    .vgpr_count:     22
    .vgpr_spill_count: 0
    .wavefront_size: 64
  - .agpr_count:     0
    .args:
      - .address_space:  global
        .offset:         0
        .size:           8
        .value_kind:     global_buffer
      - .address_space:  global
        .offset:         8
        .size:           8
        .value_kind:     global_buffer
      - .address_space:  global
        .offset:         16
        .size:           8
        .value_kind:     global_buffer
      - .address_space:  global
        .offset:         24
        .size:           8
        .value_kind:     global_buffer
      - .address_space:  global
        .offset:         32
        .size:           8
        .value_kind:     global_buffer
      - .address_space:  global
        .offset:         40
        .size:           8
        .value_kind:     global_buffer
      - .address_space:  global
        .offset:         48
        .size:           8
        .value_kind:     global_buffer
      - .address_space:  global
        .offset:         56
        .size:           8
        .value_kind:     global_buffer
      - .offset:         64
        .size:           4
        .value_kind:     by_value
      - .offset:         68
        .size:           4
        .value_kind:     by_value
      - .offset:         72
        .size:           4
        .value_kind:     by_value
      - .offset:         76
        .size:           4
        .value_kind:     by_value
      - .offset:         80
        .size:           4
        .value_kind:     by_value
      - .offset:         84
        .size:           4
        .value_kind:     by_value
      - .offset:         88
        .size:           4
        .value_kind:     by_value
      - .offset:         92
        .size:           12
        .value_kind:     by_value
      - .offset:         104
        .size:           4
        .value_kind:     by_value
      - .offset:         108
        .size:           4
        .value_kind:     by_value
      - .offset:         112
        .size:           4
        .value_kind:     by_value
      - .offset:         116
        .size:           4
        .value_kind:     by_value
      - .offset:         120
        .size:           4
        .value_kind:     by_value
      - .offset:         124
        .size:           4
        .value_kind:     by_value
      - .offset:         128
        .size:           4
        .value_kind:     by_value
      - .offset:         132
        .size:           4
        .value_kind:     by_value
      - .offset:         136
        .size:           4
        .value_kind:     by_value
      - .offset:         140
        .size:           4
        .value_kind:     by_value
      - .offset:         144
        .size:           4
        .value_kind:     by_value
      - .offset:         152
        .size:           8
        .value_kind:     by_value
      - .offset:         160
        .size:           4
        .value_kind:     by_value
      - .offset:         164
        .size:           4
        .value_kind:     by_value
      - .offset:         168
        .size:           8
        .value_kind:     by_value
      - .offset:         176
        .size:           4
        .value_kind:     by_value
      - .offset:         180
        .size:           4
        .value_kind:     by_value
      - .offset:         184
        .size:           4
        .value_kind:     by_value
      - .offset:         188
        .size:           4
        .value_kind:     by_value
      - .offset:         192
        .size:           4
        .value_kind:     by_value
      - .offset:         200
        .size:           8
        .value_kind:     by_value
      - .offset:         208
        .size:           4
        .value_kind:     hidden_block_count_x
      - .offset:         212
        .size:           4
        .value_kind:     hidden_block_count_y
      - .offset:         216
        .size:           4
        .value_kind:     hidden_block_count_z
      - .offset:         220
        .size:           2
        .value_kind:     hidden_group_size_x
      - .offset:         222
        .size:           2
        .value_kind:     hidden_group_size_y
      - .offset:         224
        .size:           2
        .value_kind:     hidden_group_size_z
      - .offset:         226
        .size:           2
        .value_kind:     hidden_remainder_x
      - .offset:         228
        .size:           2
        .value_kind:     hidden_remainder_y
      - .offset:         230
        .size:           2
        .value_kind:     hidden_remainder_z
      - .offset:         248
        .size:           8
        .value_kind:     hidden_global_offset_x
      - .offset:         256
        .size:           8
        .value_kind:     hidden_global_offset_y
      - .offset:         264
        .size:           8
        .value_kind:     hidden_global_offset_z
      - .offset:         272
        .size:           2
        .value_kind:     hidden_grid_dims
    .group_segment_fixed_size: 8768
    .kernarg_segment_align: 8
    .kernarg_segment_size: 464
    .language:       OpenCL C
    .language_version:
      - 2
      - 0
    .max_flat_workgroup_size: 256
    .name:           _ZL15flash_attn_tileILi112ELi112ELi8ELi2ELb0EEvPKcS1_S1_S1_S1_PKiPfP15HIP_vector_typeIfLj2EEffffjfiS5_IjLj3EEiiiiiiiiiiiliiliiiiil
    .private_segment_fixed_size: 0
    .sgpr_count:     60
    .sgpr_spill_count: 0
    .symbol:         _ZL15flash_attn_tileILi112ELi112ELi8ELi2ELb0EEvPKcS1_S1_S1_S1_PKiPfP15HIP_vector_typeIfLj2EEffffjfiS5_IjLj3EEiiiiiiiiiiiliiliiiiil.kd
    .uniform_work_group_size: 1
    .uses_dynamic_stack: false
    .vgpr_count:     110
    .vgpr_spill_count: 0
    .wavefront_size: 64
  - .agpr_count:     0
    .args:
      - .address_space:  global
        .offset:         0
        .size:           8
        .value_kind:     global_buffer
      - .address_space:  global
        .offset:         8
        .size:           8
        .value_kind:     global_buffer
      - .offset:         16
        .size:           4
        .value_kind:     by_value
      - .offset:         20
        .size:           4
        .value_kind:     by_value
      - .offset:         24
        .size:           4
        .value_kind:     by_value
      - .offset:         28
        .size:           4
        .value_kind:     by_value
      - .offset:         32
        .size:           4
        .value_kind:     by_value
      - .offset:         36
        .size:           4
        .value_kind:     by_value
      - .offset:         40
        .size:           12
        .value_kind:     by_value
      - .offset:         52
        .size:           12
        .value_kind:     by_value
      - .offset:         64
        .size:           12
        .value_kind:     by_value
    .group_segment_fixed_size: 0
    .kernarg_segment_align: 8
    .kernarg_segment_size: 76
    .language:       OpenCL C
    .language_version:
      - 2
      - 0
    .max_flat_workgroup_size: 112
    .name:           _ZL33flash_attn_stream_k_fixup_uniformILi112ELi8ELi2EEvPfPK15HIP_vector_typeIfLj2EEiiiiiiS1_IjLj3EES5_S5_
    .private_segment_fixed_size: 0
    .sgpr_count:     26
    .sgpr_spill_count: 0
    .symbol:         _ZL33flash_attn_stream_k_fixup_uniformILi112ELi8ELi2EEvPfPK15HIP_vector_typeIfLj2EEiiiiiiS1_IjLj3EES5_S5_.kd
    .uniform_work_group_size: 1
    .uses_dynamic_stack: false
    .vgpr_count:     16
    .vgpr_spill_count: 0
    .wavefront_size: 64
  - .agpr_count:     0
    .args:
      - .address_space:  global
        .offset:         0
        .size:           8
        .value_kind:     global_buffer
      - .address_space:  global
        .offset:         8
        .size:           8
        .value_kind:     global_buffer
      - .offset:         16
        .size:           4
        .value_kind:     by_value
      - .offset:         20
        .size:           4
        .value_kind:     by_value
      - .offset:         24
        .size:           4
        .value_kind:     by_value
      - .offset:         28
        .size:           4
        .value_kind:     by_value
      - .offset:         32
        .size:           12
        .value_kind:     by_value
      - .offset:         44
        .size:           12
        .value_kind:     by_value
      - .offset:         56
        .size:           12
        .value_kind:     by_value
      - .offset:         68
        .size:           12
        .value_kind:     by_value
      - .offset:         80
        .size:           4
        .value_kind:     hidden_block_count_x
      - .offset:         84
        .size:           4
        .value_kind:     hidden_block_count_y
      - .offset:         88
        .size:           4
        .value_kind:     hidden_block_count_z
      - .offset:         92
        .size:           2
        .value_kind:     hidden_group_size_x
      - .offset:         94
        .size:           2
        .value_kind:     hidden_group_size_y
      - .offset:         96
        .size:           2
        .value_kind:     hidden_group_size_z
      - .offset:         98
        .size:           2
        .value_kind:     hidden_remainder_x
      - .offset:         100
        .size:           2
        .value_kind:     hidden_remainder_y
      - .offset:         102
        .size:           2
        .value_kind:     hidden_remainder_z
      - .offset:         120
        .size:           8
        .value_kind:     hidden_global_offset_x
      - .offset:         128
        .size:           8
        .value_kind:     hidden_global_offset_y
      - .offset:         136
        .size:           8
        .value_kind:     hidden_global_offset_z
      - .offset:         144
        .size:           2
        .value_kind:     hidden_grid_dims
    .group_segment_fixed_size: 0
    .kernarg_segment_align: 8
    .kernarg_segment_size: 336
    .language:       OpenCL C
    .language_version:
      - 2
      - 0
    .max_flat_workgroup_size: 112
    .name:           _ZL33flash_attn_stream_k_fixup_generalILi112ELi8ELi2EEvPfPK15HIP_vector_typeIfLj2EEiiiiS1_IjLj3EES5_S5_S5_
    .private_segment_fixed_size: 0
    .sgpr_count:     38
    .sgpr_spill_count: 0
    .symbol:         _ZL33flash_attn_stream_k_fixup_generalILi112ELi8ELi2EEvPfPK15HIP_vector_typeIfLj2EEiiiiS1_IjLj3EES5_S5_S5_.kd
    .uniform_work_group_size: 1
    .uses_dynamic_stack: false
    .vgpr_count:     22
    .vgpr_spill_count: 0
    .wavefront_size: 64
  - .agpr_count:     0
    .args:
      - .address_space:  global
        .offset:         0
        .size:           8
        .value_kind:     global_buffer
      - .address_space:  global
        .offset:         8
        .size:           8
        .value_kind:     global_buffer
      - .address_space:  global
        .offset:         16
        .size:           8
        .value_kind:     global_buffer
      - .address_space:  global
        .offset:         24
        .size:           8
        .value_kind:     global_buffer
      - .address_space:  global
        .offset:         32
        .size:           8
        .value_kind:     global_buffer
      - .address_space:  global
        .offset:         40
        .size:           8
        .value_kind:     global_buffer
      - .address_space:  global
        .offset:         48
        .size:           8
        .value_kind:     global_buffer
      - .address_space:  global
        .offset:         56
        .size:           8
        .value_kind:     global_buffer
      - .offset:         64
        .size:           4
        .value_kind:     by_value
      - .offset:         68
        .size:           4
        .value_kind:     by_value
      - .offset:         72
        .size:           4
        .value_kind:     by_value
      - .offset:         76
        .size:           4
        .value_kind:     by_value
      - .offset:         80
        .size:           4
        .value_kind:     by_value
      - .offset:         84
        .size:           4
        .value_kind:     by_value
      - .offset:         88
        .size:           4
        .value_kind:     by_value
      - .offset:         92
        .size:           12
        .value_kind:     by_value
      - .offset:         104
        .size:           4
        .value_kind:     by_value
      - .offset:         108
        .size:           4
        .value_kind:     by_value
      - .offset:         112
        .size:           4
        .value_kind:     by_value
      - .offset:         116
        .size:           4
        .value_kind:     by_value
      - .offset:         120
        .size:           4
        .value_kind:     by_value
      - .offset:         124
        .size:           4
        .value_kind:     by_value
      - .offset:         128
        .size:           4
        .value_kind:     by_value
      - .offset:         132
        .size:           4
        .value_kind:     by_value
      - .offset:         136
        .size:           4
        .value_kind:     by_value
      - .offset:         140
        .size:           4
        .value_kind:     by_value
      - .offset:         144
        .size:           4
        .value_kind:     by_value
      - .offset:         152
        .size:           8
        .value_kind:     by_value
      - .offset:         160
        .size:           4
        .value_kind:     by_value
      - .offset:         164
        .size:           4
        .value_kind:     by_value
      - .offset:         168
        .size:           8
        .value_kind:     by_value
      - .offset:         176
        .size:           4
        .value_kind:     by_value
      - .offset:         180
        .size:           4
        .value_kind:     by_value
      - .offset:         184
        .size:           4
        .value_kind:     by_value
      - .offset:         188
        .size:           4
        .value_kind:     by_value
      - .offset:         192
        .size:           4
        .value_kind:     by_value
      - .offset:         200
        .size:           8
        .value_kind:     by_value
      - .offset:         208
        .size:           4
        .value_kind:     hidden_block_count_x
      - .offset:         212
        .size:           4
        .value_kind:     hidden_block_count_y
      - .offset:         216
        .size:           4
        .value_kind:     hidden_block_count_z
      - .offset:         220
        .size:           2
        .value_kind:     hidden_group_size_x
      - .offset:         222
        .size:           2
        .value_kind:     hidden_group_size_y
      - .offset:         224
        .size:           2
        .value_kind:     hidden_group_size_z
      - .offset:         226
        .size:           2
        .value_kind:     hidden_remainder_x
      - .offset:         228
        .size:           2
        .value_kind:     hidden_remainder_y
      - .offset:         230
        .size:           2
        .value_kind:     hidden_remainder_z
      - .offset:         248
        .size:           8
        .value_kind:     hidden_global_offset_x
      - .offset:         256
        .size:           8
        .value_kind:     hidden_global_offset_y
      - .offset:         264
        .size:           8
        .value_kind:     hidden_global_offset_z
      - .offset:         272
        .size:           2
        .value_kind:     hidden_grid_dims
    .group_segment_fixed_size: 6464
    .kernarg_segment_align: 8
    .kernarg_segment_size: 464
    .language:       OpenCL C
    .language_version:
      - 2
      - 0
    .max_flat_workgroup_size: 256
    .name:           _ZL15flash_attn_tileILi112ELi112ELi4ELi2ELb0EEvPKcS1_S1_S1_S1_PKiPfP15HIP_vector_typeIfLj2EEffffjfiS5_IjLj3EEiiiiiiiiiiiliiliiiiil
    .private_segment_fixed_size: 0
    .sgpr_count:     55
    .sgpr_spill_count: 0
    .symbol:         _ZL15flash_attn_tileILi112ELi112ELi4ELi2ELb0EEvPKcS1_S1_S1_S1_PKiPfP15HIP_vector_typeIfLj2EEffffjfiS5_IjLj3EEiiiiiiiiiiiliiliiiiil.kd
    .uniform_work_group_size: 1
    .uses_dynamic_stack: false
    .vgpr_count:     96
    .vgpr_spill_count: 0
    .wavefront_size: 64
  - .agpr_count:     0
    .args:
      - .address_space:  global
        .offset:         0
        .size:           8
        .value_kind:     global_buffer
      - .address_space:  global
        .offset:         8
        .size:           8
        .value_kind:     global_buffer
      - .offset:         16
        .size:           4
        .value_kind:     by_value
      - .offset:         20
        .size:           4
        .value_kind:     by_value
      - .offset:         24
        .size:           4
        .value_kind:     by_value
      - .offset:         28
        .size:           4
        .value_kind:     by_value
      - .offset:         32
        .size:           4
        .value_kind:     by_value
      - .offset:         36
        .size:           4
        .value_kind:     by_value
      - .offset:         40
        .size:           12
        .value_kind:     by_value
      - .offset:         52
        .size:           12
        .value_kind:     by_value
      - .offset:         64
        .size:           12
        .value_kind:     by_value
    .group_segment_fixed_size: 0
    .kernarg_segment_align: 8
    .kernarg_segment_size: 76
    .language:       OpenCL C
    .language_version:
      - 2
      - 0
    .max_flat_workgroup_size: 112
    .name:           _ZL33flash_attn_stream_k_fixup_uniformILi112ELi4ELi2EEvPfPK15HIP_vector_typeIfLj2EEiiiiiiS1_IjLj3EES5_S5_
    .private_segment_fixed_size: 0
    .sgpr_count:     26
    .sgpr_spill_count: 0
    .symbol:         _ZL33flash_attn_stream_k_fixup_uniformILi112ELi4ELi2EEvPfPK15HIP_vector_typeIfLj2EEiiiiiiS1_IjLj3EES5_S5_.kd
    .uniform_work_group_size: 1
    .uses_dynamic_stack: false
    .vgpr_count:     16
    .vgpr_spill_count: 0
    .wavefront_size: 64
  - .agpr_count:     0
    .args:
      - .address_space:  global
        .offset:         0
        .size:           8
        .value_kind:     global_buffer
      - .address_space:  global
        .offset:         8
        .size:           8
        .value_kind:     global_buffer
      - .offset:         16
        .size:           4
        .value_kind:     by_value
      - .offset:         20
        .size:           4
        .value_kind:     by_value
      - .offset:         24
        .size:           4
        .value_kind:     by_value
      - .offset:         28
        .size:           4
        .value_kind:     by_value
      - .offset:         32
        .size:           12
        .value_kind:     by_value
      - .offset:         44
        .size:           12
        .value_kind:     by_value
      - .offset:         56
        .size:           12
        .value_kind:     by_value
      - .offset:         68
        .size:           12
        .value_kind:     by_value
      - .offset:         80
        .size:           4
        .value_kind:     hidden_block_count_x
      - .offset:         84
        .size:           4
        .value_kind:     hidden_block_count_y
      - .offset:         88
        .size:           4
        .value_kind:     hidden_block_count_z
      - .offset:         92
        .size:           2
        .value_kind:     hidden_group_size_x
      - .offset:         94
        .size:           2
        .value_kind:     hidden_group_size_y
      - .offset:         96
        .size:           2
        .value_kind:     hidden_group_size_z
      - .offset:         98
        .size:           2
        .value_kind:     hidden_remainder_x
      - .offset:         100
        .size:           2
        .value_kind:     hidden_remainder_y
      - .offset:         102
        .size:           2
        .value_kind:     hidden_remainder_z
      - .offset:         120
        .size:           8
        .value_kind:     hidden_global_offset_x
      - .offset:         128
        .size:           8
        .value_kind:     hidden_global_offset_y
      - .offset:         136
        .size:           8
        .value_kind:     hidden_global_offset_z
      - .offset:         144
        .size:           2
        .value_kind:     hidden_grid_dims
    .group_segment_fixed_size: 0
    .kernarg_segment_align: 8
    .kernarg_segment_size: 336
    .language:       OpenCL C
    .language_version:
      - 2
      - 0
    .max_flat_workgroup_size: 112
    .name:           _ZL33flash_attn_stream_k_fixup_generalILi112ELi4ELi2EEvPfPK15HIP_vector_typeIfLj2EEiiiiS1_IjLj3EES5_S5_S5_
    .private_segment_fixed_size: 0
    .sgpr_count:     38
    .sgpr_spill_count: 0
    .symbol:         _ZL33flash_attn_stream_k_fixup_generalILi112ELi4ELi2EEvPfPK15HIP_vector_typeIfLj2EEiiiiS1_IjLj3EES5_S5_S5_.kd
    .uniform_work_group_size: 1
    .uses_dynamic_stack: false
    .vgpr_count:     22
    .vgpr_spill_count: 0
    .wavefront_size: 64
  - .agpr_count:     0
    .args:
      - .address_space:  global
        .offset:         0
        .size:           8
        .value_kind:     global_buffer
      - .address_space:  global
        .offset:         8
        .size:           8
        .value_kind:     global_buffer
      - .address_space:  global
        .offset:         16
        .size:           8
        .value_kind:     global_buffer
      - .address_space:  global
        .offset:         24
        .size:           8
        .value_kind:     global_buffer
      - .address_space:  global
        .offset:         32
        .size:           8
        .value_kind:     global_buffer
      - .address_space:  global
        .offset:         40
        .size:           8
        .value_kind:     global_buffer
      - .address_space:  global
        .offset:         48
        .size:           8
        .value_kind:     global_buffer
      - .address_space:  global
        .offset:         56
        .size:           8
        .value_kind:     global_buffer
      - .offset:         64
        .size:           4
        .value_kind:     by_value
      - .offset:         68
        .size:           4
        .value_kind:     by_value
      - .offset:         72
        .size:           4
        .value_kind:     by_value
      - .offset:         76
        .size:           4
        .value_kind:     by_value
      - .offset:         80
        .size:           4
        .value_kind:     by_value
      - .offset:         84
        .size:           4
        .value_kind:     by_value
      - .offset:         88
        .size:           4
        .value_kind:     by_value
      - .offset:         92
        .size:           12
        .value_kind:     by_value
      - .offset:         104
        .size:           4
        .value_kind:     by_value
      - .offset:         108
        .size:           4
        .value_kind:     by_value
      - .offset:         112
        .size:           4
        .value_kind:     by_value
      - .offset:         116
        .size:           4
        .value_kind:     by_value
      - .offset:         120
        .size:           4
        .value_kind:     by_value
      - .offset:         124
        .size:           4
        .value_kind:     by_value
      - .offset:         128
        .size:           4
        .value_kind:     by_value
      - .offset:         132
        .size:           4
        .value_kind:     by_value
      - .offset:         136
        .size:           4
        .value_kind:     by_value
      - .offset:         140
        .size:           4
        .value_kind:     by_value
      - .offset:         144
        .size:           4
        .value_kind:     by_value
      - .offset:         152
        .size:           8
        .value_kind:     by_value
      - .offset:         160
        .size:           4
        .value_kind:     by_value
      - .offset:         164
        .size:           4
        .value_kind:     by_value
      - .offset:         168
        .size:           8
        .value_kind:     by_value
      - .offset:         176
        .size:           4
        .value_kind:     by_value
      - .offset:         180
        .size:           4
        .value_kind:     by_value
      - .offset:         184
        .size:           4
        .value_kind:     by_value
      - .offset:         188
        .size:           4
        .value_kind:     by_value
      - .offset:         192
        .size:           4
        .value_kind:     by_value
      - .offset:         200
        .size:           8
        .value_kind:     by_value
      - .offset:         208
        .size:           4
        .value_kind:     hidden_block_count_x
      - .offset:         212
        .size:           4
        .value_kind:     hidden_block_count_y
      - .offset:         216
        .size:           4
        .value_kind:     hidden_block_count_z
      - .offset:         220
        .size:           2
        .value_kind:     hidden_group_size_x
      - .offset:         222
        .size:           2
        .value_kind:     hidden_group_size_y
      - .offset:         224
        .size:           2
        .value_kind:     hidden_group_size_z
      - .offset:         226
        .size:           2
        .value_kind:     hidden_remainder_x
      - .offset:         228
        .size:           2
        .value_kind:     hidden_remainder_y
      - .offset:         230
        .size:           2
        .value_kind:     hidden_remainder_z
      - .offset:         248
        .size:           8
        .value_kind:     hidden_global_offset_x
      - .offset:         256
        .size:           8
        .value_kind:     hidden_global_offset_y
      - .offset:         264
        .size:           8
        .value_kind:     hidden_global_offset_z
      - .offset:         272
        .size:           2
        .value_kind:     hidden_grid_dims
    .group_segment_fixed_size: 5312
    .kernarg_segment_align: 8
    .kernarg_segment_size: 464
    .language:       OpenCL C
    .language_version:
      - 2
      - 0
    .max_flat_workgroup_size: 128
    .name:           _ZL15flash_attn_tileILi112ELi112ELi2ELi2ELb0EEvPKcS1_S1_S1_S1_PKiPfP15HIP_vector_typeIfLj2EEffffjfiS5_IjLj3EEiiiiiiiiiiiliiliiiiil
    .private_segment_fixed_size: 0
    .sgpr_count:     51
    .sgpr_spill_count: 0
    .symbol:         _ZL15flash_attn_tileILi112ELi112ELi2ELi2ELb0EEvPKcS1_S1_S1_S1_PKiPfP15HIP_vector_typeIfLj2EEffffjfiS5_IjLj3EEiiiiiiiiiiiliiliiiiil.kd
    .uniform_work_group_size: 1
    .uses_dynamic_stack: false
    .vgpr_count:     98
    .vgpr_spill_count: 0
    .wavefront_size: 64
  - .agpr_count:     0
    .args:
      - .address_space:  global
        .offset:         0
        .size:           8
        .value_kind:     global_buffer
      - .address_space:  global
        .offset:         8
        .size:           8
        .value_kind:     global_buffer
      - .offset:         16
        .size:           4
        .value_kind:     by_value
      - .offset:         20
        .size:           4
        .value_kind:     by_value
      - .offset:         24
        .size:           4
        .value_kind:     by_value
      - .offset:         28
        .size:           4
        .value_kind:     by_value
      - .offset:         32
        .size:           4
        .value_kind:     by_value
      - .offset:         36
        .size:           4
        .value_kind:     by_value
      - .offset:         40
        .size:           12
        .value_kind:     by_value
      - .offset:         52
        .size:           12
        .value_kind:     by_value
      - .offset:         64
        .size:           12
        .value_kind:     by_value
    .group_segment_fixed_size: 0
    .kernarg_segment_align: 8
    .kernarg_segment_size: 76
    .language:       OpenCL C
    .language_version:
      - 2
      - 0
    .max_flat_workgroup_size: 112
    .name:           _ZL33flash_attn_stream_k_fixup_uniformILi112ELi2ELi2EEvPfPK15HIP_vector_typeIfLj2EEiiiiiiS1_IjLj3EES5_S5_
    .private_segment_fixed_size: 0
    .sgpr_count:     26
    .sgpr_spill_count: 0
    .symbol:         _ZL33flash_attn_stream_k_fixup_uniformILi112ELi2ELi2EEvPfPK15HIP_vector_typeIfLj2EEiiiiiiS1_IjLj3EES5_S5_.kd
    .uniform_work_group_size: 1
    .uses_dynamic_stack: false
    .vgpr_count:     16
    .vgpr_spill_count: 0
    .wavefront_size: 64
  - .agpr_count:     0
    .args:
      - .address_space:  global
        .offset:         0
        .size:           8
        .value_kind:     global_buffer
      - .address_space:  global
        .offset:         8
        .size:           8
        .value_kind:     global_buffer
      - .offset:         16
        .size:           4
        .value_kind:     by_value
      - .offset:         20
        .size:           4
        .value_kind:     by_value
      - .offset:         24
        .size:           4
        .value_kind:     by_value
      - .offset:         28
        .size:           4
        .value_kind:     by_value
      - .offset:         32
        .size:           12
        .value_kind:     by_value
      - .offset:         44
        .size:           12
        .value_kind:     by_value
      - .offset:         56
        .size:           12
        .value_kind:     by_value
      - .offset:         68
        .size:           12
        .value_kind:     by_value
      - .offset:         80
        .size:           4
        .value_kind:     hidden_block_count_x
      - .offset:         84
        .size:           4
        .value_kind:     hidden_block_count_y
      - .offset:         88
        .size:           4
        .value_kind:     hidden_block_count_z
      - .offset:         92
        .size:           2
        .value_kind:     hidden_group_size_x
      - .offset:         94
        .size:           2
        .value_kind:     hidden_group_size_y
      - .offset:         96
        .size:           2
        .value_kind:     hidden_group_size_z
      - .offset:         98
        .size:           2
        .value_kind:     hidden_remainder_x
      - .offset:         100
        .size:           2
        .value_kind:     hidden_remainder_y
      - .offset:         102
        .size:           2
        .value_kind:     hidden_remainder_z
      - .offset:         120
        .size:           8
        .value_kind:     hidden_global_offset_x
      - .offset:         128
        .size:           8
        .value_kind:     hidden_global_offset_y
      - .offset:         136
        .size:           8
        .value_kind:     hidden_global_offset_z
      - .offset:         144
        .size:           2
        .value_kind:     hidden_grid_dims
    .group_segment_fixed_size: 0
    .kernarg_segment_align: 8
    .kernarg_segment_size: 336
    .language:       OpenCL C
    .language_version:
      - 2
      - 0
    .max_flat_workgroup_size: 112
    .name:           _ZL33flash_attn_stream_k_fixup_generalILi112ELi2ELi2EEvPfPK15HIP_vector_typeIfLj2EEiiiiS1_IjLj3EES5_S5_S5_
    .private_segment_fixed_size: 0
    .sgpr_count:     38
    .sgpr_spill_count: 0
    .symbol:         _ZL33flash_attn_stream_k_fixup_generalILi112ELi2ELi2EEvPfPK15HIP_vector_typeIfLj2EEiiiiS1_IjLj3EES5_S5_S5_.kd
    .uniform_work_group_size: 1
    .uses_dynamic_stack: false
    .vgpr_count:     22
    .vgpr_spill_count: 0
    .wavefront_size: 64
  - .agpr_count:     0
    .args:
      - .address_space:  global
        .offset:         0
        .size:           8
        .value_kind:     global_buffer
      - .address_space:  global
        .offset:         8
        .size:           8
        .value_kind:     global_buffer
      - .address_space:  global
        .offset:         16
        .size:           8
        .value_kind:     global_buffer
      - .address_space:  global
        .offset:         24
        .size:           8
        .value_kind:     global_buffer
      - .address_space:  global
        .offset:         32
        .size:           8
        .value_kind:     global_buffer
      - .address_space:  global
        .offset:         40
        .size:           8
        .value_kind:     global_buffer
      - .address_space:  global
        .offset:         48
        .size:           8
        .value_kind:     global_buffer
      - .address_space:  global
        .offset:         56
        .size:           8
        .value_kind:     global_buffer
      - .offset:         64
        .size:           4
        .value_kind:     by_value
      - .offset:         68
        .size:           4
        .value_kind:     by_value
      - .offset:         72
        .size:           4
        .value_kind:     by_value
      - .offset:         76
        .size:           4
        .value_kind:     by_value
      - .offset:         80
        .size:           4
        .value_kind:     by_value
      - .offset:         84
        .size:           4
        .value_kind:     by_value
      - .offset:         88
        .size:           4
        .value_kind:     by_value
      - .offset:         92
        .size:           12
        .value_kind:     by_value
      - .offset:         104
        .size:           4
        .value_kind:     by_value
      - .offset:         108
        .size:           4
        .value_kind:     by_value
      - .offset:         112
        .size:           4
        .value_kind:     by_value
      - .offset:         116
        .size:           4
        .value_kind:     by_value
      - .offset:         120
        .size:           4
        .value_kind:     by_value
      - .offset:         124
        .size:           4
        .value_kind:     by_value
      - .offset:         128
        .size:           4
        .value_kind:     by_value
      - .offset:         132
        .size:           4
        .value_kind:     by_value
      - .offset:         136
        .size:           4
        .value_kind:     by_value
      - .offset:         140
        .size:           4
        .value_kind:     by_value
      - .offset:         144
        .size:           4
        .value_kind:     by_value
      - .offset:         152
        .size:           8
        .value_kind:     by_value
      - .offset:         160
        .size:           4
        .value_kind:     by_value
      - .offset:         164
        .size:           4
        .value_kind:     by_value
      - .offset:         168
        .size:           8
        .value_kind:     by_value
      - .offset:         176
        .size:           4
        .value_kind:     by_value
      - .offset:         180
        .size:           4
        .value_kind:     by_value
      - .offset:         184
        .size:           4
        .value_kind:     by_value
      - .offset:         188
        .size:           4
        .value_kind:     by_value
      - .offset:         192
        .size:           4
        .value_kind:     by_value
      - .offset:         200
        .size:           8
        .value_kind:     by_value
      - .offset:         208
        .size:           4
        .value_kind:     hidden_block_count_x
      - .offset:         212
        .size:           4
        .value_kind:     hidden_block_count_y
      - .offset:         216
        .size:           4
        .value_kind:     hidden_block_count_z
      - .offset:         220
        .size:           2
        .value_kind:     hidden_group_size_x
      - .offset:         222
        .size:           2
        .value_kind:     hidden_group_size_y
      - .offset:         224
        .size:           2
        .value_kind:     hidden_group_size_z
      - .offset:         226
        .size:           2
        .value_kind:     hidden_remainder_x
      - .offset:         228
        .size:           2
        .value_kind:     hidden_remainder_y
      - .offset:         230
        .size:           2
        .value_kind:     hidden_remainder_z
      - .offset:         248
        .size:           8
        .value_kind:     hidden_global_offset_x
      - .offset:         256
        .size:           8
        .value_kind:     hidden_global_offset_y
      - .offset:         264
        .size:           8
        .value_kind:     hidden_global_offset_z
      - .offset:         272
        .size:           2
        .value_kind:     hidden_grid_dims
    .group_segment_fixed_size: 4736
    .kernarg_segment_align: 8
    .kernarg_segment_size: 464
    .language:       OpenCL C
    .language_version:
      - 2
      - 0
    .max_flat_workgroup_size: 64
    .name:           _ZL15flash_attn_tileILi112ELi112ELi1ELi2ELb0EEvPKcS1_S1_S1_S1_PKiPfP15HIP_vector_typeIfLj2EEffffjfiS5_IjLj3EEiiiiiiiiiiiliiliiiiil
    .private_segment_fixed_size: 0
    .sgpr_count:     50
    .sgpr_spill_count: 0
    .symbol:         _ZL15flash_attn_tileILi112ELi112ELi1ELi2ELb0EEvPKcS1_S1_S1_S1_PKiPfP15HIP_vector_typeIfLj2EEffffjfiS5_IjLj3EEiiiiiiiiiiiliiliiiiil.kd
    .uniform_work_group_size: 1
    .uses_dynamic_stack: false
    .vgpr_count:     109
    .vgpr_spill_count: 0
    .wavefront_size: 64
  - .agpr_count:     0
    .args:
      - .address_space:  global
        .offset:         0
        .size:           8
        .value_kind:     global_buffer
      - .address_space:  global
        .offset:         8
        .size:           8
        .value_kind:     global_buffer
      - .offset:         16
        .size:           4
        .value_kind:     by_value
      - .offset:         20
        .size:           4
        .value_kind:     by_value
      - .offset:         24
        .size:           4
        .value_kind:     by_value
      - .offset:         28
        .size:           4
        .value_kind:     by_value
      - .offset:         32
        .size:           4
        .value_kind:     by_value
      - .offset:         36
        .size:           4
        .value_kind:     by_value
      - .offset:         40
        .size:           12
        .value_kind:     by_value
      - .offset:         52
        .size:           12
        .value_kind:     by_value
      - .offset:         64
        .size:           12
        .value_kind:     by_value
    .group_segment_fixed_size: 0
    .kernarg_segment_align: 8
    .kernarg_segment_size: 76
    .language:       OpenCL C
    .language_version:
      - 2
      - 0
    .max_flat_workgroup_size: 112
    .name:           _ZL33flash_attn_stream_k_fixup_uniformILi112ELi1ELi2EEvPfPK15HIP_vector_typeIfLj2EEiiiiiiS1_IjLj3EES5_S5_
    .private_segment_fixed_size: 0
    .sgpr_count:     26
    .sgpr_spill_count: 0
    .symbol:         _ZL33flash_attn_stream_k_fixup_uniformILi112ELi1ELi2EEvPfPK15HIP_vector_typeIfLj2EEiiiiiiS1_IjLj3EES5_S5_.kd
    .uniform_work_group_size: 1
    .uses_dynamic_stack: false
    .vgpr_count:     16
    .vgpr_spill_count: 0
    .wavefront_size: 64
  - .agpr_count:     0
    .args:
      - .address_space:  global
        .offset:         0
        .size:           8
        .value_kind:     global_buffer
      - .address_space:  global
        .offset:         8
        .size:           8
        .value_kind:     global_buffer
      - .offset:         16
        .size:           4
        .value_kind:     by_value
      - .offset:         20
        .size:           4
        .value_kind:     by_value
      - .offset:         24
        .size:           4
        .value_kind:     by_value
      - .offset:         28
        .size:           4
        .value_kind:     by_value
      - .offset:         32
        .size:           12
        .value_kind:     by_value
      - .offset:         44
        .size:           12
        .value_kind:     by_value
      - .offset:         56
        .size:           12
        .value_kind:     by_value
      - .offset:         68
        .size:           12
        .value_kind:     by_value
      - .offset:         80
        .size:           4
        .value_kind:     hidden_block_count_x
      - .offset:         84
        .size:           4
        .value_kind:     hidden_block_count_y
      - .offset:         88
        .size:           4
        .value_kind:     hidden_block_count_z
      - .offset:         92
        .size:           2
        .value_kind:     hidden_group_size_x
      - .offset:         94
        .size:           2
        .value_kind:     hidden_group_size_y
      - .offset:         96
        .size:           2
        .value_kind:     hidden_group_size_z
      - .offset:         98
        .size:           2
        .value_kind:     hidden_remainder_x
      - .offset:         100
        .size:           2
        .value_kind:     hidden_remainder_y
      - .offset:         102
        .size:           2
        .value_kind:     hidden_remainder_z
      - .offset:         120
        .size:           8
        .value_kind:     hidden_global_offset_x
      - .offset:         128
        .size:           8
        .value_kind:     hidden_global_offset_y
      - .offset:         136
        .size:           8
        .value_kind:     hidden_global_offset_z
      - .offset:         144
        .size:           2
        .value_kind:     hidden_grid_dims
    .group_segment_fixed_size: 0
    .kernarg_segment_align: 8
    .kernarg_segment_size: 336
    .language:       OpenCL C
    .language_version:
      - 2
      - 0
    .max_flat_workgroup_size: 112
    .name:           _ZL33flash_attn_stream_k_fixup_generalILi112ELi1ELi2EEvPfPK15HIP_vector_typeIfLj2EEiiiiS1_IjLj3EES5_S5_S5_
    .private_segment_fixed_size: 0
    .sgpr_count:     38
    .sgpr_spill_count: 0
    .symbol:         _ZL33flash_attn_stream_k_fixup_generalILi112ELi1ELi2EEvPfPK15HIP_vector_typeIfLj2EEiiiiS1_IjLj3EES5_S5_S5_.kd
    .uniform_work_group_size: 1
    .uses_dynamic_stack: false
    .vgpr_count:     22
    .vgpr_spill_count: 0
    .wavefront_size: 64
  - .agpr_count:     0
    .args:
      - .address_space:  global
        .offset:         0
        .size:           8
        .value_kind:     global_buffer
      - .address_space:  global
        .offset:         8
        .size:           8
        .value_kind:     global_buffer
      - .address_space:  global
        .offset:         16
        .size:           8
        .value_kind:     global_buffer
      - .address_space:  global
        .offset:         24
        .size:           8
        .value_kind:     global_buffer
      - .address_space:  global
        .offset:         32
        .size:           8
        .value_kind:     global_buffer
      - .address_space:  global
        .offset:         40
        .size:           8
        .value_kind:     global_buffer
      - .address_space:  global
        .offset:         48
        .size:           8
        .value_kind:     global_buffer
      - .address_space:  global
        .offset:         56
        .size:           8
        .value_kind:     global_buffer
      - .offset:         64
        .size:           4
        .value_kind:     by_value
      - .offset:         68
        .size:           4
        .value_kind:     by_value
      - .offset:         72
        .size:           4
        .value_kind:     by_value
      - .offset:         76
        .size:           4
        .value_kind:     by_value
      - .offset:         80
        .size:           4
        .value_kind:     by_value
      - .offset:         84
        .size:           4
        .value_kind:     by_value
      - .offset:         88
        .size:           4
        .value_kind:     by_value
      - .offset:         92
        .size:           12
        .value_kind:     by_value
      - .offset:         104
        .size:           4
        .value_kind:     by_value
      - .offset:         108
        .size:           4
        .value_kind:     by_value
      - .offset:         112
        .size:           4
        .value_kind:     by_value
      - .offset:         116
        .size:           4
        .value_kind:     by_value
      - .offset:         120
        .size:           4
        .value_kind:     by_value
      - .offset:         124
        .size:           4
        .value_kind:     by_value
      - .offset:         128
        .size:           4
        .value_kind:     by_value
      - .offset:         132
        .size:           4
        .value_kind:     by_value
      - .offset:         136
        .size:           4
        .value_kind:     by_value
      - .offset:         140
        .size:           4
        .value_kind:     by_value
      - .offset:         144
        .size:           4
        .value_kind:     by_value
      - .offset:         152
        .size:           8
        .value_kind:     by_value
      - .offset:         160
        .size:           4
        .value_kind:     by_value
      - .offset:         164
        .size:           4
        .value_kind:     by_value
      - .offset:         168
        .size:           8
        .value_kind:     by_value
      - .offset:         176
        .size:           4
        .value_kind:     by_value
      - .offset:         180
        .size:           4
        .value_kind:     by_value
      - .offset:         184
        .size:           4
        .value_kind:     by_value
      - .offset:         188
        .size:           4
        .value_kind:     by_value
      - .offset:         192
        .size:           4
        .value_kind:     by_value
      - .offset:         200
        .size:           8
        .value_kind:     by_value
      - .offset:         208
        .size:           4
        .value_kind:     hidden_block_count_x
      - .offset:         212
        .size:           4
        .value_kind:     hidden_block_count_y
      - .offset:         216
        .size:           4
        .value_kind:     hidden_block_count_z
      - .offset:         220
        .size:           2
        .value_kind:     hidden_group_size_x
      - .offset:         222
        .size:           2
        .value_kind:     hidden_group_size_y
      - .offset:         224
        .size:           2
        .value_kind:     hidden_group_size_z
      - .offset:         226
        .size:           2
        .value_kind:     hidden_remainder_x
      - .offset:         228
        .size:           2
        .value_kind:     hidden_remainder_y
      - .offset:         230
        .size:           2
        .value_kind:     hidden_remainder_z
      - .offset:         248
        .size:           8
        .value_kind:     hidden_global_offset_x
      - .offset:         256
        .size:           8
        .value_kind:     hidden_global_offset_y
      - .offset:         264
        .size:           8
        .value_kind:     hidden_global_offset_z
      - .offset:         272
        .size:           2
        .value_kind:     hidden_grid_dims
    .group_segment_fixed_size: 30784
    .kernarg_segment_align: 8
    .kernarg_segment_size: 464
    .language:       OpenCL C
    .language_version:
      - 2
      - 0
    .max_flat_workgroup_size: 256
    .name:           _ZL15flash_attn_tileILi112ELi112ELi64ELi1ELb0EEvPKcS1_S1_S1_S1_PKiPfP15HIP_vector_typeIfLj2EEffffjfiS5_IjLj3EEiiiiiiiiiiiliiliiiiil
    .private_segment_fixed_size: 32
    .sgpr_count:     87
    .sgpr_spill_count: 0
    .symbol:         _ZL15flash_attn_tileILi112ELi112ELi64ELi1ELb0EEvPKcS1_S1_S1_S1_PKiPfP15HIP_vector_typeIfLj2EEffffjfiS5_IjLj3EEiiiiiiiiiiiliiliiiiil.kd
    .uniform_work_group_size: 1
    .uses_dynamic_stack: false
    .vgpr_count:     220
    .vgpr_spill_count: 0
    .wavefront_size: 64
  - .agpr_count:     0
    .args:
      - .actual_access:  read_only
        .address_space:  global
        .offset:         0
        .size:           8
        .value_kind:     global_buffer
      - .actual_access:  write_only
        .address_space:  global
        .offset:         8
        .size:           8
        .value_kind:     global_buffer
      - .offset:         16
        .size:           4
        .value_kind:     by_value
      - .offset:         20
        .size:           4
        .value_kind:     by_value
      - .offset:         24
        .size:           4
        .value_kind:     by_value
      - .offset:         32
        .size:           4
        .value_kind:     hidden_block_count_x
      - .offset:         36
        .size:           4
        .value_kind:     hidden_block_count_y
      - .offset:         40
        .size:           4
        .value_kind:     hidden_block_count_z
      - .offset:         44
        .size:           2
        .value_kind:     hidden_group_size_x
      - .offset:         46
        .size:           2
        .value_kind:     hidden_group_size_y
      - .offset:         48
        .size:           2
        .value_kind:     hidden_group_size_z
      - .offset:         50
        .size:           2
        .value_kind:     hidden_remainder_x
      - .offset:         52
        .size:           2
        .value_kind:     hidden_remainder_y
      - .offset:         54
        .size:           2
        .value_kind:     hidden_remainder_z
      - .offset:         72
        .size:           8
        .value_kind:     hidden_global_offset_x
      - .offset:         80
        .size:           8
        .value_kind:     hidden_global_offset_y
      - .offset:         88
        .size:           8
        .value_kind:     hidden_global_offset_z
      - .offset:         96
        .size:           2
        .value_kind:     hidden_grid_dims
    .group_segment_fixed_size: 128
    .kernarg_segment_align: 8
    .kernarg_segment_size: 288
    .language:       OpenCL C
    .language_version:
      - 2
      - 0
    .max_flat_workgroup_size: 128
    .name:           _ZL25flash_attn_mask_to_KV_maxILi64EEvPK7__half2Piiii
    .private_segment_fixed_size: 0
    .sgpr_count:     106
    .sgpr_spill_count: 172
    .symbol:         _ZL25flash_attn_mask_to_KV_maxILi64EEvPK7__half2Piiii.kd
    .uniform_work_group_size: 1
    .uses_dynamic_stack: false
    .vgpr_count:     15
    .vgpr_spill_count: 0
    .wavefront_size: 64
  - .agpr_count:     0
    .args:
      - .address_space:  global
        .offset:         0
        .size:           8
        .value_kind:     global_buffer
      - .address_space:  global
        .offset:         8
        .size:           8
        .value_kind:     global_buffer
      - .offset:         16
        .size:           4
        .value_kind:     by_value
      - .offset:         20
        .size:           4
        .value_kind:     by_value
      - .offset:         24
        .size:           4
        .value_kind:     by_value
      - .offset:         28
        .size:           4
        .value_kind:     by_value
      - .offset:         32
        .size:           4
        .value_kind:     by_value
      - .offset:         36
        .size:           4
        .value_kind:     by_value
      - .offset:         40
        .size:           12
        .value_kind:     by_value
      - .offset:         52
        .size:           12
        .value_kind:     by_value
      - .offset:         64
        .size:           12
        .value_kind:     by_value
    .group_segment_fixed_size: 0
    .kernarg_segment_align: 8
    .kernarg_segment_size: 76
    .language:       OpenCL C
    .language_version:
      - 2
      - 0
    .max_flat_workgroup_size: 112
    .name:           _ZL33flash_attn_stream_k_fixup_uniformILi112ELi64ELi1EEvPfPK15HIP_vector_typeIfLj2EEiiiiiiS1_IjLj3EES5_S5_
    .private_segment_fixed_size: 0
    .sgpr_count:     26
    .sgpr_spill_count: 0
    .symbol:         _ZL33flash_attn_stream_k_fixup_uniformILi112ELi64ELi1EEvPfPK15HIP_vector_typeIfLj2EEiiiiiiS1_IjLj3EES5_S5_.kd
    .uniform_work_group_size: 1
    .uses_dynamic_stack: false
    .vgpr_count:     16
    .vgpr_spill_count: 0
    .wavefront_size: 64
  - .agpr_count:     0
    .args:
      - .address_space:  global
        .offset:         0
        .size:           8
        .value_kind:     global_buffer
      - .address_space:  global
        .offset:         8
        .size:           8
        .value_kind:     global_buffer
      - .offset:         16
        .size:           4
        .value_kind:     by_value
      - .offset:         20
        .size:           4
        .value_kind:     by_value
      - .offset:         24
        .size:           4
        .value_kind:     by_value
      - .offset:         28
        .size:           4
        .value_kind:     by_value
      - .offset:         32
        .size:           12
        .value_kind:     by_value
      - .offset:         44
        .size:           12
        .value_kind:     by_value
      - .offset:         56
        .size:           12
        .value_kind:     by_value
      - .offset:         68
        .size:           12
        .value_kind:     by_value
      - .offset:         80
        .size:           4
        .value_kind:     hidden_block_count_x
      - .offset:         84
        .size:           4
        .value_kind:     hidden_block_count_y
      - .offset:         88
        .size:           4
        .value_kind:     hidden_block_count_z
      - .offset:         92
        .size:           2
        .value_kind:     hidden_group_size_x
      - .offset:         94
        .size:           2
        .value_kind:     hidden_group_size_y
      - .offset:         96
        .size:           2
        .value_kind:     hidden_group_size_z
      - .offset:         98
        .size:           2
        .value_kind:     hidden_remainder_x
      - .offset:         100
        .size:           2
        .value_kind:     hidden_remainder_y
      - .offset:         102
        .size:           2
        .value_kind:     hidden_remainder_z
      - .offset:         120
        .size:           8
        .value_kind:     hidden_global_offset_x
      - .offset:         128
        .size:           8
        .value_kind:     hidden_global_offset_y
      - .offset:         136
        .size:           8
        .value_kind:     hidden_global_offset_z
      - .offset:         144
        .size:           2
        .value_kind:     hidden_grid_dims
    .group_segment_fixed_size: 0
    .kernarg_segment_align: 8
    .kernarg_segment_size: 336
    .language:       OpenCL C
    .language_version:
      - 2
      - 0
    .max_flat_workgroup_size: 112
    .name:           _ZL33flash_attn_stream_k_fixup_generalILi112ELi64ELi1EEvPfPK15HIP_vector_typeIfLj2EEiiiiS1_IjLj3EES5_S5_S5_
    .private_segment_fixed_size: 0
    .sgpr_count:     38
    .sgpr_spill_count: 0
    .symbol:         _ZL33flash_attn_stream_k_fixup_generalILi112ELi64ELi1EEvPfPK15HIP_vector_typeIfLj2EEiiiiS1_IjLj3EES5_S5_S5_.kd
    .uniform_work_group_size: 1
    .uses_dynamic_stack: false
    .vgpr_count:     22
    .vgpr_spill_count: 0
    .wavefront_size: 64
  - .agpr_count:     0
    .args:
      - .address_space:  global
        .offset:         0
        .size:           8
        .value_kind:     global_buffer
      - .address_space:  global
        .offset:         8
        .size:           8
        .value_kind:     global_buffer
      - .address_space:  global
        .offset:         16
        .size:           8
        .value_kind:     global_buffer
      - .address_space:  global
        .offset:         24
        .size:           8
        .value_kind:     global_buffer
      - .address_space:  global
        .offset:         32
        .size:           8
        .value_kind:     global_buffer
      - .address_space:  global
        .offset:         40
        .size:           8
        .value_kind:     global_buffer
      - .address_space:  global
        .offset:         48
        .size:           8
        .value_kind:     global_buffer
      - .address_space:  global
        .offset:         56
        .size:           8
        .value_kind:     global_buffer
      - .offset:         64
        .size:           4
        .value_kind:     by_value
      - .offset:         68
        .size:           4
        .value_kind:     by_value
      - .offset:         72
        .size:           4
        .value_kind:     by_value
      - .offset:         76
        .size:           4
        .value_kind:     by_value
      - .offset:         80
        .size:           4
        .value_kind:     by_value
      - .offset:         84
        .size:           4
        .value_kind:     by_value
      - .offset:         88
        .size:           4
        .value_kind:     by_value
      - .offset:         92
        .size:           12
        .value_kind:     by_value
      - .offset:         104
        .size:           4
        .value_kind:     by_value
      - .offset:         108
        .size:           4
        .value_kind:     by_value
      - .offset:         112
        .size:           4
        .value_kind:     by_value
      - .offset:         116
        .size:           4
        .value_kind:     by_value
      - .offset:         120
        .size:           4
        .value_kind:     by_value
      - .offset:         124
        .size:           4
        .value_kind:     by_value
      - .offset:         128
        .size:           4
        .value_kind:     by_value
      - .offset:         132
        .size:           4
        .value_kind:     by_value
      - .offset:         136
        .size:           4
        .value_kind:     by_value
      - .offset:         140
        .size:           4
        .value_kind:     by_value
      - .offset:         144
        .size:           4
        .value_kind:     by_value
      - .offset:         152
        .size:           8
        .value_kind:     by_value
      - .offset:         160
        .size:           4
        .value_kind:     by_value
      - .offset:         164
        .size:           4
        .value_kind:     by_value
      - .offset:         168
        .size:           8
        .value_kind:     by_value
      - .offset:         176
        .size:           4
        .value_kind:     by_value
      - .offset:         180
        .size:           4
        .value_kind:     by_value
      - .offset:         184
        .size:           4
        .value_kind:     by_value
      - .offset:         188
        .size:           4
        .value_kind:     by_value
      - .offset:         192
        .size:           4
        .value_kind:     by_value
      - .offset:         200
        .size:           8
        .value_kind:     by_value
      - .offset:         208
        .size:           4
        .value_kind:     hidden_block_count_x
      - .offset:         212
        .size:           4
        .value_kind:     hidden_block_count_y
      - .offset:         216
        .size:           4
        .value_kind:     hidden_block_count_z
      - .offset:         220
        .size:           2
        .value_kind:     hidden_group_size_x
      - .offset:         222
        .size:           2
        .value_kind:     hidden_group_size_y
      - .offset:         224
        .size:           2
        .value_kind:     hidden_group_size_z
      - .offset:         226
        .size:           2
        .value_kind:     hidden_remainder_x
      - .offset:         228
        .size:           2
        .value_kind:     hidden_remainder_y
      - .offset:         230
        .size:           2
        .value_kind:     hidden_remainder_z
      - .offset:         248
        .size:           8
        .value_kind:     hidden_global_offset_x
      - .offset:         256
        .size:           8
        .value_kind:     hidden_global_offset_y
      - .offset:         264
        .size:           8
        .value_kind:     hidden_global_offset_z
      - .offset:         272
        .size:           2
        .value_kind:     hidden_grid_dims
    .group_segment_fixed_size: 13376
    .kernarg_segment_align: 8
    .kernarg_segment_size: 464
    .language:       OpenCL C
    .language_version:
      - 2
      - 0
    .max_flat_workgroup_size: 256
    .name:           _ZL15flash_attn_tileILi112ELi112ELi32ELi1ELb0EEvPKcS1_S1_S1_S1_PKiPfP15HIP_vector_typeIfLj2EEffffjfiS5_IjLj3EEiiiiiiiiiiiliiliiiiil
    .private_segment_fixed_size: 32
    .sgpr_count:     69
    .sgpr_spill_count: 0
    .symbol:         _ZL15flash_attn_tileILi112ELi112ELi32ELi1ELb0EEvPKcS1_S1_S1_S1_PKiPfP15HIP_vector_typeIfLj2EEffffjfiS5_IjLj3EEiiiiiiiiiiiliiliiiiil.kd
    .uniform_work_group_size: 1
    .uses_dynamic_stack: false
    .vgpr_count:     156
    .vgpr_spill_count: 0
    .wavefront_size: 64
  - .agpr_count:     0
    .args:
      - .address_space:  global
        .offset:         0
        .size:           8
        .value_kind:     global_buffer
      - .address_space:  global
        .offset:         8
        .size:           8
        .value_kind:     global_buffer
      - .offset:         16
        .size:           4
        .value_kind:     by_value
      - .offset:         20
        .size:           4
        .value_kind:     by_value
      - .offset:         24
        .size:           4
        .value_kind:     by_value
      - .offset:         28
        .size:           4
        .value_kind:     by_value
      - .offset:         32
        .size:           4
        .value_kind:     by_value
      - .offset:         36
        .size:           4
        .value_kind:     by_value
      - .offset:         40
        .size:           12
        .value_kind:     by_value
      - .offset:         52
        .size:           12
        .value_kind:     by_value
      - .offset:         64
        .size:           12
        .value_kind:     by_value
    .group_segment_fixed_size: 0
    .kernarg_segment_align: 8
    .kernarg_segment_size: 76
    .language:       OpenCL C
    .language_version:
      - 2
      - 0
    .max_flat_workgroup_size: 112
    .name:           _ZL33flash_attn_stream_k_fixup_uniformILi112ELi32ELi1EEvPfPK15HIP_vector_typeIfLj2EEiiiiiiS1_IjLj3EES5_S5_
    .private_segment_fixed_size: 0
    .sgpr_count:     26
    .sgpr_spill_count: 0
    .symbol:         _ZL33flash_attn_stream_k_fixup_uniformILi112ELi32ELi1EEvPfPK15HIP_vector_typeIfLj2EEiiiiiiS1_IjLj3EES5_S5_.kd
    .uniform_work_group_size: 1
    .uses_dynamic_stack: false
    .vgpr_count:     16
    .vgpr_spill_count: 0
    .wavefront_size: 64
  - .agpr_count:     0
    .args:
      - .address_space:  global
        .offset:         0
        .size:           8
        .value_kind:     global_buffer
      - .address_space:  global
        .offset:         8
        .size:           8
        .value_kind:     global_buffer
      - .offset:         16
        .size:           4
        .value_kind:     by_value
      - .offset:         20
        .size:           4
        .value_kind:     by_value
      - .offset:         24
        .size:           4
        .value_kind:     by_value
      - .offset:         28
        .size:           4
        .value_kind:     by_value
      - .offset:         32
        .size:           12
        .value_kind:     by_value
      - .offset:         44
        .size:           12
        .value_kind:     by_value
      - .offset:         56
        .size:           12
        .value_kind:     by_value
      - .offset:         68
        .size:           12
        .value_kind:     by_value
      - .offset:         80
        .size:           4
        .value_kind:     hidden_block_count_x
      - .offset:         84
        .size:           4
        .value_kind:     hidden_block_count_y
      - .offset:         88
        .size:           4
        .value_kind:     hidden_block_count_z
      - .offset:         92
        .size:           2
        .value_kind:     hidden_group_size_x
      - .offset:         94
        .size:           2
        .value_kind:     hidden_group_size_y
      - .offset:         96
        .size:           2
        .value_kind:     hidden_group_size_z
      - .offset:         98
        .size:           2
        .value_kind:     hidden_remainder_x
      - .offset:         100
        .size:           2
        .value_kind:     hidden_remainder_y
      - .offset:         102
        .size:           2
        .value_kind:     hidden_remainder_z
      - .offset:         120
        .size:           8
        .value_kind:     hidden_global_offset_x
      - .offset:         128
        .size:           8
        .value_kind:     hidden_global_offset_y
      - .offset:         136
        .size:           8
        .value_kind:     hidden_global_offset_z
      - .offset:         144
        .size:           2
        .value_kind:     hidden_grid_dims
    .group_segment_fixed_size: 0
    .kernarg_segment_align: 8
    .kernarg_segment_size: 336
    .language:       OpenCL C
    .language_version:
      - 2
      - 0
    .max_flat_workgroup_size: 112
    .name:           _ZL33flash_attn_stream_k_fixup_generalILi112ELi32ELi1EEvPfPK15HIP_vector_typeIfLj2EEiiiiS1_IjLj3EES5_S5_S5_
    .private_segment_fixed_size: 0
    .sgpr_count:     38
    .sgpr_spill_count: 0
    .symbol:         _ZL33flash_attn_stream_k_fixup_generalILi112ELi32ELi1EEvPfPK15HIP_vector_typeIfLj2EEiiiiS1_IjLj3EES5_S5_S5_.kd
    .uniform_work_group_size: 1
    .uses_dynamic_stack: false
    .vgpr_count:     22
    .vgpr_spill_count: 0
    .wavefront_size: 64
  - .agpr_count:     0
    .args:
      - .address_space:  global
        .offset:         0
        .size:           8
        .value_kind:     global_buffer
      - .address_space:  global
        .offset:         8
        .size:           8
        .value_kind:     global_buffer
      - .address_space:  global
        .offset:         16
        .size:           8
        .value_kind:     global_buffer
      - .address_space:  global
        .offset:         24
        .size:           8
        .value_kind:     global_buffer
      - .address_space:  global
        .offset:         32
        .size:           8
        .value_kind:     global_buffer
      - .address_space:  global
        .offset:         40
        .size:           8
        .value_kind:     global_buffer
      - .address_space:  global
        .offset:         48
        .size:           8
        .value_kind:     global_buffer
      - .address_space:  global
        .offset:         56
        .size:           8
        .value_kind:     global_buffer
      - .offset:         64
        .size:           4
        .value_kind:     by_value
      - .offset:         68
        .size:           4
        .value_kind:     by_value
      - .offset:         72
        .size:           4
        .value_kind:     by_value
      - .offset:         76
        .size:           4
        .value_kind:     by_value
      - .offset:         80
        .size:           4
        .value_kind:     by_value
      - .offset:         84
        .size:           4
        .value_kind:     by_value
      - .offset:         88
        .size:           4
        .value_kind:     by_value
      - .offset:         92
        .size:           12
        .value_kind:     by_value
      - .offset:         104
        .size:           4
        .value_kind:     by_value
      - .offset:         108
        .size:           4
        .value_kind:     by_value
      - .offset:         112
        .size:           4
        .value_kind:     by_value
      - .offset:         116
        .size:           4
        .value_kind:     by_value
      - .offset:         120
        .size:           4
        .value_kind:     by_value
      - .offset:         124
        .size:           4
        .value_kind:     by_value
      - .offset:         128
        .size:           4
        .value_kind:     by_value
      - .offset:         132
        .size:           4
        .value_kind:     by_value
      - .offset:         136
        .size:           4
        .value_kind:     by_value
      - .offset:         140
        .size:           4
        .value_kind:     by_value
      - .offset:         144
        .size:           4
        .value_kind:     by_value
      - .offset:         152
        .size:           8
        .value_kind:     by_value
      - .offset:         160
        .size:           4
        .value_kind:     by_value
      - .offset:         164
        .size:           4
        .value_kind:     by_value
      - .offset:         168
        .size:           8
        .value_kind:     by_value
      - .offset:         176
        .size:           4
        .value_kind:     by_value
      - .offset:         180
        .size:           4
        .value_kind:     by_value
      - .offset:         184
        .size:           4
        .value_kind:     by_value
      - .offset:         188
        .size:           4
        .value_kind:     by_value
      - .offset:         192
        .size:           4
        .value_kind:     by_value
      - .offset:         200
        .size:           8
        .value_kind:     by_value
      - .offset:         208
        .size:           4
        .value_kind:     hidden_block_count_x
      - .offset:         212
        .size:           4
        .value_kind:     hidden_block_count_y
      - .offset:         216
        .size:           4
        .value_kind:     hidden_block_count_z
      - .offset:         220
        .size:           2
        .value_kind:     hidden_group_size_x
      - .offset:         222
        .size:           2
        .value_kind:     hidden_group_size_y
      - .offset:         224
        .size:           2
        .value_kind:     hidden_group_size_z
      - .offset:         226
        .size:           2
        .value_kind:     hidden_remainder_x
      - .offset:         228
        .size:           2
        .value_kind:     hidden_remainder_y
      - .offset:         230
        .size:           2
        .value_kind:     hidden_remainder_z
      - .offset:         248
        .size:           8
        .value_kind:     hidden_global_offset_x
      - .offset:         256
        .size:           8
        .value_kind:     hidden_global_offset_y
      - .offset:         264
        .size:           8
        .value_kind:     hidden_global_offset_z
      - .offset:         272
        .size:           2
        .value_kind:     hidden_grid_dims
    .group_segment_fixed_size: 8768
    .kernarg_segment_align: 8
    .kernarg_segment_size: 464
    .language:       OpenCL C
    .language_version:
      - 2
      - 0
    .max_flat_workgroup_size: 256
    .name:           _ZL15flash_attn_tileILi112ELi112ELi16ELi1ELb0EEvPKcS1_S1_S1_S1_PKiPfP15HIP_vector_typeIfLj2EEffffjfiS5_IjLj3EEiiiiiiiiiiiliiliiiiil
    .private_segment_fixed_size: 32
    .sgpr_count:     61
    .sgpr_spill_count: 0
    .symbol:         _ZL15flash_attn_tileILi112ELi112ELi16ELi1ELb0EEvPKcS1_S1_S1_S1_PKiPfP15HIP_vector_typeIfLj2EEffffjfiS5_IjLj3EEiiiiiiiiiiiliiliiiiil.kd
    .uniform_work_group_size: 1
    .uses_dynamic_stack: false
    .vgpr_count:     122
    .vgpr_spill_count: 0
    .wavefront_size: 64
  - .agpr_count:     0
    .args:
      - .address_space:  global
        .offset:         0
        .size:           8
        .value_kind:     global_buffer
      - .address_space:  global
        .offset:         8
        .size:           8
        .value_kind:     global_buffer
      - .offset:         16
        .size:           4
        .value_kind:     by_value
      - .offset:         20
        .size:           4
        .value_kind:     by_value
      - .offset:         24
        .size:           4
        .value_kind:     by_value
      - .offset:         28
        .size:           4
        .value_kind:     by_value
      - .offset:         32
        .size:           4
        .value_kind:     by_value
      - .offset:         36
        .size:           4
        .value_kind:     by_value
      - .offset:         40
        .size:           12
        .value_kind:     by_value
      - .offset:         52
        .size:           12
        .value_kind:     by_value
      - .offset:         64
        .size:           12
        .value_kind:     by_value
    .group_segment_fixed_size: 0
    .kernarg_segment_align: 8
    .kernarg_segment_size: 76
    .language:       OpenCL C
    .language_version:
      - 2
      - 0
    .max_flat_workgroup_size: 112
    .name:           _ZL33flash_attn_stream_k_fixup_uniformILi112ELi16ELi1EEvPfPK15HIP_vector_typeIfLj2EEiiiiiiS1_IjLj3EES5_S5_
    .private_segment_fixed_size: 0
    .sgpr_count:     26
    .sgpr_spill_count: 0
    .symbol:         _ZL33flash_attn_stream_k_fixup_uniformILi112ELi16ELi1EEvPfPK15HIP_vector_typeIfLj2EEiiiiiiS1_IjLj3EES5_S5_.kd
    .uniform_work_group_size: 1
    .uses_dynamic_stack: false
    .vgpr_count:     16
    .vgpr_spill_count: 0
    .wavefront_size: 64
  - .agpr_count:     0
    .args:
      - .address_space:  global
        .offset:         0
        .size:           8
        .value_kind:     global_buffer
      - .address_space:  global
        .offset:         8
        .size:           8
        .value_kind:     global_buffer
      - .offset:         16
        .size:           4
        .value_kind:     by_value
      - .offset:         20
        .size:           4
        .value_kind:     by_value
      - .offset:         24
        .size:           4
        .value_kind:     by_value
      - .offset:         28
        .size:           4
        .value_kind:     by_value
      - .offset:         32
        .size:           12
        .value_kind:     by_value
      - .offset:         44
        .size:           12
        .value_kind:     by_value
      - .offset:         56
        .size:           12
        .value_kind:     by_value
      - .offset:         68
        .size:           12
        .value_kind:     by_value
      - .offset:         80
        .size:           4
        .value_kind:     hidden_block_count_x
      - .offset:         84
        .size:           4
        .value_kind:     hidden_block_count_y
      - .offset:         88
        .size:           4
        .value_kind:     hidden_block_count_z
      - .offset:         92
        .size:           2
        .value_kind:     hidden_group_size_x
      - .offset:         94
        .size:           2
        .value_kind:     hidden_group_size_y
      - .offset:         96
        .size:           2
        .value_kind:     hidden_group_size_z
      - .offset:         98
        .size:           2
        .value_kind:     hidden_remainder_x
      - .offset:         100
        .size:           2
        .value_kind:     hidden_remainder_y
      - .offset:         102
        .size:           2
        .value_kind:     hidden_remainder_z
      - .offset:         120
        .size:           8
        .value_kind:     hidden_global_offset_x
      - .offset:         128
        .size:           8
        .value_kind:     hidden_global_offset_y
      - .offset:         136
        .size:           8
        .value_kind:     hidden_global_offset_z
      - .offset:         144
        .size:           2
        .value_kind:     hidden_grid_dims
    .group_segment_fixed_size: 0
    .kernarg_segment_align: 8
    .kernarg_segment_size: 336
    .language:       OpenCL C
    .language_version:
      - 2
      - 0
    .max_flat_workgroup_size: 112
    .name:           _ZL33flash_attn_stream_k_fixup_generalILi112ELi16ELi1EEvPfPK15HIP_vector_typeIfLj2EEiiiiS1_IjLj3EES5_S5_S5_
    .private_segment_fixed_size: 0
    .sgpr_count:     38
    .sgpr_spill_count: 0
    .symbol:         _ZL33flash_attn_stream_k_fixup_generalILi112ELi16ELi1EEvPfPK15HIP_vector_typeIfLj2EEiiiiS1_IjLj3EES5_S5_S5_.kd
    .uniform_work_group_size: 1
    .uses_dynamic_stack: false
    .vgpr_count:     22
    .vgpr_spill_count: 0
    .wavefront_size: 64
  - .agpr_count:     0
    .args:
      - .address_space:  global
        .offset:         0
        .size:           8
        .value_kind:     global_buffer
      - .address_space:  global
        .offset:         8
        .size:           8
        .value_kind:     global_buffer
      - .address_space:  global
        .offset:         16
        .size:           8
        .value_kind:     global_buffer
      - .address_space:  global
        .offset:         24
        .size:           8
        .value_kind:     global_buffer
      - .address_space:  global
        .offset:         32
        .size:           8
        .value_kind:     global_buffer
      - .address_space:  global
        .offset:         40
        .size:           8
        .value_kind:     global_buffer
      - .address_space:  global
        .offset:         48
        .size:           8
        .value_kind:     global_buffer
      - .address_space:  global
        .offset:         56
        .size:           8
        .value_kind:     global_buffer
      - .offset:         64
        .size:           4
        .value_kind:     by_value
      - .offset:         68
        .size:           4
        .value_kind:     by_value
      - .offset:         72
        .size:           4
        .value_kind:     by_value
      - .offset:         76
        .size:           4
        .value_kind:     by_value
      - .offset:         80
        .size:           4
        .value_kind:     by_value
      - .offset:         84
        .size:           4
        .value_kind:     by_value
      - .offset:         88
        .size:           4
        .value_kind:     by_value
      - .offset:         92
        .size:           12
        .value_kind:     by_value
      - .offset:         104
        .size:           4
        .value_kind:     by_value
      - .offset:         108
        .size:           4
        .value_kind:     by_value
      - .offset:         112
        .size:           4
        .value_kind:     by_value
      - .offset:         116
        .size:           4
        .value_kind:     by_value
      - .offset:         120
        .size:           4
        .value_kind:     by_value
      - .offset:         124
        .size:           4
        .value_kind:     by_value
      - .offset:         128
        .size:           4
        .value_kind:     by_value
      - .offset:         132
        .size:           4
        .value_kind:     by_value
      - .offset:         136
        .size:           4
        .value_kind:     by_value
      - .offset:         140
        .size:           4
        .value_kind:     by_value
      - .offset:         144
        .size:           4
        .value_kind:     by_value
      - .offset:         152
        .size:           8
        .value_kind:     by_value
      - .offset:         160
        .size:           4
        .value_kind:     by_value
      - .offset:         164
        .size:           4
        .value_kind:     by_value
      - .offset:         168
        .size:           8
        .value_kind:     by_value
      - .offset:         176
        .size:           4
        .value_kind:     by_value
      - .offset:         180
        .size:           4
        .value_kind:     by_value
      - .offset:         184
        .size:           4
        .value_kind:     by_value
      - .offset:         188
        .size:           4
        .value_kind:     by_value
      - .offset:         192
        .size:           4
        .value_kind:     by_value
      - .offset:         200
        .size:           8
        .value_kind:     by_value
      - .offset:         208
        .size:           4
        .value_kind:     hidden_block_count_x
      - .offset:         212
        .size:           4
        .value_kind:     hidden_block_count_y
      - .offset:         216
        .size:           4
        .value_kind:     hidden_block_count_z
      - .offset:         220
        .size:           2
        .value_kind:     hidden_group_size_x
      - .offset:         222
        .size:           2
        .value_kind:     hidden_group_size_y
      - .offset:         224
        .size:           2
        .value_kind:     hidden_group_size_z
      - .offset:         226
        .size:           2
        .value_kind:     hidden_remainder_x
      - .offset:         228
        .size:           2
        .value_kind:     hidden_remainder_y
      - .offset:         230
        .size:           2
        .value_kind:     hidden_remainder_z
      - .offset:         248
        .size:           8
        .value_kind:     hidden_global_offset_x
      - .offset:         256
        .size:           8
        .value_kind:     hidden_global_offset_y
      - .offset:         264
        .size:           8
        .value_kind:     hidden_global_offset_z
      - .offset:         272
        .size:           2
        .value_kind:     hidden_grid_dims
    .group_segment_fixed_size: 6464
    .kernarg_segment_align: 8
    .kernarg_segment_size: 464
    .language:       OpenCL C
    .language_version:
      - 2
      - 0
    .max_flat_workgroup_size: 256
    .name:           _ZL15flash_attn_tileILi112ELi112ELi8ELi1ELb0EEvPKcS1_S1_S1_S1_PKiPfP15HIP_vector_typeIfLj2EEffffjfiS5_IjLj3EEiiiiiiiiiiiliiliiiiil
    .private_segment_fixed_size: 32
    .sgpr_count:     56
    .sgpr_spill_count: 0
    .symbol:         _ZL15flash_attn_tileILi112ELi112ELi8ELi1ELb0EEvPKcS1_S1_S1_S1_PKiPfP15HIP_vector_typeIfLj2EEffffjfiS5_IjLj3EEiiiiiiiiiiiliiliiiiil.kd
    .uniform_work_group_size: 1
    .uses_dynamic_stack: false
    .vgpr_count:     102
    .vgpr_spill_count: 0
    .wavefront_size: 64
  - .agpr_count:     0
    .args:
      - .address_space:  global
        .offset:         0
        .size:           8
        .value_kind:     global_buffer
      - .address_space:  global
        .offset:         8
        .size:           8
        .value_kind:     global_buffer
      - .offset:         16
        .size:           4
        .value_kind:     by_value
      - .offset:         20
        .size:           4
        .value_kind:     by_value
      - .offset:         24
        .size:           4
        .value_kind:     by_value
      - .offset:         28
        .size:           4
        .value_kind:     by_value
      - .offset:         32
        .size:           4
        .value_kind:     by_value
      - .offset:         36
        .size:           4
        .value_kind:     by_value
      - .offset:         40
        .size:           12
        .value_kind:     by_value
      - .offset:         52
        .size:           12
        .value_kind:     by_value
      - .offset:         64
        .size:           12
        .value_kind:     by_value
    .group_segment_fixed_size: 0
    .kernarg_segment_align: 8
    .kernarg_segment_size: 76
    .language:       OpenCL C
    .language_version:
      - 2
      - 0
    .max_flat_workgroup_size: 112
    .name:           _ZL33flash_attn_stream_k_fixup_uniformILi112ELi8ELi1EEvPfPK15HIP_vector_typeIfLj2EEiiiiiiS1_IjLj3EES5_S5_
    .private_segment_fixed_size: 0
    .sgpr_count:     26
    .sgpr_spill_count: 0
    .symbol:         _ZL33flash_attn_stream_k_fixup_uniformILi112ELi8ELi1EEvPfPK15HIP_vector_typeIfLj2EEiiiiiiS1_IjLj3EES5_S5_.kd
    .uniform_work_group_size: 1
    .uses_dynamic_stack: false
    .vgpr_count:     16
    .vgpr_spill_count: 0
    .wavefront_size: 64
  - .agpr_count:     0
    .args:
      - .address_space:  global
        .offset:         0
        .size:           8
        .value_kind:     global_buffer
      - .address_space:  global
        .offset:         8
        .size:           8
        .value_kind:     global_buffer
      - .offset:         16
        .size:           4
        .value_kind:     by_value
      - .offset:         20
        .size:           4
        .value_kind:     by_value
      - .offset:         24
        .size:           4
        .value_kind:     by_value
      - .offset:         28
        .size:           4
        .value_kind:     by_value
      - .offset:         32
        .size:           12
        .value_kind:     by_value
      - .offset:         44
        .size:           12
        .value_kind:     by_value
      - .offset:         56
        .size:           12
        .value_kind:     by_value
      - .offset:         68
        .size:           12
        .value_kind:     by_value
      - .offset:         80
        .size:           4
        .value_kind:     hidden_block_count_x
      - .offset:         84
        .size:           4
        .value_kind:     hidden_block_count_y
      - .offset:         88
        .size:           4
        .value_kind:     hidden_block_count_z
      - .offset:         92
        .size:           2
        .value_kind:     hidden_group_size_x
      - .offset:         94
        .size:           2
        .value_kind:     hidden_group_size_y
      - .offset:         96
        .size:           2
        .value_kind:     hidden_group_size_z
      - .offset:         98
        .size:           2
        .value_kind:     hidden_remainder_x
      - .offset:         100
        .size:           2
        .value_kind:     hidden_remainder_y
      - .offset:         102
        .size:           2
        .value_kind:     hidden_remainder_z
      - .offset:         120
        .size:           8
        .value_kind:     hidden_global_offset_x
      - .offset:         128
        .size:           8
        .value_kind:     hidden_global_offset_y
      - .offset:         136
        .size:           8
        .value_kind:     hidden_global_offset_z
      - .offset:         144
        .size:           2
        .value_kind:     hidden_grid_dims
    .group_segment_fixed_size: 0
    .kernarg_segment_align: 8
    .kernarg_segment_size: 336
    .language:       OpenCL C
    .language_version:
      - 2
      - 0
    .max_flat_workgroup_size: 112
    .name:           _ZL33flash_attn_stream_k_fixup_generalILi112ELi8ELi1EEvPfPK15HIP_vector_typeIfLj2EEiiiiS1_IjLj3EES5_S5_S5_
    .private_segment_fixed_size: 0
    .sgpr_count:     38
    .sgpr_spill_count: 0
    .symbol:         _ZL33flash_attn_stream_k_fixup_generalILi112ELi8ELi1EEvPfPK15HIP_vector_typeIfLj2EEiiiiS1_IjLj3EES5_S5_S5_.kd
    .uniform_work_group_size: 1
    .uses_dynamic_stack: false
    .vgpr_count:     22
    .vgpr_spill_count: 0
    .wavefront_size: 64
  - .agpr_count:     0
    .args:
      - .address_space:  global
        .offset:         0
        .size:           8
        .value_kind:     global_buffer
      - .address_space:  global
        .offset:         8
        .size:           8
        .value_kind:     global_buffer
      - .address_space:  global
        .offset:         16
        .size:           8
        .value_kind:     global_buffer
      - .address_space:  global
        .offset:         24
        .size:           8
        .value_kind:     global_buffer
      - .address_space:  global
        .offset:         32
        .size:           8
        .value_kind:     global_buffer
      - .address_space:  global
        .offset:         40
        .size:           8
        .value_kind:     global_buffer
      - .address_space:  global
        .offset:         48
        .size:           8
        .value_kind:     global_buffer
      - .address_space:  global
        .offset:         56
        .size:           8
        .value_kind:     global_buffer
      - .offset:         64
        .size:           4
        .value_kind:     by_value
      - .offset:         68
        .size:           4
        .value_kind:     by_value
      - .offset:         72
        .size:           4
        .value_kind:     by_value
      - .offset:         76
        .size:           4
        .value_kind:     by_value
      - .offset:         80
        .size:           4
        .value_kind:     by_value
      - .offset:         84
        .size:           4
        .value_kind:     by_value
      - .offset:         88
        .size:           4
        .value_kind:     by_value
      - .offset:         92
        .size:           12
        .value_kind:     by_value
      - .offset:         104
        .size:           4
        .value_kind:     by_value
      - .offset:         108
        .size:           4
        .value_kind:     by_value
      - .offset:         112
        .size:           4
        .value_kind:     by_value
      - .offset:         116
        .size:           4
        .value_kind:     by_value
      - .offset:         120
        .size:           4
        .value_kind:     by_value
      - .offset:         124
        .size:           4
        .value_kind:     by_value
      - .offset:         128
        .size:           4
        .value_kind:     by_value
      - .offset:         132
        .size:           4
        .value_kind:     by_value
      - .offset:         136
        .size:           4
        .value_kind:     by_value
      - .offset:         140
        .size:           4
        .value_kind:     by_value
      - .offset:         144
        .size:           4
        .value_kind:     by_value
      - .offset:         152
        .size:           8
        .value_kind:     by_value
      - .offset:         160
        .size:           4
        .value_kind:     by_value
      - .offset:         164
        .size:           4
        .value_kind:     by_value
      - .offset:         168
        .size:           8
        .value_kind:     by_value
      - .offset:         176
        .size:           4
        .value_kind:     by_value
      - .offset:         180
        .size:           4
        .value_kind:     by_value
      - .offset:         184
        .size:           4
        .value_kind:     by_value
      - .offset:         188
        .size:           4
        .value_kind:     by_value
      - .offset:         192
        .size:           4
        .value_kind:     by_value
      - .offset:         200
        .size:           8
        .value_kind:     by_value
      - .offset:         208
        .size:           4
        .value_kind:     hidden_block_count_x
      - .offset:         212
        .size:           4
        .value_kind:     hidden_block_count_y
      - .offset:         216
        .size:           4
        .value_kind:     hidden_block_count_z
      - .offset:         220
        .size:           2
        .value_kind:     hidden_group_size_x
      - .offset:         222
        .size:           2
        .value_kind:     hidden_group_size_y
      - .offset:         224
        .size:           2
        .value_kind:     hidden_group_size_z
      - .offset:         226
        .size:           2
        .value_kind:     hidden_remainder_x
      - .offset:         228
        .size:           2
        .value_kind:     hidden_remainder_y
      - .offset:         230
        .size:           2
        .value_kind:     hidden_remainder_z
      - .offset:         248
        .size:           8
        .value_kind:     hidden_global_offset_x
      - .offset:         256
        .size:           8
        .value_kind:     hidden_global_offset_y
      - .offset:         264
        .size:           8
        .value_kind:     hidden_global_offset_z
      - .offset:         272
        .size:           2
        .value_kind:     hidden_grid_dims
    .group_segment_fixed_size: 5312
    .kernarg_segment_align: 8
    .kernarg_segment_size: 464
    .language:       OpenCL C
    .language_version:
      - 2
      - 0
    .max_flat_workgroup_size: 128
    .name:           _ZL15flash_attn_tileILi112ELi112ELi4ELi1ELb0EEvPKcS1_S1_S1_S1_PKiPfP15HIP_vector_typeIfLj2EEffffjfiS5_IjLj3EEiiiiiiiiiiiliiliiiiil
    .private_segment_fixed_size: 32
    .sgpr_count:     54
    .sgpr_spill_count: 0
    .symbol:         _ZL15flash_attn_tileILi112ELi112ELi4ELi1ELb0EEvPKcS1_S1_S1_S1_PKiPfP15HIP_vector_typeIfLj2EEffffjfiS5_IjLj3EEiiiiiiiiiiiliiliiiiil.kd
    .uniform_work_group_size: 1
    .uses_dynamic_stack: false
    .vgpr_count:     100
    .vgpr_spill_count: 0
    .wavefront_size: 64
  - .agpr_count:     0
    .args:
      - .address_space:  global
        .offset:         0
        .size:           8
        .value_kind:     global_buffer
      - .address_space:  global
        .offset:         8
        .size:           8
        .value_kind:     global_buffer
      - .offset:         16
        .size:           4
        .value_kind:     by_value
      - .offset:         20
        .size:           4
        .value_kind:     by_value
      - .offset:         24
        .size:           4
        .value_kind:     by_value
      - .offset:         28
        .size:           4
        .value_kind:     by_value
      - .offset:         32
        .size:           4
        .value_kind:     by_value
      - .offset:         36
        .size:           4
        .value_kind:     by_value
      - .offset:         40
        .size:           12
        .value_kind:     by_value
      - .offset:         52
        .size:           12
        .value_kind:     by_value
      - .offset:         64
        .size:           12
        .value_kind:     by_value
    .group_segment_fixed_size: 0
    .kernarg_segment_align: 8
    .kernarg_segment_size: 76
    .language:       OpenCL C
    .language_version:
      - 2
      - 0
    .max_flat_workgroup_size: 112
    .name:           _ZL33flash_attn_stream_k_fixup_uniformILi112ELi4ELi1EEvPfPK15HIP_vector_typeIfLj2EEiiiiiiS1_IjLj3EES5_S5_
    .private_segment_fixed_size: 0
    .sgpr_count:     26
    .sgpr_spill_count: 0
    .symbol:         _ZL33flash_attn_stream_k_fixup_uniformILi112ELi4ELi1EEvPfPK15HIP_vector_typeIfLj2EEiiiiiiS1_IjLj3EES5_S5_.kd
    .uniform_work_group_size: 1
    .uses_dynamic_stack: false
    .vgpr_count:     16
    .vgpr_spill_count: 0
    .wavefront_size: 64
  - .agpr_count:     0
    .args:
      - .address_space:  global
        .offset:         0
        .size:           8
        .value_kind:     global_buffer
      - .address_space:  global
        .offset:         8
        .size:           8
        .value_kind:     global_buffer
      - .offset:         16
        .size:           4
        .value_kind:     by_value
      - .offset:         20
        .size:           4
        .value_kind:     by_value
      - .offset:         24
        .size:           4
        .value_kind:     by_value
      - .offset:         28
        .size:           4
        .value_kind:     by_value
      - .offset:         32
        .size:           12
        .value_kind:     by_value
      - .offset:         44
        .size:           12
        .value_kind:     by_value
      - .offset:         56
        .size:           12
        .value_kind:     by_value
      - .offset:         68
        .size:           12
        .value_kind:     by_value
      - .offset:         80
        .size:           4
        .value_kind:     hidden_block_count_x
      - .offset:         84
        .size:           4
        .value_kind:     hidden_block_count_y
      - .offset:         88
        .size:           4
        .value_kind:     hidden_block_count_z
      - .offset:         92
        .size:           2
        .value_kind:     hidden_group_size_x
      - .offset:         94
        .size:           2
        .value_kind:     hidden_group_size_y
      - .offset:         96
        .size:           2
        .value_kind:     hidden_group_size_z
      - .offset:         98
        .size:           2
        .value_kind:     hidden_remainder_x
      - .offset:         100
        .size:           2
        .value_kind:     hidden_remainder_y
      - .offset:         102
        .size:           2
        .value_kind:     hidden_remainder_z
      - .offset:         120
        .size:           8
        .value_kind:     hidden_global_offset_x
      - .offset:         128
        .size:           8
        .value_kind:     hidden_global_offset_y
      - .offset:         136
        .size:           8
        .value_kind:     hidden_global_offset_z
      - .offset:         144
        .size:           2
        .value_kind:     hidden_grid_dims
    .group_segment_fixed_size: 0
    .kernarg_segment_align: 8
    .kernarg_segment_size: 336
    .language:       OpenCL C
    .language_version:
      - 2
      - 0
    .max_flat_workgroup_size: 112
    .name:           _ZL33flash_attn_stream_k_fixup_generalILi112ELi4ELi1EEvPfPK15HIP_vector_typeIfLj2EEiiiiS1_IjLj3EES5_S5_S5_
    .private_segment_fixed_size: 0
    .sgpr_count:     38
    .sgpr_spill_count: 0
    .symbol:         _ZL33flash_attn_stream_k_fixup_generalILi112ELi4ELi1EEvPfPK15HIP_vector_typeIfLj2EEiiiiS1_IjLj3EES5_S5_S5_.kd
    .uniform_work_group_size: 1
    .uses_dynamic_stack: false
    .vgpr_count:     22
    .vgpr_spill_count: 0
    .wavefront_size: 64
  - .agpr_count:     0
    .args:
      - .address_space:  global
        .offset:         0
        .size:           8
        .value_kind:     global_buffer
      - .address_space:  global
        .offset:         8
        .size:           8
        .value_kind:     global_buffer
      - .address_space:  global
        .offset:         16
        .size:           8
        .value_kind:     global_buffer
      - .address_space:  global
        .offset:         24
        .size:           8
        .value_kind:     global_buffer
      - .address_space:  global
        .offset:         32
        .size:           8
        .value_kind:     global_buffer
      - .address_space:  global
        .offset:         40
        .size:           8
        .value_kind:     global_buffer
      - .address_space:  global
        .offset:         48
        .size:           8
        .value_kind:     global_buffer
      - .address_space:  global
        .offset:         56
        .size:           8
        .value_kind:     global_buffer
      - .offset:         64
        .size:           4
        .value_kind:     by_value
      - .offset:         68
        .size:           4
        .value_kind:     by_value
      - .offset:         72
        .size:           4
        .value_kind:     by_value
      - .offset:         76
        .size:           4
        .value_kind:     by_value
      - .offset:         80
        .size:           4
        .value_kind:     by_value
      - .offset:         84
        .size:           4
        .value_kind:     by_value
      - .offset:         88
        .size:           4
        .value_kind:     by_value
      - .offset:         92
        .size:           12
        .value_kind:     by_value
      - .offset:         104
        .size:           4
        .value_kind:     by_value
      - .offset:         108
        .size:           4
        .value_kind:     by_value
      - .offset:         112
        .size:           4
        .value_kind:     by_value
      - .offset:         116
        .size:           4
        .value_kind:     by_value
      - .offset:         120
        .size:           4
        .value_kind:     by_value
      - .offset:         124
        .size:           4
        .value_kind:     by_value
      - .offset:         128
        .size:           4
        .value_kind:     by_value
      - .offset:         132
        .size:           4
        .value_kind:     by_value
      - .offset:         136
        .size:           4
        .value_kind:     by_value
      - .offset:         140
        .size:           4
        .value_kind:     by_value
      - .offset:         144
        .size:           4
        .value_kind:     by_value
      - .offset:         152
        .size:           8
        .value_kind:     by_value
      - .offset:         160
        .size:           4
        .value_kind:     by_value
      - .offset:         164
        .size:           4
        .value_kind:     by_value
      - .offset:         168
        .size:           8
        .value_kind:     by_value
      - .offset:         176
        .size:           4
        .value_kind:     by_value
      - .offset:         180
        .size:           4
        .value_kind:     by_value
      - .offset:         184
        .size:           4
        .value_kind:     by_value
      - .offset:         188
        .size:           4
        .value_kind:     by_value
      - .offset:         192
        .size:           4
        .value_kind:     by_value
      - .offset:         200
        .size:           8
        .value_kind:     by_value
      - .offset:         208
        .size:           4
        .value_kind:     hidden_block_count_x
      - .offset:         212
        .size:           4
        .value_kind:     hidden_block_count_y
      - .offset:         216
        .size:           4
        .value_kind:     hidden_block_count_z
      - .offset:         220
        .size:           2
        .value_kind:     hidden_group_size_x
      - .offset:         222
        .size:           2
        .value_kind:     hidden_group_size_y
      - .offset:         224
        .size:           2
        .value_kind:     hidden_group_size_z
      - .offset:         226
        .size:           2
        .value_kind:     hidden_remainder_x
      - .offset:         228
        .size:           2
        .value_kind:     hidden_remainder_y
      - .offset:         230
        .size:           2
        .value_kind:     hidden_remainder_z
      - .offset:         248
        .size:           8
        .value_kind:     hidden_global_offset_x
      - .offset:         256
        .size:           8
        .value_kind:     hidden_global_offset_y
      - .offset:         264
        .size:           8
        .value_kind:     hidden_global_offset_z
      - .offset:         272
        .size:           2
        .value_kind:     hidden_grid_dims
    .group_segment_fixed_size: 4736
    .kernarg_segment_align: 8
    .kernarg_segment_size: 464
    .language:       OpenCL C
    .language_version:
      - 2
      - 0
    .max_flat_workgroup_size: 64
    .name:           _ZL15flash_attn_tileILi112ELi112ELi2ELi1ELb0EEvPKcS1_S1_S1_S1_PKiPfP15HIP_vector_typeIfLj2EEffffjfiS5_IjLj3EEiiiiiiiiiiiliiliiiiil
    .private_segment_fixed_size: 32
    .sgpr_count:     58
    .sgpr_spill_count: 0
    .symbol:         _ZL15flash_attn_tileILi112ELi112ELi2ELi1ELb0EEvPKcS1_S1_S1_S1_PKiPfP15HIP_vector_typeIfLj2EEffffjfiS5_IjLj3EEiiiiiiiiiiiliiliiiiil.kd
    .uniform_work_group_size: 1
    .uses_dynamic_stack: false
    .vgpr_count:     116
    .vgpr_spill_count: 0
    .wavefront_size: 64
  - .agpr_count:     0
    .args:
      - .address_space:  global
        .offset:         0
        .size:           8
        .value_kind:     global_buffer
      - .address_space:  global
        .offset:         8
        .size:           8
        .value_kind:     global_buffer
      - .offset:         16
        .size:           4
        .value_kind:     by_value
      - .offset:         20
        .size:           4
        .value_kind:     by_value
      - .offset:         24
        .size:           4
        .value_kind:     by_value
      - .offset:         28
        .size:           4
        .value_kind:     by_value
      - .offset:         32
        .size:           4
        .value_kind:     by_value
      - .offset:         36
        .size:           4
        .value_kind:     by_value
      - .offset:         40
        .size:           12
        .value_kind:     by_value
      - .offset:         52
        .size:           12
        .value_kind:     by_value
      - .offset:         64
        .size:           12
        .value_kind:     by_value
    .group_segment_fixed_size: 0
    .kernarg_segment_align: 8
    .kernarg_segment_size: 76
    .language:       OpenCL C
    .language_version:
      - 2
      - 0
    .max_flat_workgroup_size: 112
    .name:           _ZL33flash_attn_stream_k_fixup_uniformILi112ELi2ELi1EEvPfPK15HIP_vector_typeIfLj2EEiiiiiiS1_IjLj3EES5_S5_
    .private_segment_fixed_size: 0
    .sgpr_count:     26
    .sgpr_spill_count: 0
    .symbol:         _ZL33flash_attn_stream_k_fixup_uniformILi112ELi2ELi1EEvPfPK15HIP_vector_typeIfLj2EEiiiiiiS1_IjLj3EES5_S5_.kd
    .uniform_work_group_size: 1
    .uses_dynamic_stack: false
    .vgpr_count:     16
    .vgpr_spill_count: 0
    .wavefront_size: 64
  - .agpr_count:     0
    .args:
      - .address_space:  global
        .offset:         0
        .size:           8
        .value_kind:     global_buffer
      - .address_space:  global
        .offset:         8
        .size:           8
        .value_kind:     global_buffer
      - .offset:         16
        .size:           4
        .value_kind:     by_value
      - .offset:         20
        .size:           4
        .value_kind:     by_value
      - .offset:         24
        .size:           4
        .value_kind:     by_value
      - .offset:         28
        .size:           4
        .value_kind:     by_value
      - .offset:         32
        .size:           12
        .value_kind:     by_value
      - .offset:         44
        .size:           12
        .value_kind:     by_value
      - .offset:         56
        .size:           12
        .value_kind:     by_value
      - .offset:         68
        .size:           12
        .value_kind:     by_value
      - .offset:         80
        .size:           4
        .value_kind:     hidden_block_count_x
      - .offset:         84
        .size:           4
        .value_kind:     hidden_block_count_y
      - .offset:         88
        .size:           4
        .value_kind:     hidden_block_count_z
      - .offset:         92
        .size:           2
        .value_kind:     hidden_group_size_x
      - .offset:         94
        .size:           2
        .value_kind:     hidden_group_size_y
      - .offset:         96
        .size:           2
        .value_kind:     hidden_group_size_z
      - .offset:         98
        .size:           2
        .value_kind:     hidden_remainder_x
      - .offset:         100
        .size:           2
        .value_kind:     hidden_remainder_y
      - .offset:         102
        .size:           2
        .value_kind:     hidden_remainder_z
      - .offset:         120
        .size:           8
        .value_kind:     hidden_global_offset_x
      - .offset:         128
        .size:           8
        .value_kind:     hidden_global_offset_y
      - .offset:         136
        .size:           8
        .value_kind:     hidden_global_offset_z
      - .offset:         144
        .size:           2
        .value_kind:     hidden_grid_dims
    .group_segment_fixed_size: 0
    .kernarg_segment_align: 8
    .kernarg_segment_size: 336
    .language:       OpenCL C
    .language_version:
      - 2
      - 0
    .max_flat_workgroup_size: 112
    .name:           _ZL33flash_attn_stream_k_fixup_generalILi112ELi2ELi1EEvPfPK15HIP_vector_typeIfLj2EEiiiiS1_IjLj3EES5_S5_S5_
    .private_segment_fixed_size: 0
    .sgpr_count:     38
    .sgpr_spill_count: 0
    .symbol:         _ZL33flash_attn_stream_k_fixup_generalILi112ELi2ELi1EEvPfPK15HIP_vector_typeIfLj2EEiiiiS1_IjLj3EES5_S5_S5_.kd
    .uniform_work_group_size: 1
    .uses_dynamic_stack: false
    .vgpr_count:     22
    .vgpr_spill_count: 0
    .wavefront_size: 64
  - .agpr_count:     0
    .args:
      - .address_space:  global
        .offset:         0
        .size:           8
        .value_kind:     global_buffer
      - .address_space:  global
        .offset:         8
        .size:           8
        .value_kind:     global_buffer
      - .address_space:  global
        .offset:         16
        .size:           8
        .value_kind:     global_buffer
      - .address_space:  global
        .offset:         24
        .size:           8
        .value_kind:     global_buffer
      - .address_space:  global
        .offset:         32
        .size:           8
        .value_kind:     global_buffer
      - .address_space:  global
        .offset:         40
        .size:           8
        .value_kind:     global_buffer
      - .address_space:  global
        .offset:         48
        .size:           8
        .value_kind:     global_buffer
      - .address_space:  global
        .offset:         56
        .size:           8
        .value_kind:     global_buffer
      - .offset:         64
        .size:           4
        .value_kind:     by_value
      - .offset:         68
        .size:           4
        .value_kind:     by_value
      - .offset:         72
        .size:           4
        .value_kind:     by_value
      - .offset:         76
        .size:           4
        .value_kind:     by_value
      - .offset:         80
        .size:           4
        .value_kind:     by_value
      - .offset:         84
        .size:           4
        .value_kind:     by_value
      - .offset:         88
        .size:           4
        .value_kind:     by_value
      - .offset:         92
        .size:           12
        .value_kind:     by_value
      - .offset:         104
        .size:           4
        .value_kind:     by_value
      - .offset:         108
        .size:           4
        .value_kind:     by_value
      - .offset:         112
        .size:           4
        .value_kind:     by_value
      - .offset:         116
        .size:           4
        .value_kind:     by_value
      - .offset:         120
        .size:           4
        .value_kind:     by_value
      - .offset:         124
        .size:           4
        .value_kind:     by_value
      - .offset:         128
        .size:           4
        .value_kind:     by_value
      - .offset:         132
        .size:           4
        .value_kind:     by_value
      - .offset:         136
        .size:           4
        .value_kind:     by_value
      - .offset:         140
        .size:           4
        .value_kind:     by_value
      - .offset:         144
        .size:           4
        .value_kind:     by_value
      - .offset:         152
        .size:           8
        .value_kind:     by_value
      - .offset:         160
        .size:           4
        .value_kind:     by_value
      - .offset:         164
        .size:           4
        .value_kind:     by_value
      - .offset:         168
        .size:           8
        .value_kind:     by_value
      - .offset:         176
        .size:           4
        .value_kind:     by_value
      - .offset:         180
        .size:           4
        .value_kind:     by_value
      - .offset:         184
        .size:           4
        .value_kind:     by_value
      - .offset:         188
        .size:           4
        .value_kind:     by_value
      - .offset:         192
        .size:           4
        .value_kind:     by_value
      - .offset:         200
        .size:           8
        .value_kind:     by_value
      - .offset:         208
        .size:           4
        .value_kind:     hidden_block_count_x
      - .offset:         212
        .size:           4
        .value_kind:     hidden_block_count_y
      - .offset:         216
        .size:           4
        .value_kind:     hidden_block_count_z
      - .offset:         220
        .size:           2
        .value_kind:     hidden_group_size_x
      - .offset:         222
        .size:           2
        .value_kind:     hidden_group_size_y
      - .offset:         224
        .size:           2
        .value_kind:     hidden_group_size_z
      - .offset:         226
        .size:           2
        .value_kind:     hidden_remainder_x
      - .offset:         228
        .size:           2
        .value_kind:     hidden_remainder_y
      - .offset:         230
        .size:           2
        .value_kind:     hidden_remainder_z
      - .offset:         248
        .size:           8
        .value_kind:     hidden_global_offset_x
      - .offset:         256
        .size:           8
        .value_kind:     hidden_global_offset_y
      - .offset:         264
        .size:           8
        .value_kind:     hidden_global_offset_z
      - .offset:         272
        .size:           2
        .value_kind:     hidden_grid_dims
      - .offset:         288
        .size:           8
        .value_kind:     hidden_hostcall_buffer
    .group_segment_fixed_size: 0
    .kernarg_segment_align: 8
    .kernarg_segment_size: 464
    .language:       OpenCL C
    .language_version:
      - 2
      - 0
    .max_flat_workgroup_size: 256
    .name:           _ZL15flash_attn_tileILi112ELi112ELi8ELi8ELb1EEvPKcS1_S1_S1_S1_PKiPfP15HIP_vector_typeIfLj2EEffffjfiS5_IjLj3EEiiiiiiiiiiiliiliiiiil
    .private_segment_fixed_size: 16
    .sgpr_count:     40
    .sgpr_spill_count: 0
    .symbol:         _ZL15flash_attn_tileILi112ELi112ELi8ELi8ELb1EEvPKcS1_S1_S1_S1_PKiPfP15HIP_vector_typeIfLj2EEffffjfiS5_IjLj3EEiiiiiiiiiiiliiliiiiil.kd
    .uniform_work_group_size: 1
    .uses_dynamic_stack: false
    .vgpr_count:     39
    .vgpr_spill_count: 0
    .wavefront_size: 64
  - .agpr_count:     0
    .args:
      - .address_space:  global
        .offset:         0
        .size:           8
        .value_kind:     global_buffer
      - .address_space:  global
        .offset:         8
        .size:           8
        .value_kind:     global_buffer
      - .address_space:  global
        .offset:         16
        .size:           8
        .value_kind:     global_buffer
      - .address_space:  global
        .offset:         24
        .size:           8
        .value_kind:     global_buffer
      - .address_space:  global
        .offset:         32
        .size:           8
        .value_kind:     global_buffer
      - .address_space:  global
        .offset:         40
        .size:           8
        .value_kind:     global_buffer
      - .address_space:  global
        .offset:         48
        .size:           8
        .value_kind:     global_buffer
      - .address_space:  global
        .offset:         56
        .size:           8
        .value_kind:     global_buffer
      - .offset:         64
        .size:           4
        .value_kind:     by_value
      - .offset:         68
        .size:           4
        .value_kind:     by_value
      - .offset:         72
        .size:           4
        .value_kind:     by_value
      - .offset:         76
        .size:           4
        .value_kind:     by_value
      - .offset:         80
        .size:           4
        .value_kind:     by_value
      - .offset:         84
        .size:           4
        .value_kind:     by_value
      - .offset:         88
        .size:           4
        .value_kind:     by_value
      - .offset:         92
        .size:           12
        .value_kind:     by_value
      - .offset:         104
        .size:           4
        .value_kind:     by_value
      - .offset:         108
        .size:           4
        .value_kind:     by_value
      - .offset:         112
        .size:           4
        .value_kind:     by_value
      - .offset:         116
        .size:           4
        .value_kind:     by_value
      - .offset:         120
        .size:           4
        .value_kind:     by_value
      - .offset:         124
        .size:           4
        .value_kind:     by_value
      - .offset:         128
        .size:           4
        .value_kind:     by_value
      - .offset:         132
        .size:           4
        .value_kind:     by_value
      - .offset:         136
        .size:           4
        .value_kind:     by_value
      - .offset:         140
        .size:           4
        .value_kind:     by_value
      - .offset:         144
        .size:           4
        .value_kind:     by_value
      - .offset:         152
        .size:           8
        .value_kind:     by_value
      - .offset:         160
        .size:           4
        .value_kind:     by_value
      - .offset:         164
        .size:           4
        .value_kind:     by_value
      - .offset:         168
        .size:           8
        .value_kind:     by_value
      - .offset:         176
        .size:           4
        .value_kind:     by_value
      - .offset:         180
        .size:           4
        .value_kind:     by_value
      - .offset:         184
        .size:           4
        .value_kind:     by_value
      - .offset:         188
        .size:           4
        .value_kind:     by_value
      - .offset:         192
        .size:           4
        .value_kind:     by_value
      - .offset:         200
        .size:           8
        .value_kind:     by_value
      - .offset:         208
        .size:           4
        .value_kind:     hidden_block_count_x
      - .offset:         212
        .size:           4
        .value_kind:     hidden_block_count_y
      - .offset:         216
        .size:           4
        .value_kind:     hidden_block_count_z
      - .offset:         220
        .size:           2
        .value_kind:     hidden_group_size_x
      - .offset:         222
        .size:           2
        .value_kind:     hidden_group_size_y
      - .offset:         224
        .size:           2
        .value_kind:     hidden_group_size_z
      - .offset:         226
        .size:           2
        .value_kind:     hidden_remainder_x
      - .offset:         228
        .size:           2
        .value_kind:     hidden_remainder_y
      - .offset:         230
        .size:           2
        .value_kind:     hidden_remainder_z
      - .offset:         248
        .size:           8
        .value_kind:     hidden_global_offset_x
      - .offset:         256
        .size:           8
        .value_kind:     hidden_global_offset_y
      - .offset:         264
        .size:           8
        .value_kind:     hidden_global_offset_z
      - .offset:         272
        .size:           2
        .value_kind:     hidden_grid_dims
      - .offset:         288
        .size:           8
        .value_kind:     hidden_hostcall_buffer
    .group_segment_fixed_size: 0
    .kernarg_segment_align: 8
    .kernarg_segment_size: 464
    .language:       OpenCL C
    .language_version:
      - 2
      - 0
    .max_flat_workgroup_size: 256
    .name:           _ZL15flash_attn_tileILi112ELi112ELi4ELi8ELb1EEvPKcS1_S1_S1_S1_PKiPfP15HIP_vector_typeIfLj2EEffffjfiS5_IjLj3EEiiiiiiiiiiiliiliiiiil
    .private_segment_fixed_size: 16
    .sgpr_count:     40
    .sgpr_spill_count: 0
    .symbol:         _ZL15flash_attn_tileILi112ELi112ELi4ELi8ELb1EEvPKcS1_S1_S1_S1_PKiPfP15HIP_vector_typeIfLj2EEffffjfiS5_IjLj3EEiiiiiiiiiiiliiliiiiil.kd
    .uniform_work_group_size: 1
    .uses_dynamic_stack: false
    .vgpr_count:     39
    .vgpr_spill_count: 0
    .wavefront_size: 64
  - .agpr_count:     0
    .args:
      - .address_space:  global
        .offset:         0
        .size:           8
        .value_kind:     global_buffer
      - .address_space:  global
        .offset:         8
        .size:           8
        .value_kind:     global_buffer
      - .address_space:  global
        .offset:         16
        .size:           8
        .value_kind:     global_buffer
      - .address_space:  global
        .offset:         24
        .size:           8
        .value_kind:     global_buffer
      - .address_space:  global
        .offset:         32
        .size:           8
        .value_kind:     global_buffer
      - .address_space:  global
        .offset:         40
        .size:           8
        .value_kind:     global_buffer
      - .address_space:  global
        .offset:         48
        .size:           8
        .value_kind:     global_buffer
      - .address_space:  global
        .offset:         56
        .size:           8
        .value_kind:     global_buffer
      - .offset:         64
        .size:           4
        .value_kind:     by_value
      - .offset:         68
        .size:           4
        .value_kind:     by_value
      - .offset:         72
        .size:           4
        .value_kind:     by_value
      - .offset:         76
        .size:           4
        .value_kind:     by_value
      - .offset:         80
        .size:           4
        .value_kind:     by_value
      - .offset:         84
        .size:           4
        .value_kind:     by_value
      - .offset:         88
        .size:           4
        .value_kind:     by_value
      - .offset:         92
        .size:           12
        .value_kind:     by_value
      - .offset:         104
        .size:           4
        .value_kind:     by_value
      - .offset:         108
        .size:           4
        .value_kind:     by_value
      - .offset:         112
        .size:           4
        .value_kind:     by_value
      - .offset:         116
        .size:           4
        .value_kind:     by_value
      - .offset:         120
        .size:           4
        .value_kind:     by_value
      - .offset:         124
        .size:           4
        .value_kind:     by_value
      - .offset:         128
        .size:           4
        .value_kind:     by_value
      - .offset:         132
        .size:           4
        .value_kind:     by_value
      - .offset:         136
        .size:           4
        .value_kind:     by_value
      - .offset:         140
        .size:           4
        .value_kind:     by_value
      - .offset:         144
        .size:           4
        .value_kind:     by_value
      - .offset:         152
        .size:           8
        .value_kind:     by_value
      - .offset:         160
        .size:           4
        .value_kind:     by_value
      - .offset:         164
        .size:           4
        .value_kind:     by_value
      - .offset:         168
        .size:           8
        .value_kind:     by_value
      - .offset:         176
        .size:           4
        .value_kind:     by_value
      - .offset:         180
        .size:           4
        .value_kind:     by_value
      - .offset:         184
        .size:           4
        .value_kind:     by_value
      - .offset:         188
        .size:           4
        .value_kind:     by_value
      - .offset:         192
        .size:           4
        .value_kind:     by_value
      - .offset:         200
        .size:           8
        .value_kind:     by_value
      - .offset:         208
        .size:           4
        .value_kind:     hidden_block_count_x
      - .offset:         212
        .size:           4
        .value_kind:     hidden_block_count_y
      - .offset:         216
        .size:           4
        .value_kind:     hidden_block_count_z
      - .offset:         220
        .size:           2
        .value_kind:     hidden_group_size_x
      - .offset:         222
        .size:           2
        .value_kind:     hidden_group_size_y
      - .offset:         224
        .size:           2
        .value_kind:     hidden_group_size_z
      - .offset:         226
        .size:           2
        .value_kind:     hidden_remainder_x
      - .offset:         228
        .size:           2
        .value_kind:     hidden_remainder_y
      - .offset:         230
        .size:           2
        .value_kind:     hidden_remainder_z
      - .offset:         248
        .size:           8
        .value_kind:     hidden_global_offset_x
      - .offset:         256
        .size:           8
        .value_kind:     hidden_global_offset_y
      - .offset:         264
        .size:           8
        .value_kind:     hidden_global_offset_z
      - .offset:         272
        .size:           2
        .value_kind:     hidden_grid_dims
      - .offset:         288
        .size:           8
        .value_kind:     hidden_hostcall_buffer
    .group_segment_fixed_size: 0
    .kernarg_segment_align: 8
    .kernarg_segment_size: 464
    .language:       OpenCL C
    .language_version:
      - 2
      - 0
    .max_flat_workgroup_size: 256
    .name:           _ZL15flash_attn_tileILi112ELi112ELi2ELi8ELb1EEvPKcS1_S1_S1_S1_PKiPfP15HIP_vector_typeIfLj2EEffffjfiS5_IjLj3EEiiiiiiiiiiiliiliiiiil
    .private_segment_fixed_size: 16
    .sgpr_count:     40
    .sgpr_spill_count: 0
    .symbol:         _ZL15flash_attn_tileILi112ELi112ELi2ELi8ELb1EEvPKcS1_S1_S1_S1_PKiPfP15HIP_vector_typeIfLj2EEffffjfiS5_IjLj3EEiiiiiiiiiiiliiliiiiil.kd
    .uniform_work_group_size: 1
    .uses_dynamic_stack: false
    .vgpr_count:     39
    .vgpr_spill_count: 0
    .wavefront_size: 64
  - .agpr_count:     0
    .args:
      - .address_space:  global
        .offset:         0
        .size:           8
        .value_kind:     global_buffer
      - .address_space:  global
        .offset:         8
        .size:           8
        .value_kind:     global_buffer
      - .address_space:  global
        .offset:         16
        .size:           8
        .value_kind:     global_buffer
      - .address_space:  global
        .offset:         24
        .size:           8
        .value_kind:     global_buffer
      - .address_space:  global
        .offset:         32
        .size:           8
        .value_kind:     global_buffer
      - .address_space:  global
        .offset:         40
        .size:           8
        .value_kind:     global_buffer
      - .address_space:  global
        .offset:         48
        .size:           8
        .value_kind:     global_buffer
      - .address_space:  global
        .offset:         56
        .size:           8
        .value_kind:     global_buffer
      - .offset:         64
        .size:           4
        .value_kind:     by_value
      - .offset:         68
        .size:           4
        .value_kind:     by_value
      - .offset:         72
        .size:           4
        .value_kind:     by_value
      - .offset:         76
        .size:           4
        .value_kind:     by_value
      - .offset:         80
        .size:           4
        .value_kind:     by_value
      - .offset:         84
        .size:           4
        .value_kind:     by_value
      - .offset:         88
        .size:           4
        .value_kind:     by_value
      - .offset:         92
        .size:           12
        .value_kind:     by_value
      - .offset:         104
        .size:           4
        .value_kind:     by_value
      - .offset:         108
        .size:           4
        .value_kind:     by_value
      - .offset:         112
        .size:           4
        .value_kind:     by_value
      - .offset:         116
        .size:           4
        .value_kind:     by_value
      - .offset:         120
        .size:           4
        .value_kind:     by_value
      - .offset:         124
        .size:           4
        .value_kind:     by_value
      - .offset:         128
        .size:           4
        .value_kind:     by_value
      - .offset:         132
        .size:           4
        .value_kind:     by_value
      - .offset:         136
        .size:           4
        .value_kind:     by_value
      - .offset:         140
        .size:           4
        .value_kind:     by_value
      - .offset:         144
        .size:           4
        .value_kind:     by_value
      - .offset:         152
        .size:           8
        .value_kind:     by_value
      - .offset:         160
        .size:           4
        .value_kind:     by_value
      - .offset:         164
        .size:           4
        .value_kind:     by_value
      - .offset:         168
        .size:           8
        .value_kind:     by_value
      - .offset:         176
        .size:           4
        .value_kind:     by_value
      - .offset:         180
        .size:           4
        .value_kind:     by_value
      - .offset:         184
        .size:           4
        .value_kind:     by_value
      - .offset:         188
        .size:           4
        .value_kind:     by_value
      - .offset:         192
        .size:           4
        .value_kind:     by_value
      - .offset:         200
        .size:           8
        .value_kind:     by_value
      - .offset:         208
        .size:           4
        .value_kind:     hidden_block_count_x
      - .offset:         212
        .size:           4
        .value_kind:     hidden_block_count_y
      - .offset:         216
        .size:           4
        .value_kind:     hidden_block_count_z
      - .offset:         220
        .size:           2
        .value_kind:     hidden_group_size_x
      - .offset:         222
        .size:           2
        .value_kind:     hidden_group_size_y
      - .offset:         224
        .size:           2
        .value_kind:     hidden_group_size_z
      - .offset:         226
        .size:           2
        .value_kind:     hidden_remainder_x
      - .offset:         228
        .size:           2
        .value_kind:     hidden_remainder_y
      - .offset:         230
        .size:           2
        .value_kind:     hidden_remainder_z
      - .offset:         248
        .size:           8
        .value_kind:     hidden_global_offset_x
      - .offset:         256
        .size:           8
        .value_kind:     hidden_global_offset_y
      - .offset:         264
        .size:           8
        .value_kind:     hidden_global_offset_z
      - .offset:         272
        .size:           2
        .value_kind:     hidden_grid_dims
      - .offset:         288
        .size:           8
        .value_kind:     hidden_hostcall_buffer
    .group_segment_fixed_size: 0
    .kernarg_segment_align: 8
    .kernarg_segment_size: 464
    .language:       OpenCL C
    .language_version:
      - 2
      - 0
    .max_flat_workgroup_size: 256
    .name:           _ZL15flash_attn_tileILi112ELi112ELi1ELi8ELb1EEvPKcS1_S1_S1_S1_PKiPfP15HIP_vector_typeIfLj2EEffffjfiS5_IjLj3EEiiiiiiiiiiiliiliiiiil
    .private_segment_fixed_size: 16
    .sgpr_count:     40
    .sgpr_spill_count: 0
    .symbol:         _ZL15flash_attn_tileILi112ELi112ELi1ELi8ELb1EEvPKcS1_S1_S1_S1_PKiPfP15HIP_vector_typeIfLj2EEffffjfiS5_IjLj3EEiiiiiiiiiiiliiliiiiil.kd
    .uniform_work_group_size: 1
    .uses_dynamic_stack: false
    .vgpr_count:     39
    .vgpr_spill_count: 0
    .wavefront_size: 64
  - .agpr_count:     0
    .args:
      - .address_space:  global
        .offset:         0
        .size:           8
        .value_kind:     global_buffer
      - .address_space:  global
        .offset:         8
        .size:           8
        .value_kind:     global_buffer
      - .address_space:  global
        .offset:         16
        .size:           8
        .value_kind:     global_buffer
      - .address_space:  global
        .offset:         24
        .size:           8
        .value_kind:     global_buffer
      - .address_space:  global
        .offset:         32
        .size:           8
        .value_kind:     global_buffer
      - .address_space:  global
        .offset:         40
        .size:           8
        .value_kind:     global_buffer
      - .address_space:  global
        .offset:         48
        .size:           8
        .value_kind:     global_buffer
      - .address_space:  global
        .offset:         56
        .size:           8
        .value_kind:     global_buffer
      - .offset:         64
        .size:           4
        .value_kind:     by_value
      - .offset:         68
        .size:           4
        .value_kind:     by_value
      - .offset:         72
        .size:           4
        .value_kind:     by_value
      - .offset:         76
        .size:           4
        .value_kind:     by_value
      - .offset:         80
        .size:           4
        .value_kind:     by_value
      - .offset:         84
        .size:           4
        .value_kind:     by_value
      - .offset:         88
        .size:           4
        .value_kind:     by_value
      - .offset:         92
        .size:           12
        .value_kind:     by_value
      - .offset:         104
        .size:           4
        .value_kind:     by_value
      - .offset:         108
        .size:           4
        .value_kind:     by_value
      - .offset:         112
        .size:           4
        .value_kind:     by_value
      - .offset:         116
        .size:           4
        .value_kind:     by_value
      - .offset:         120
        .size:           4
        .value_kind:     by_value
      - .offset:         124
        .size:           4
        .value_kind:     by_value
      - .offset:         128
        .size:           4
        .value_kind:     by_value
      - .offset:         132
        .size:           4
        .value_kind:     by_value
      - .offset:         136
        .size:           4
        .value_kind:     by_value
      - .offset:         140
        .size:           4
        .value_kind:     by_value
      - .offset:         144
        .size:           4
        .value_kind:     by_value
      - .offset:         152
        .size:           8
        .value_kind:     by_value
      - .offset:         160
        .size:           4
        .value_kind:     by_value
      - .offset:         164
        .size:           4
        .value_kind:     by_value
      - .offset:         168
        .size:           8
        .value_kind:     by_value
      - .offset:         176
        .size:           4
        .value_kind:     by_value
      - .offset:         180
        .size:           4
        .value_kind:     by_value
      - .offset:         184
        .size:           4
        .value_kind:     by_value
      - .offset:         188
        .size:           4
        .value_kind:     by_value
      - .offset:         192
        .size:           4
        .value_kind:     by_value
      - .offset:         200
        .size:           8
        .value_kind:     by_value
      - .offset:         208
        .size:           4
        .value_kind:     hidden_block_count_x
      - .offset:         212
        .size:           4
        .value_kind:     hidden_block_count_y
      - .offset:         216
        .size:           4
        .value_kind:     hidden_block_count_z
      - .offset:         220
        .size:           2
        .value_kind:     hidden_group_size_x
      - .offset:         222
        .size:           2
        .value_kind:     hidden_group_size_y
      - .offset:         224
        .size:           2
        .value_kind:     hidden_group_size_z
      - .offset:         226
        .size:           2
        .value_kind:     hidden_remainder_x
      - .offset:         228
        .size:           2
        .value_kind:     hidden_remainder_y
      - .offset:         230
        .size:           2
        .value_kind:     hidden_remainder_z
      - .offset:         248
        .size:           8
        .value_kind:     hidden_global_offset_x
      - .offset:         256
        .size:           8
        .value_kind:     hidden_global_offset_y
      - .offset:         264
        .size:           8
        .value_kind:     hidden_global_offset_z
      - .offset:         272
        .size:           2
        .value_kind:     hidden_grid_dims
      - .offset:         288
        .size:           8
        .value_kind:     hidden_hostcall_buffer
    .group_segment_fixed_size: 0
    .kernarg_segment_align: 8
    .kernarg_segment_size: 464
    .language:       OpenCL C
    .language_version:
      - 2
      - 0
    .max_flat_workgroup_size: 256
    .name:           _ZL15flash_attn_tileILi112ELi112ELi16ELi4ELb1EEvPKcS1_S1_S1_S1_PKiPfP15HIP_vector_typeIfLj2EEffffjfiS5_IjLj3EEiiiiiiiiiiiliiliiiiil
    .private_segment_fixed_size: 16
    .sgpr_count:     40
    .sgpr_spill_count: 0
    .symbol:         _ZL15flash_attn_tileILi112ELi112ELi16ELi4ELb1EEvPKcS1_S1_S1_S1_PKiPfP15HIP_vector_typeIfLj2EEffffjfiS5_IjLj3EEiiiiiiiiiiiliiliiiiil.kd
    .uniform_work_group_size: 1
    .uses_dynamic_stack: false
    .vgpr_count:     39
    .vgpr_spill_count: 0
    .wavefront_size: 64
  - .agpr_count:     0
    .args:
      - .address_space:  global
        .offset:         0
        .size:           8
        .value_kind:     global_buffer
      - .address_space:  global
        .offset:         8
        .size:           8
        .value_kind:     global_buffer
      - .address_space:  global
        .offset:         16
        .size:           8
        .value_kind:     global_buffer
      - .address_space:  global
        .offset:         24
        .size:           8
        .value_kind:     global_buffer
      - .address_space:  global
        .offset:         32
        .size:           8
        .value_kind:     global_buffer
      - .address_space:  global
        .offset:         40
        .size:           8
        .value_kind:     global_buffer
      - .address_space:  global
        .offset:         48
        .size:           8
        .value_kind:     global_buffer
      - .address_space:  global
        .offset:         56
        .size:           8
        .value_kind:     global_buffer
      - .offset:         64
        .size:           4
        .value_kind:     by_value
      - .offset:         68
        .size:           4
        .value_kind:     by_value
      - .offset:         72
        .size:           4
        .value_kind:     by_value
      - .offset:         76
        .size:           4
        .value_kind:     by_value
      - .offset:         80
        .size:           4
        .value_kind:     by_value
      - .offset:         84
        .size:           4
        .value_kind:     by_value
      - .offset:         88
        .size:           4
        .value_kind:     by_value
      - .offset:         92
        .size:           12
        .value_kind:     by_value
      - .offset:         104
        .size:           4
        .value_kind:     by_value
      - .offset:         108
        .size:           4
        .value_kind:     by_value
      - .offset:         112
        .size:           4
        .value_kind:     by_value
      - .offset:         116
        .size:           4
        .value_kind:     by_value
      - .offset:         120
        .size:           4
        .value_kind:     by_value
      - .offset:         124
        .size:           4
        .value_kind:     by_value
      - .offset:         128
        .size:           4
        .value_kind:     by_value
      - .offset:         132
        .size:           4
        .value_kind:     by_value
      - .offset:         136
        .size:           4
        .value_kind:     by_value
      - .offset:         140
        .size:           4
        .value_kind:     by_value
      - .offset:         144
        .size:           4
        .value_kind:     by_value
      - .offset:         152
        .size:           8
        .value_kind:     by_value
      - .offset:         160
        .size:           4
        .value_kind:     by_value
      - .offset:         164
        .size:           4
        .value_kind:     by_value
      - .offset:         168
        .size:           8
        .value_kind:     by_value
      - .offset:         176
        .size:           4
        .value_kind:     by_value
      - .offset:         180
        .size:           4
        .value_kind:     by_value
      - .offset:         184
        .size:           4
        .value_kind:     by_value
      - .offset:         188
        .size:           4
        .value_kind:     by_value
      - .offset:         192
        .size:           4
        .value_kind:     by_value
      - .offset:         200
        .size:           8
        .value_kind:     by_value
      - .offset:         208
        .size:           4
        .value_kind:     hidden_block_count_x
      - .offset:         212
        .size:           4
        .value_kind:     hidden_block_count_y
      - .offset:         216
        .size:           4
        .value_kind:     hidden_block_count_z
      - .offset:         220
        .size:           2
        .value_kind:     hidden_group_size_x
      - .offset:         222
        .size:           2
        .value_kind:     hidden_group_size_y
      - .offset:         224
        .size:           2
        .value_kind:     hidden_group_size_z
      - .offset:         226
        .size:           2
        .value_kind:     hidden_remainder_x
      - .offset:         228
        .size:           2
        .value_kind:     hidden_remainder_y
      - .offset:         230
        .size:           2
        .value_kind:     hidden_remainder_z
      - .offset:         248
        .size:           8
        .value_kind:     hidden_global_offset_x
      - .offset:         256
        .size:           8
        .value_kind:     hidden_global_offset_y
      - .offset:         264
        .size:           8
        .value_kind:     hidden_global_offset_z
      - .offset:         272
        .size:           2
        .value_kind:     hidden_grid_dims
      - .offset:         288
        .size:           8
        .value_kind:     hidden_hostcall_buffer
    .group_segment_fixed_size: 0
    .kernarg_segment_align: 8
    .kernarg_segment_size: 464
    .language:       OpenCL C
    .language_version:
      - 2
      - 0
    .max_flat_workgroup_size: 256
    .name:           _ZL15flash_attn_tileILi112ELi112ELi8ELi4ELb1EEvPKcS1_S1_S1_S1_PKiPfP15HIP_vector_typeIfLj2EEffffjfiS5_IjLj3EEiiiiiiiiiiiliiliiiiil
    .private_segment_fixed_size: 16
    .sgpr_count:     40
    .sgpr_spill_count: 0
    .symbol:         _ZL15flash_attn_tileILi112ELi112ELi8ELi4ELb1EEvPKcS1_S1_S1_S1_PKiPfP15HIP_vector_typeIfLj2EEffffjfiS5_IjLj3EEiiiiiiiiiiiliiliiiiil.kd
    .uniform_work_group_size: 1
    .uses_dynamic_stack: false
    .vgpr_count:     39
    .vgpr_spill_count: 0
    .wavefront_size: 64
  - .agpr_count:     0
    .args:
      - .address_space:  global
        .offset:         0
        .size:           8
        .value_kind:     global_buffer
      - .address_space:  global
        .offset:         8
        .size:           8
        .value_kind:     global_buffer
      - .address_space:  global
        .offset:         16
        .size:           8
        .value_kind:     global_buffer
      - .address_space:  global
        .offset:         24
        .size:           8
        .value_kind:     global_buffer
      - .address_space:  global
        .offset:         32
        .size:           8
        .value_kind:     global_buffer
      - .address_space:  global
        .offset:         40
        .size:           8
        .value_kind:     global_buffer
      - .address_space:  global
        .offset:         48
        .size:           8
        .value_kind:     global_buffer
      - .address_space:  global
        .offset:         56
        .size:           8
        .value_kind:     global_buffer
      - .offset:         64
        .size:           4
        .value_kind:     by_value
      - .offset:         68
        .size:           4
        .value_kind:     by_value
      - .offset:         72
        .size:           4
        .value_kind:     by_value
      - .offset:         76
        .size:           4
        .value_kind:     by_value
      - .offset:         80
        .size:           4
        .value_kind:     by_value
      - .offset:         84
        .size:           4
        .value_kind:     by_value
      - .offset:         88
        .size:           4
        .value_kind:     by_value
      - .offset:         92
        .size:           12
        .value_kind:     by_value
      - .offset:         104
        .size:           4
        .value_kind:     by_value
      - .offset:         108
        .size:           4
        .value_kind:     by_value
      - .offset:         112
        .size:           4
        .value_kind:     by_value
      - .offset:         116
        .size:           4
        .value_kind:     by_value
      - .offset:         120
        .size:           4
        .value_kind:     by_value
      - .offset:         124
        .size:           4
        .value_kind:     by_value
      - .offset:         128
        .size:           4
        .value_kind:     by_value
      - .offset:         132
        .size:           4
        .value_kind:     by_value
      - .offset:         136
        .size:           4
        .value_kind:     by_value
      - .offset:         140
        .size:           4
        .value_kind:     by_value
      - .offset:         144
        .size:           4
        .value_kind:     by_value
      - .offset:         152
        .size:           8
        .value_kind:     by_value
      - .offset:         160
        .size:           4
        .value_kind:     by_value
      - .offset:         164
        .size:           4
        .value_kind:     by_value
      - .offset:         168
        .size:           8
        .value_kind:     by_value
      - .offset:         176
        .size:           4
        .value_kind:     by_value
      - .offset:         180
        .size:           4
        .value_kind:     by_value
      - .offset:         184
        .size:           4
        .value_kind:     by_value
      - .offset:         188
        .size:           4
        .value_kind:     by_value
      - .offset:         192
        .size:           4
        .value_kind:     by_value
      - .offset:         200
        .size:           8
        .value_kind:     by_value
      - .offset:         208
        .size:           4
        .value_kind:     hidden_block_count_x
      - .offset:         212
        .size:           4
        .value_kind:     hidden_block_count_y
      - .offset:         216
        .size:           4
        .value_kind:     hidden_block_count_z
      - .offset:         220
        .size:           2
        .value_kind:     hidden_group_size_x
      - .offset:         222
        .size:           2
        .value_kind:     hidden_group_size_y
      - .offset:         224
        .size:           2
        .value_kind:     hidden_group_size_z
      - .offset:         226
        .size:           2
        .value_kind:     hidden_remainder_x
      - .offset:         228
        .size:           2
        .value_kind:     hidden_remainder_y
      - .offset:         230
        .size:           2
        .value_kind:     hidden_remainder_z
      - .offset:         248
        .size:           8
        .value_kind:     hidden_global_offset_x
      - .offset:         256
        .size:           8
        .value_kind:     hidden_global_offset_y
      - .offset:         264
        .size:           8
        .value_kind:     hidden_global_offset_z
      - .offset:         272
        .size:           2
        .value_kind:     hidden_grid_dims
      - .offset:         288
        .size:           8
        .value_kind:     hidden_hostcall_buffer
    .group_segment_fixed_size: 0
    .kernarg_segment_align: 8
    .kernarg_segment_size: 464
    .language:       OpenCL C
    .language_version:
      - 2
      - 0
    .max_flat_workgroup_size: 256
    .name:           _ZL15flash_attn_tileILi112ELi112ELi4ELi4ELb1EEvPKcS1_S1_S1_S1_PKiPfP15HIP_vector_typeIfLj2EEffffjfiS5_IjLj3EEiiiiiiiiiiiliiliiiiil
    .private_segment_fixed_size: 16
    .sgpr_count:     40
    .sgpr_spill_count: 0
    .symbol:         _ZL15flash_attn_tileILi112ELi112ELi4ELi4ELb1EEvPKcS1_S1_S1_S1_PKiPfP15HIP_vector_typeIfLj2EEffffjfiS5_IjLj3EEiiiiiiiiiiiliiliiiiil.kd
    .uniform_work_group_size: 1
    .uses_dynamic_stack: false
    .vgpr_count:     39
    .vgpr_spill_count: 0
    .wavefront_size: 64
  - .agpr_count:     0
    .args:
      - .address_space:  global
        .offset:         0
        .size:           8
        .value_kind:     global_buffer
      - .address_space:  global
        .offset:         8
        .size:           8
        .value_kind:     global_buffer
      - .address_space:  global
        .offset:         16
        .size:           8
        .value_kind:     global_buffer
      - .address_space:  global
        .offset:         24
        .size:           8
        .value_kind:     global_buffer
      - .address_space:  global
        .offset:         32
        .size:           8
        .value_kind:     global_buffer
      - .address_space:  global
        .offset:         40
        .size:           8
        .value_kind:     global_buffer
      - .address_space:  global
        .offset:         48
        .size:           8
        .value_kind:     global_buffer
      - .address_space:  global
        .offset:         56
        .size:           8
        .value_kind:     global_buffer
      - .offset:         64
        .size:           4
        .value_kind:     by_value
      - .offset:         68
        .size:           4
        .value_kind:     by_value
      - .offset:         72
        .size:           4
        .value_kind:     by_value
      - .offset:         76
        .size:           4
        .value_kind:     by_value
      - .offset:         80
        .size:           4
        .value_kind:     by_value
      - .offset:         84
        .size:           4
        .value_kind:     by_value
      - .offset:         88
        .size:           4
        .value_kind:     by_value
      - .offset:         92
        .size:           12
        .value_kind:     by_value
      - .offset:         104
        .size:           4
        .value_kind:     by_value
      - .offset:         108
        .size:           4
        .value_kind:     by_value
      - .offset:         112
        .size:           4
        .value_kind:     by_value
      - .offset:         116
        .size:           4
        .value_kind:     by_value
      - .offset:         120
        .size:           4
        .value_kind:     by_value
      - .offset:         124
        .size:           4
        .value_kind:     by_value
      - .offset:         128
        .size:           4
        .value_kind:     by_value
      - .offset:         132
        .size:           4
        .value_kind:     by_value
      - .offset:         136
        .size:           4
        .value_kind:     by_value
      - .offset:         140
        .size:           4
        .value_kind:     by_value
      - .offset:         144
        .size:           4
        .value_kind:     by_value
      - .offset:         152
        .size:           8
        .value_kind:     by_value
      - .offset:         160
        .size:           4
        .value_kind:     by_value
      - .offset:         164
        .size:           4
        .value_kind:     by_value
      - .offset:         168
        .size:           8
        .value_kind:     by_value
      - .offset:         176
        .size:           4
        .value_kind:     by_value
      - .offset:         180
        .size:           4
        .value_kind:     by_value
      - .offset:         184
        .size:           4
        .value_kind:     by_value
      - .offset:         188
        .size:           4
        .value_kind:     by_value
      - .offset:         192
        .size:           4
        .value_kind:     by_value
      - .offset:         200
        .size:           8
        .value_kind:     by_value
      - .offset:         208
        .size:           4
        .value_kind:     hidden_block_count_x
      - .offset:         212
        .size:           4
        .value_kind:     hidden_block_count_y
      - .offset:         216
        .size:           4
        .value_kind:     hidden_block_count_z
      - .offset:         220
        .size:           2
        .value_kind:     hidden_group_size_x
      - .offset:         222
        .size:           2
        .value_kind:     hidden_group_size_y
      - .offset:         224
        .size:           2
        .value_kind:     hidden_group_size_z
      - .offset:         226
        .size:           2
        .value_kind:     hidden_remainder_x
      - .offset:         228
        .size:           2
        .value_kind:     hidden_remainder_y
      - .offset:         230
        .size:           2
        .value_kind:     hidden_remainder_z
      - .offset:         248
        .size:           8
        .value_kind:     hidden_global_offset_x
      - .offset:         256
        .size:           8
        .value_kind:     hidden_global_offset_y
      - .offset:         264
        .size:           8
        .value_kind:     hidden_global_offset_z
      - .offset:         272
        .size:           2
        .value_kind:     hidden_grid_dims
      - .offset:         288
        .size:           8
        .value_kind:     hidden_hostcall_buffer
    .group_segment_fixed_size: 0
    .kernarg_segment_align: 8
    .kernarg_segment_size: 464
    .language:       OpenCL C
    .language_version:
      - 2
      - 0
    .max_flat_workgroup_size: 256
    .name:           _ZL15flash_attn_tileILi112ELi112ELi2ELi4ELb1EEvPKcS1_S1_S1_S1_PKiPfP15HIP_vector_typeIfLj2EEffffjfiS5_IjLj3EEiiiiiiiiiiiliiliiiiil
    .private_segment_fixed_size: 16
    .sgpr_count:     40
    .sgpr_spill_count: 0
    .symbol:         _ZL15flash_attn_tileILi112ELi112ELi2ELi4ELb1EEvPKcS1_S1_S1_S1_PKiPfP15HIP_vector_typeIfLj2EEffffjfiS5_IjLj3EEiiiiiiiiiiiliiliiiiil.kd
    .uniform_work_group_size: 1
    .uses_dynamic_stack: false
    .vgpr_count:     39
    .vgpr_spill_count: 0
    .wavefront_size: 64
  - .agpr_count:     0
    .args:
      - .address_space:  global
        .offset:         0
        .size:           8
        .value_kind:     global_buffer
      - .address_space:  global
        .offset:         8
        .size:           8
        .value_kind:     global_buffer
      - .address_space:  global
        .offset:         16
        .size:           8
        .value_kind:     global_buffer
      - .address_space:  global
        .offset:         24
        .size:           8
        .value_kind:     global_buffer
      - .address_space:  global
        .offset:         32
        .size:           8
        .value_kind:     global_buffer
      - .address_space:  global
        .offset:         40
        .size:           8
        .value_kind:     global_buffer
      - .address_space:  global
        .offset:         48
        .size:           8
        .value_kind:     global_buffer
      - .address_space:  global
        .offset:         56
        .size:           8
        .value_kind:     global_buffer
      - .offset:         64
        .size:           4
        .value_kind:     by_value
      - .offset:         68
        .size:           4
        .value_kind:     by_value
      - .offset:         72
        .size:           4
        .value_kind:     by_value
      - .offset:         76
        .size:           4
        .value_kind:     by_value
      - .offset:         80
        .size:           4
        .value_kind:     by_value
      - .offset:         84
        .size:           4
        .value_kind:     by_value
      - .offset:         88
        .size:           4
        .value_kind:     by_value
      - .offset:         92
        .size:           12
        .value_kind:     by_value
      - .offset:         104
        .size:           4
        .value_kind:     by_value
      - .offset:         108
        .size:           4
        .value_kind:     by_value
      - .offset:         112
        .size:           4
        .value_kind:     by_value
      - .offset:         116
        .size:           4
        .value_kind:     by_value
      - .offset:         120
        .size:           4
        .value_kind:     by_value
      - .offset:         124
        .size:           4
        .value_kind:     by_value
      - .offset:         128
        .size:           4
        .value_kind:     by_value
      - .offset:         132
        .size:           4
        .value_kind:     by_value
      - .offset:         136
        .size:           4
        .value_kind:     by_value
      - .offset:         140
        .size:           4
        .value_kind:     by_value
      - .offset:         144
        .size:           4
        .value_kind:     by_value
      - .offset:         152
        .size:           8
        .value_kind:     by_value
      - .offset:         160
        .size:           4
        .value_kind:     by_value
      - .offset:         164
        .size:           4
        .value_kind:     by_value
      - .offset:         168
        .size:           8
        .value_kind:     by_value
      - .offset:         176
        .size:           4
        .value_kind:     by_value
      - .offset:         180
        .size:           4
        .value_kind:     by_value
      - .offset:         184
        .size:           4
        .value_kind:     by_value
      - .offset:         188
        .size:           4
        .value_kind:     by_value
      - .offset:         192
        .size:           4
        .value_kind:     by_value
      - .offset:         200
        .size:           8
        .value_kind:     by_value
      - .offset:         208
        .size:           4
        .value_kind:     hidden_block_count_x
      - .offset:         212
        .size:           4
        .value_kind:     hidden_block_count_y
      - .offset:         216
        .size:           4
        .value_kind:     hidden_block_count_z
      - .offset:         220
        .size:           2
        .value_kind:     hidden_group_size_x
      - .offset:         222
        .size:           2
        .value_kind:     hidden_group_size_y
      - .offset:         224
        .size:           2
        .value_kind:     hidden_group_size_z
      - .offset:         226
        .size:           2
        .value_kind:     hidden_remainder_x
      - .offset:         228
        .size:           2
        .value_kind:     hidden_remainder_y
      - .offset:         230
        .size:           2
        .value_kind:     hidden_remainder_z
      - .offset:         248
        .size:           8
        .value_kind:     hidden_global_offset_x
      - .offset:         256
        .size:           8
        .value_kind:     hidden_global_offset_y
      - .offset:         264
        .size:           8
        .value_kind:     hidden_global_offset_z
      - .offset:         272
        .size:           2
        .value_kind:     hidden_grid_dims
      - .offset:         288
        .size:           8
        .value_kind:     hidden_hostcall_buffer
    .group_segment_fixed_size: 0
    .kernarg_segment_align: 8
    .kernarg_segment_size: 464
    .language:       OpenCL C
    .language_version:
      - 2
      - 0
    .max_flat_workgroup_size: 128
    .name:           _ZL15flash_attn_tileILi112ELi112ELi1ELi4ELb1EEvPKcS1_S1_S1_S1_PKiPfP15HIP_vector_typeIfLj2EEffffjfiS5_IjLj3EEiiiiiiiiiiiliiliiiiil
    .private_segment_fixed_size: 16
    .sgpr_count:     40
    .sgpr_spill_count: 0
    .symbol:         _ZL15flash_attn_tileILi112ELi112ELi1ELi4ELb1EEvPKcS1_S1_S1_S1_PKiPfP15HIP_vector_typeIfLj2EEffffjfiS5_IjLj3EEiiiiiiiiiiiliiliiiiil.kd
    .uniform_work_group_size: 1
    .uses_dynamic_stack: false
    .vgpr_count:     39
    .vgpr_spill_count: 0
    .wavefront_size: 64
  - .agpr_count:     0
    .args:
      - .address_space:  global
        .offset:         0
        .size:           8
        .value_kind:     global_buffer
      - .address_space:  global
        .offset:         8
        .size:           8
        .value_kind:     global_buffer
      - .address_space:  global
        .offset:         16
        .size:           8
        .value_kind:     global_buffer
      - .address_space:  global
        .offset:         24
        .size:           8
        .value_kind:     global_buffer
      - .address_space:  global
        .offset:         32
        .size:           8
        .value_kind:     global_buffer
      - .address_space:  global
        .offset:         40
        .size:           8
        .value_kind:     global_buffer
      - .address_space:  global
        .offset:         48
        .size:           8
        .value_kind:     global_buffer
      - .address_space:  global
        .offset:         56
        .size:           8
        .value_kind:     global_buffer
      - .offset:         64
        .size:           4
        .value_kind:     by_value
      - .offset:         68
        .size:           4
        .value_kind:     by_value
      - .offset:         72
        .size:           4
        .value_kind:     by_value
      - .offset:         76
        .size:           4
        .value_kind:     by_value
      - .offset:         80
        .size:           4
        .value_kind:     by_value
      - .offset:         84
        .size:           4
        .value_kind:     by_value
      - .offset:         88
        .size:           4
        .value_kind:     by_value
      - .offset:         92
        .size:           12
        .value_kind:     by_value
      - .offset:         104
        .size:           4
        .value_kind:     by_value
      - .offset:         108
        .size:           4
        .value_kind:     by_value
      - .offset:         112
        .size:           4
        .value_kind:     by_value
      - .offset:         116
        .size:           4
        .value_kind:     by_value
      - .offset:         120
        .size:           4
        .value_kind:     by_value
      - .offset:         124
        .size:           4
        .value_kind:     by_value
      - .offset:         128
        .size:           4
        .value_kind:     by_value
      - .offset:         132
        .size:           4
        .value_kind:     by_value
      - .offset:         136
        .size:           4
        .value_kind:     by_value
      - .offset:         140
        .size:           4
        .value_kind:     by_value
      - .offset:         144
        .size:           4
        .value_kind:     by_value
      - .offset:         152
        .size:           8
        .value_kind:     by_value
      - .offset:         160
        .size:           4
        .value_kind:     by_value
      - .offset:         164
        .size:           4
        .value_kind:     by_value
      - .offset:         168
        .size:           8
        .value_kind:     by_value
      - .offset:         176
        .size:           4
        .value_kind:     by_value
      - .offset:         180
        .size:           4
        .value_kind:     by_value
      - .offset:         184
        .size:           4
        .value_kind:     by_value
      - .offset:         188
        .size:           4
        .value_kind:     by_value
      - .offset:         192
        .size:           4
        .value_kind:     by_value
      - .offset:         200
        .size:           8
        .value_kind:     by_value
      - .offset:         208
        .size:           4
        .value_kind:     hidden_block_count_x
      - .offset:         212
        .size:           4
        .value_kind:     hidden_block_count_y
      - .offset:         216
        .size:           4
        .value_kind:     hidden_block_count_z
      - .offset:         220
        .size:           2
        .value_kind:     hidden_group_size_x
      - .offset:         222
        .size:           2
        .value_kind:     hidden_group_size_y
      - .offset:         224
        .size:           2
        .value_kind:     hidden_group_size_z
      - .offset:         226
        .size:           2
        .value_kind:     hidden_remainder_x
      - .offset:         228
        .size:           2
        .value_kind:     hidden_remainder_y
      - .offset:         230
        .size:           2
        .value_kind:     hidden_remainder_z
      - .offset:         248
        .size:           8
        .value_kind:     hidden_global_offset_x
      - .offset:         256
        .size:           8
        .value_kind:     hidden_global_offset_y
      - .offset:         264
        .size:           8
        .value_kind:     hidden_global_offset_z
      - .offset:         272
        .size:           2
        .value_kind:     hidden_grid_dims
      - .offset:         288
        .size:           8
        .value_kind:     hidden_hostcall_buffer
    .group_segment_fixed_size: 0
    .kernarg_segment_align: 8
    .kernarg_segment_size: 464
    .language:       OpenCL C
    .language_version:
      - 2
      - 0
    .max_flat_workgroup_size: 256
    .name:           _ZL15flash_attn_tileILi112ELi112ELi32ELi2ELb1EEvPKcS1_S1_S1_S1_PKiPfP15HIP_vector_typeIfLj2EEffffjfiS5_IjLj3EEiiiiiiiiiiiliiliiiiil
    .private_segment_fixed_size: 16
    .sgpr_count:     40
    .sgpr_spill_count: 0
    .symbol:         _ZL15flash_attn_tileILi112ELi112ELi32ELi2ELb1EEvPKcS1_S1_S1_S1_PKiPfP15HIP_vector_typeIfLj2EEffffjfiS5_IjLj3EEiiiiiiiiiiiliiliiiiil.kd
    .uniform_work_group_size: 1
    .uses_dynamic_stack: false
    .vgpr_count:     39
    .vgpr_spill_count: 0
    .wavefront_size: 64
  - .agpr_count:     0
    .args:
      - .address_space:  global
        .offset:         0
        .size:           8
        .value_kind:     global_buffer
      - .address_space:  global
        .offset:         8
        .size:           8
        .value_kind:     global_buffer
      - .address_space:  global
        .offset:         16
        .size:           8
        .value_kind:     global_buffer
      - .address_space:  global
        .offset:         24
        .size:           8
        .value_kind:     global_buffer
      - .address_space:  global
        .offset:         32
        .size:           8
        .value_kind:     global_buffer
      - .address_space:  global
        .offset:         40
        .size:           8
        .value_kind:     global_buffer
      - .address_space:  global
        .offset:         48
        .size:           8
        .value_kind:     global_buffer
      - .address_space:  global
        .offset:         56
        .size:           8
        .value_kind:     global_buffer
      - .offset:         64
        .size:           4
        .value_kind:     by_value
      - .offset:         68
        .size:           4
        .value_kind:     by_value
      - .offset:         72
        .size:           4
        .value_kind:     by_value
      - .offset:         76
        .size:           4
        .value_kind:     by_value
      - .offset:         80
        .size:           4
        .value_kind:     by_value
      - .offset:         84
        .size:           4
        .value_kind:     by_value
      - .offset:         88
        .size:           4
        .value_kind:     by_value
      - .offset:         92
        .size:           12
        .value_kind:     by_value
      - .offset:         104
        .size:           4
        .value_kind:     by_value
      - .offset:         108
        .size:           4
        .value_kind:     by_value
      - .offset:         112
        .size:           4
        .value_kind:     by_value
      - .offset:         116
        .size:           4
        .value_kind:     by_value
      - .offset:         120
        .size:           4
        .value_kind:     by_value
      - .offset:         124
        .size:           4
        .value_kind:     by_value
      - .offset:         128
        .size:           4
        .value_kind:     by_value
      - .offset:         132
        .size:           4
        .value_kind:     by_value
      - .offset:         136
        .size:           4
        .value_kind:     by_value
      - .offset:         140
        .size:           4
        .value_kind:     by_value
      - .offset:         144
        .size:           4
        .value_kind:     by_value
      - .offset:         152
        .size:           8
        .value_kind:     by_value
      - .offset:         160
        .size:           4
        .value_kind:     by_value
      - .offset:         164
        .size:           4
        .value_kind:     by_value
      - .offset:         168
        .size:           8
        .value_kind:     by_value
      - .offset:         176
        .size:           4
        .value_kind:     by_value
      - .offset:         180
        .size:           4
        .value_kind:     by_value
      - .offset:         184
        .size:           4
        .value_kind:     by_value
      - .offset:         188
        .size:           4
        .value_kind:     by_value
      - .offset:         192
        .size:           4
        .value_kind:     by_value
      - .offset:         200
        .size:           8
        .value_kind:     by_value
      - .offset:         208
        .size:           4
        .value_kind:     hidden_block_count_x
      - .offset:         212
        .size:           4
        .value_kind:     hidden_block_count_y
      - .offset:         216
        .size:           4
        .value_kind:     hidden_block_count_z
      - .offset:         220
        .size:           2
        .value_kind:     hidden_group_size_x
      - .offset:         222
        .size:           2
        .value_kind:     hidden_group_size_y
      - .offset:         224
        .size:           2
        .value_kind:     hidden_group_size_z
      - .offset:         226
        .size:           2
        .value_kind:     hidden_remainder_x
      - .offset:         228
        .size:           2
        .value_kind:     hidden_remainder_y
      - .offset:         230
        .size:           2
        .value_kind:     hidden_remainder_z
      - .offset:         248
        .size:           8
        .value_kind:     hidden_global_offset_x
      - .offset:         256
        .size:           8
        .value_kind:     hidden_global_offset_y
      - .offset:         264
        .size:           8
        .value_kind:     hidden_global_offset_z
      - .offset:         272
        .size:           2
        .value_kind:     hidden_grid_dims
      - .offset:         288
        .size:           8
        .value_kind:     hidden_hostcall_buffer
    .group_segment_fixed_size: 0
    .kernarg_segment_align: 8
    .kernarg_segment_size: 464
    .language:       OpenCL C
    .language_version:
      - 2
      - 0
    .max_flat_workgroup_size: 256
    .name:           _ZL15flash_attn_tileILi112ELi112ELi16ELi2ELb1EEvPKcS1_S1_S1_S1_PKiPfP15HIP_vector_typeIfLj2EEffffjfiS5_IjLj3EEiiiiiiiiiiiliiliiiiil
    .private_segment_fixed_size: 16
    .sgpr_count:     40
    .sgpr_spill_count: 0
    .symbol:         _ZL15flash_attn_tileILi112ELi112ELi16ELi2ELb1EEvPKcS1_S1_S1_S1_PKiPfP15HIP_vector_typeIfLj2EEffffjfiS5_IjLj3EEiiiiiiiiiiiliiliiiiil.kd
    .uniform_work_group_size: 1
    .uses_dynamic_stack: false
    .vgpr_count:     39
    .vgpr_spill_count: 0
    .wavefront_size: 64
  - .agpr_count:     0
    .args:
      - .address_space:  global
        .offset:         0
        .size:           8
        .value_kind:     global_buffer
      - .address_space:  global
        .offset:         8
        .size:           8
        .value_kind:     global_buffer
      - .address_space:  global
        .offset:         16
        .size:           8
        .value_kind:     global_buffer
      - .address_space:  global
        .offset:         24
        .size:           8
        .value_kind:     global_buffer
      - .address_space:  global
        .offset:         32
        .size:           8
        .value_kind:     global_buffer
      - .address_space:  global
        .offset:         40
        .size:           8
        .value_kind:     global_buffer
      - .address_space:  global
        .offset:         48
        .size:           8
        .value_kind:     global_buffer
      - .address_space:  global
        .offset:         56
        .size:           8
        .value_kind:     global_buffer
      - .offset:         64
        .size:           4
        .value_kind:     by_value
      - .offset:         68
        .size:           4
        .value_kind:     by_value
      - .offset:         72
        .size:           4
        .value_kind:     by_value
      - .offset:         76
        .size:           4
        .value_kind:     by_value
      - .offset:         80
        .size:           4
        .value_kind:     by_value
      - .offset:         84
        .size:           4
        .value_kind:     by_value
      - .offset:         88
        .size:           4
        .value_kind:     by_value
      - .offset:         92
        .size:           12
        .value_kind:     by_value
      - .offset:         104
        .size:           4
        .value_kind:     by_value
      - .offset:         108
        .size:           4
        .value_kind:     by_value
      - .offset:         112
        .size:           4
        .value_kind:     by_value
      - .offset:         116
        .size:           4
        .value_kind:     by_value
      - .offset:         120
        .size:           4
        .value_kind:     by_value
      - .offset:         124
        .size:           4
        .value_kind:     by_value
      - .offset:         128
        .size:           4
        .value_kind:     by_value
      - .offset:         132
        .size:           4
        .value_kind:     by_value
      - .offset:         136
        .size:           4
        .value_kind:     by_value
      - .offset:         140
        .size:           4
        .value_kind:     by_value
      - .offset:         144
        .size:           4
        .value_kind:     by_value
      - .offset:         152
        .size:           8
        .value_kind:     by_value
      - .offset:         160
        .size:           4
        .value_kind:     by_value
      - .offset:         164
        .size:           4
        .value_kind:     by_value
      - .offset:         168
        .size:           8
        .value_kind:     by_value
      - .offset:         176
        .size:           4
        .value_kind:     by_value
      - .offset:         180
        .size:           4
        .value_kind:     by_value
      - .offset:         184
        .size:           4
        .value_kind:     by_value
      - .offset:         188
        .size:           4
        .value_kind:     by_value
      - .offset:         192
        .size:           4
        .value_kind:     by_value
      - .offset:         200
        .size:           8
        .value_kind:     by_value
      - .offset:         208
        .size:           4
        .value_kind:     hidden_block_count_x
      - .offset:         212
        .size:           4
        .value_kind:     hidden_block_count_y
      - .offset:         216
        .size:           4
        .value_kind:     hidden_block_count_z
      - .offset:         220
        .size:           2
        .value_kind:     hidden_group_size_x
      - .offset:         222
        .size:           2
        .value_kind:     hidden_group_size_y
      - .offset:         224
        .size:           2
        .value_kind:     hidden_group_size_z
      - .offset:         226
        .size:           2
        .value_kind:     hidden_remainder_x
      - .offset:         228
        .size:           2
        .value_kind:     hidden_remainder_y
      - .offset:         230
        .size:           2
        .value_kind:     hidden_remainder_z
      - .offset:         248
        .size:           8
        .value_kind:     hidden_global_offset_x
      - .offset:         256
        .size:           8
        .value_kind:     hidden_global_offset_y
      - .offset:         264
        .size:           8
        .value_kind:     hidden_global_offset_z
      - .offset:         272
        .size:           2
        .value_kind:     hidden_grid_dims
      - .offset:         288
        .size:           8
        .value_kind:     hidden_hostcall_buffer
    .group_segment_fixed_size: 0
    .kernarg_segment_align: 8
    .kernarg_segment_size: 464
    .language:       OpenCL C
    .language_version:
      - 2
      - 0
    .max_flat_workgroup_size: 256
    .name:           _ZL15flash_attn_tileILi112ELi112ELi8ELi2ELb1EEvPKcS1_S1_S1_S1_PKiPfP15HIP_vector_typeIfLj2EEffffjfiS5_IjLj3EEiiiiiiiiiiiliiliiiiil
    .private_segment_fixed_size: 16
    .sgpr_count:     40
    .sgpr_spill_count: 0
    .symbol:         _ZL15flash_attn_tileILi112ELi112ELi8ELi2ELb1EEvPKcS1_S1_S1_S1_PKiPfP15HIP_vector_typeIfLj2EEffffjfiS5_IjLj3EEiiiiiiiiiiiliiliiiiil.kd
    .uniform_work_group_size: 1
    .uses_dynamic_stack: false
    .vgpr_count:     39
    .vgpr_spill_count: 0
    .wavefront_size: 64
  - .agpr_count:     0
    .args:
      - .address_space:  global
        .offset:         0
        .size:           8
        .value_kind:     global_buffer
      - .address_space:  global
        .offset:         8
        .size:           8
        .value_kind:     global_buffer
      - .address_space:  global
        .offset:         16
        .size:           8
        .value_kind:     global_buffer
      - .address_space:  global
        .offset:         24
        .size:           8
        .value_kind:     global_buffer
      - .address_space:  global
        .offset:         32
        .size:           8
        .value_kind:     global_buffer
      - .address_space:  global
        .offset:         40
        .size:           8
        .value_kind:     global_buffer
      - .address_space:  global
        .offset:         48
        .size:           8
        .value_kind:     global_buffer
      - .address_space:  global
        .offset:         56
        .size:           8
        .value_kind:     global_buffer
      - .offset:         64
        .size:           4
        .value_kind:     by_value
      - .offset:         68
        .size:           4
        .value_kind:     by_value
      - .offset:         72
        .size:           4
        .value_kind:     by_value
      - .offset:         76
        .size:           4
        .value_kind:     by_value
      - .offset:         80
        .size:           4
        .value_kind:     by_value
      - .offset:         84
        .size:           4
        .value_kind:     by_value
      - .offset:         88
        .size:           4
        .value_kind:     by_value
      - .offset:         92
        .size:           12
        .value_kind:     by_value
      - .offset:         104
        .size:           4
        .value_kind:     by_value
      - .offset:         108
        .size:           4
        .value_kind:     by_value
      - .offset:         112
        .size:           4
        .value_kind:     by_value
      - .offset:         116
        .size:           4
        .value_kind:     by_value
      - .offset:         120
        .size:           4
        .value_kind:     by_value
      - .offset:         124
        .size:           4
        .value_kind:     by_value
      - .offset:         128
        .size:           4
        .value_kind:     by_value
      - .offset:         132
        .size:           4
        .value_kind:     by_value
      - .offset:         136
        .size:           4
        .value_kind:     by_value
      - .offset:         140
        .size:           4
        .value_kind:     by_value
      - .offset:         144
        .size:           4
        .value_kind:     by_value
      - .offset:         152
        .size:           8
        .value_kind:     by_value
      - .offset:         160
        .size:           4
        .value_kind:     by_value
      - .offset:         164
        .size:           4
        .value_kind:     by_value
      - .offset:         168
        .size:           8
        .value_kind:     by_value
      - .offset:         176
        .size:           4
        .value_kind:     by_value
      - .offset:         180
        .size:           4
        .value_kind:     by_value
      - .offset:         184
        .size:           4
        .value_kind:     by_value
      - .offset:         188
        .size:           4
        .value_kind:     by_value
      - .offset:         192
        .size:           4
        .value_kind:     by_value
      - .offset:         200
        .size:           8
        .value_kind:     by_value
      - .offset:         208
        .size:           4
        .value_kind:     hidden_block_count_x
      - .offset:         212
        .size:           4
        .value_kind:     hidden_block_count_y
      - .offset:         216
        .size:           4
        .value_kind:     hidden_block_count_z
      - .offset:         220
        .size:           2
        .value_kind:     hidden_group_size_x
      - .offset:         222
        .size:           2
        .value_kind:     hidden_group_size_y
      - .offset:         224
        .size:           2
        .value_kind:     hidden_group_size_z
      - .offset:         226
        .size:           2
        .value_kind:     hidden_remainder_x
      - .offset:         228
        .size:           2
        .value_kind:     hidden_remainder_y
      - .offset:         230
        .size:           2
        .value_kind:     hidden_remainder_z
      - .offset:         248
        .size:           8
        .value_kind:     hidden_global_offset_x
      - .offset:         256
        .size:           8
        .value_kind:     hidden_global_offset_y
      - .offset:         264
        .size:           8
        .value_kind:     hidden_global_offset_z
      - .offset:         272
        .size:           2
        .value_kind:     hidden_grid_dims
      - .offset:         288
        .size:           8
        .value_kind:     hidden_hostcall_buffer
    .group_segment_fixed_size: 0
    .kernarg_segment_align: 8
    .kernarg_segment_size: 464
    .language:       OpenCL C
    .language_version:
      - 2
      - 0
    .max_flat_workgroup_size: 256
    .name:           _ZL15flash_attn_tileILi112ELi112ELi4ELi2ELb1EEvPKcS1_S1_S1_S1_PKiPfP15HIP_vector_typeIfLj2EEffffjfiS5_IjLj3EEiiiiiiiiiiiliiliiiiil
    .private_segment_fixed_size: 16
    .sgpr_count:     40
    .sgpr_spill_count: 0
    .symbol:         _ZL15flash_attn_tileILi112ELi112ELi4ELi2ELb1EEvPKcS1_S1_S1_S1_PKiPfP15HIP_vector_typeIfLj2EEffffjfiS5_IjLj3EEiiiiiiiiiiiliiliiiiil.kd
    .uniform_work_group_size: 1
    .uses_dynamic_stack: false
    .vgpr_count:     39
    .vgpr_spill_count: 0
    .wavefront_size: 64
  - .agpr_count:     0
    .args:
      - .address_space:  global
        .offset:         0
        .size:           8
        .value_kind:     global_buffer
      - .address_space:  global
        .offset:         8
        .size:           8
        .value_kind:     global_buffer
      - .address_space:  global
        .offset:         16
        .size:           8
        .value_kind:     global_buffer
      - .address_space:  global
        .offset:         24
        .size:           8
        .value_kind:     global_buffer
      - .address_space:  global
        .offset:         32
        .size:           8
        .value_kind:     global_buffer
      - .address_space:  global
        .offset:         40
        .size:           8
        .value_kind:     global_buffer
      - .address_space:  global
        .offset:         48
        .size:           8
        .value_kind:     global_buffer
      - .address_space:  global
        .offset:         56
        .size:           8
        .value_kind:     global_buffer
      - .offset:         64
        .size:           4
        .value_kind:     by_value
      - .offset:         68
        .size:           4
        .value_kind:     by_value
      - .offset:         72
        .size:           4
        .value_kind:     by_value
      - .offset:         76
        .size:           4
        .value_kind:     by_value
      - .offset:         80
        .size:           4
        .value_kind:     by_value
      - .offset:         84
        .size:           4
        .value_kind:     by_value
      - .offset:         88
        .size:           4
        .value_kind:     by_value
      - .offset:         92
        .size:           12
        .value_kind:     by_value
      - .offset:         104
        .size:           4
        .value_kind:     by_value
      - .offset:         108
        .size:           4
        .value_kind:     by_value
      - .offset:         112
        .size:           4
        .value_kind:     by_value
      - .offset:         116
        .size:           4
        .value_kind:     by_value
      - .offset:         120
        .size:           4
        .value_kind:     by_value
      - .offset:         124
        .size:           4
        .value_kind:     by_value
      - .offset:         128
        .size:           4
        .value_kind:     by_value
      - .offset:         132
        .size:           4
        .value_kind:     by_value
      - .offset:         136
        .size:           4
        .value_kind:     by_value
      - .offset:         140
        .size:           4
        .value_kind:     by_value
      - .offset:         144
        .size:           4
        .value_kind:     by_value
      - .offset:         152
        .size:           8
        .value_kind:     by_value
      - .offset:         160
        .size:           4
        .value_kind:     by_value
      - .offset:         164
        .size:           4
        .value_kind:     by_value
      - .offset:         168
        .size:           8
        .value_kind:     by_value
      - .offset:         176
        .size:           4
        .value_kind:     by_value
      - .offset:         180
        .size:           4
        .value_kind:     by_value
      - .offset:         184
        .size:           4
        .value_kind:     by_value
      - .offset:         188
        .size:           4
        .value_kind:     by_value
      - .offset:         192
        .size:           4
        .value_kind:     by_value
      - .offset:         200
        .size:           8
        .value_kind:     by_value
      - .offset:         208
        .size:           4
        .value_kind:     hidden_block_count_x
      - .offset:         212
        .size:           4
        .value_kind:     hidden_block_count_y
      - .offset:         216
        .size:           4
        .value_kind:     hidden_block_count_z
      - .offset:         220
        .size:           2
        .value_kind:     hidden_group_size_x
      - .offset:         222
        .size:           2
        .value_kind:     hidden_group_size_y
      - .offset:         224
        .size:           2
        .value_kind:     hidden_group_size_z
      - .offset:         226
        .size:           2
        .value_kind:     hidden_remainder_x
      - .offset:         228
        .size:           2
        .value_kind:     hidden_remainder_y
      - .offset:         230
        .size:           2
        .value_kind:     hidden_remainder_z
      - .offset:         248
        .size:           8
        .value_kind:     hidden_global_offset_x
      - .offset:         256
        .size:           8
        .value_kind:     hidden_global_offset_y
      - .offset:         264
        .size:           8
        .value_kind:     hidden_global_offset_z
      - .offset:         272
        .size:           2
        .value_kind:     hidden_grid_dims
      - .offset:         288
        .size:           8
        .value_kind:     hidden_hostcall_buffer
    .group_segment_fixed_size: 0
    .kernarg_segment_align: 8
    .kernarg_segment_size: 464
    .language:       OpenCL C
    .language_version:
      - 2
      - 0
    .max_flat_workgroup_size: 128
    .name:           _ZL15flash_attn_tileILi112ELi112ELi2ELi2ELb1EEvPKcS1_S1_S1_S1_PKiPfP15HIP_vector_typeIfLj2EEffffjfiS5_IjLj3EEiiiiiiiiiiiliiliiiiil
    .private_segment_fixed_size: 16
    .sgpr_count:     40
    .sgpr_spill_count: 0
    .symbol:         _ZL15flash_attn_tileILi112ELi112ELi2ELi2ELb1EEvPKcS1_S1_S1_S1_PKiPfP15HIP_vector_typeIfLj2EEffffjfiS5_IjLj3EEiiiiiiiiiiiliiliiiiil.kd
    .uniform_work_group_size: 1
    .uses_dynamic_stack: false
    .vgpr_count:     39
    .vgpr_spill_count: 0
    .wavefront_size: 64
  - .agpr_count:     0
    .args:
      - .address_space:  global
        .offset:         0
        .size:           8
        .value_kind:     global_buffer
      - .address_space:  global
        .offset:         8
        .size:           8
        .value_kind:     global_buffer
      - .address_space:  global
        .offset:         16
        .size:           8
        .value_kind:     global_buffer
      - .address_space:  global
        .offset:         24
        .size:           8
        .value_kind:     global_buffer
      - .address_space:  global
        .offset:         32
        .size:           8
        .value_kind:     global_buffer
      - .address_space:  global
        .offset:         40
        .size:           8
        .value_kind:     global_buffer
      - .address_space:  global
        .offset:         48
        .size:           8
        .value_kind:     global_buffer
      - .address_space:  global
        .offset:         56
        .size:           8
        .value_kind:     global_buffer
      - .offset:         64
        .size:           4
        .value_kind:     by_value
      - .offset:         68
        .size:           4
        .value_kind:     by_value
      - .offset:         72
        .size:           4
        .value_kind:     by_value
      - .offset:         76
        .size:           4
        .value_kind:     by_value
      - .offset:         80
        .size:           4
        .value_kind:     by_value
      - .offset:         84
        .size:           4
        .value_kind:     by_value
      - .offset:         88
        .size:           4
        .value_kind:     by_value
      - .offset:         92
        .size:           12
        .value_kind:     by_value
      - .offset:         104
        .size:           4
        .value_kind:     by_value
      - .offset:         108
        .size:           4
        .value_kind:     by_value
      - .offset:         112
        .size:           4
        .value_kind:     by_value
      - .offset:         116
        .size:           4
        .value_kind:     by_value
      - .offset:         120
        .size:           4
        .value_kind:     by_value
      - .offset:         124
        .size:           4
        .value_kind:     by_value
      - .offset:         128
        .size:           4
        .value_kind:     by_value
      - .offset:         132
        .size:           4
        .value_kind:     by_value
      - .offset:         136
        .size:           4
        .value_kind:     by_value
      - .offset:         140
        .size:           4
        .value_kind:     by_value
      - .offset:         144
        .size:           4
        .value_kind:     by_value
      - .offset:         152
        .size:           8
        .value_kind:     by_value
      - .offset:         160
        .size:           4
        .value_kind:     by_value
      - .offset:         164
        .size:           4
        .value_kind:     by_value
      - .offset:         168
        .size:           8
        .value_kind:     by_value
      - .offset:         176
        .size:           4
        .value_kind:     by_value
      - .offset:         180
        .size:           4
        .value_kind:     by_value
      - .offset:         184
        .size:           4
        .value_kind:     by_value
      - .offset:         188
        .size:           4
        .value_kind:     by_value
      - .offset:         192
        .size:           4
        .value_kind:     by_value
      - .offset:         200
        .size:           8
        .value_kind:     by_value
      - .offset:         208
        .size:           4
        .value_kind:     hidden_block_count_x
      - .offset:         212
        .size:           4
        .value_kind:     hidden_block_count_y
      - .offset:         216
        .size:           4
        .value_kind:     hidden_block_count_z
      - .offset:         220
        .size:           2
        .value_kind:     hidden_group_size_x
      - .offset:         222
        .size:           2
        .value_kind:     hidden_group_size_y
      - .offset:         224
        .size:           2
        .value_kind:     hidden_group_size_z
      - .offset:         226
        .size:           2
        .value_kind:     hidden_remainder_x
      - .offset:         228
        .size:           2
        .value_kind:     hidden_remainder_y
      - .offset:         230
        .size:           2
        .value_kind:     hidden_remainder_z
      - .offset:         248
        .size:           8
        .value_kind:     hidden_global_offset_x
      - .offset:         256
        .size:           8
        .value_kind:     hidden_global_offset_y
      - .offset:         264
        .size:           8
        .value_kind:     hidden_global_offset_z
      - .offset:         272
        .size:           2
        .value_kind:     hidden_grid_dims
      - .offset:         288
        .size:           8
        .value_kind:     hidden_hostcall_buffer
    .group_segment_fixed_size: 0
    .kernarg_segment_align: 8
    .kernarg_segment_size: 464
    .language:       OpenCL C
    .language_version:
      - 2
      - 0
    .max_flat_workgroup_size: 64
    .name:           _ZL15flash_attn_tileILi112ELi112ELi1ELi2ELb1EEvPKcS1_S1_S1_S1_PKiPfP15HIP_vector_typeIfLj2EEffffjfiS5_IjLj3EEiiiiiiiiiiiliiliiiiil
    .private_segment_fixed_size: 16
    .sgpr_count:     40
    .sgpr_spill_count: 0
    .symbol:         _ZL15flash_attn_tileILi112ELi112ELi1ELi2ELb1EEvPKcS1_S1_S1_S1_PKiPfP15HIP_vector_typeIfLj2EEffffjfiS5_IjLj3EEiiiiiiiiiiiliiliiiiil.kd
    .uniform_work_group_size: 1
    .uses_dynamic_stack: false
    .vgpr_count:     39
    .vgpr_spill_count: 0
    .wavefront_size: 64
  - .agpr_count:     0
    .args:
      - .address_space:  global
        .offset:         0
        .size:           8
        .value_kind:     global_buffer
      - .address_space:  global
        .offset:         8
        .size:           8
        .value_kind:     global_buffer
      - .address_space:  global
        .offset:         16
        .size:           8
        .value_kind:     global_buffer
      - .address_space:  global
        .offset:         24
        .size:           8
        .value_kind:     global_buffer
      - .address_space:  global
        .offset:         32
        .size:           8
        .value_kind:     global_buffer
      - .address_space:  global
        .offset:         40
        .size:           8
        .value_kind:     global_buffer
      - .address_space:  global
        .offset:         48
        .size:           8
        .value_kind:     global_buffer
      - .address_space:  global
        .offset:         56
        .size:           8
        .value_kind:     global_buffer
      - .offset:         64
        .size:           4
        .value_kind:     by_value
      - .offset:         68
        .size:           4
        .value_kind:     by_value
      - .offset:         72
        .size:           4
        .value_kind:     by_value
      - .offset:         76
        .size:           4
        .value_kind:     by_value
      - .offset:         80
        .size:           4
        .value_kind:     by_value
      - .offset:         84
        .size:           4
        .value_kind:     by_value
      - .offset:         88
        .size:           4
        .value_kind:     by_value
      - .offset:         92
        .size:           12
        .value_kind:     by_value
      - .offset:         104
        .size:           4
        .value_kind:     by_value
      - .offset:         108
        .size:           4
        .value_kind:     by_value
      - .offset:         112
        .size:           4
        .value_kind:     by_value
      - .offset:         116
        .size:           4
        .value_kind:     by_value
      - .offset:         120
        .size:           4
        .value_kind:     by_value
      - .offset:         124
        .size:           4
        .value_kind:     by_value
      - .offset:         128
        .size:           4
        .value_kind:     by_value
      - .offset:         132
        .size:           4
        .value_kind:     by_value
      - .offset:         136
        .size:           4
        .value_kind:     by_value
      - .offset:         140
        .size:           4
        .value_kind:     by_value
      - .offset:         144
        .size:           4
        .value_kind:     by_value
      - .offset:         152
        .size:           8
        .value_kind:     by_value
      - .offset:         160
        .size:           4
        .value_kind:     by_value
      - .offset:         164
        .size:           4
        .value_kind:     by_value
      - .offset:         168
        .size:           8
        .value_kind:     by_value
      - .offset:         176
        .size:           4
        .value_kind:     by_value
      - .offset:         180
        .size:           4
        .value_kind:     by_value
      - .offset:         184
        .size:           4
        .value_kind:     by_value
      - .offset:         188
        .size:           4
        .value_kind:     by_value
      - .offset:         192
        .size:           4
        .value_kind:     by_value
      - .offset:         200
        .size:           8
        .value_kind:     by_value
      - .offset:         208
        .size:           4
        .value_kind:     hidden_block_count_x
      - .offset:         212
        .size:           4
        .value_kind:     hidden_block_count_y
      - .offset:         216
        .size:           4
        .value_kind:     hidden_block_count_z
      - .offset:         220
        .size:           2
        .value_kind:     hidden_group_size_x
      - .offset:         222
        .size:           2
        .value_kind:     hidden_group_size_y
      - .offset:         224
        .size:           2
        .value_kind:     hidden_group_size_z
      - .offset:         226
        .size:           2
        .value_kind:     hidden_remainder_x
      - .offset:         228
        .size:           2
        .value_kind:     hidden_remainder_y
      - .offset:         230
        .size:           2
        .value_kind:     hidden_remainder_z
      - .offset:         248
        .size:           8
        .value_kind:     hidden_global_offset_x
      - .offset:         256
        .size:           8
        .value_kind:     hidden_global_offset_y
      - .offset:         264
        .size:           8
        .value_kind:     hidden_global_offset_z
      - .offset:         272
        .size:           2
        .value_kind:     hidden_grid_dims
      - .offset:         288
        .size:           8
        .value_kind:     hidden_hostcall_buffer
    .group_segment_fixed_size: 0
    .kernarg_segment_align: 8
    .kernarg_segment_size: 464
    .language:       OpenCL C
    .language_version:
      - 2
      - 0
    .max_flat_workgroup_size: 256
    .name:           _ZL15flash_attn_tileILi112ELi112ELi64ELi1ELb1EEvPKcS1_S1_S1_S1_PKiPfP15HIP_vector_typeIfLj2EEffffjfiS5_IjLj3EEiiiiiiiiiiiliiliiiiil
    .private_segment_fixed_size: 16
    .sgpr_count:     40
    .sgpr_spill_count: 0
    .symbol:         _ZL15flash_attn_tileILi112ELi112ELi64ELi1ELb1EEvPKcS1_S1_S1_S1_PKiPfP15HIP_vector_typeIfLj2EEffffjfiS5_IjLj3EEiiiiiiiiiiiliiliiiiil.kd
    .uniform_work_group_size: 1
    .uses_dynamic_stack: false
    .vgpr_count:     39
    .vgpr_spill_count: 0
    .wavefront_size: 64
  - .agpr_count:     0
    .args:
      - .address_space:  global
        .offset:         0
        .size:           8
        .value_kind:     global_buffer
      - .address_space:  global
        .offset:         8
        .size:           8
        .value_kind:     global_buffer
      - .address_space:  global
        .offset:         16
        .size:           8
        .value_kind:     global_buffer
      - .address_space:  global
        .offset:         24
        .size:           8
        .value_kind:     global_buffer
      - .address_space:  global
        .offset:         32
        .size:           8
        .value_kind:     global_buffer
      - .address_space:  global
        .offset:         40
        .size:           8
        .value_kind:     global_buffer
      - .address_space:  global
        .offset:         48
        .size:           8
        .value_kind:     global_buffer
      - .address_space:  global
        .offset:         56
        .size:           8
        .value_kind:     global_buffer
      - .offset:         64
        .size:           4
        .value_kind:     by_value
      - .offset:         68
        .size:           4
        .value_kind:     by_value
      - .offset:         72
        .size:           4
        .value_kind:     by_value
      - .offset:         76
        .size:           4
        .value_kind:     by_value
      - .offset:         80
        .size:           4
        .value_kind:     by_value
      - .offset:         84
        .size:           4
        .value_kind:     by_value
      - .offset:         88
        .size:           4
        .value_kind:     by_value
      - .offset:         92
        .size:           12
        .value_kind:     by_value
      - .offset:         104
        .size:           4
        .value_kind:     by_value
      - .offset:         108
        .size:           4
        .value_kind:     by_value
      - .offset:         112
        .size:           4
        .value_kind:     by_value
      - .offset:         116
        .size:           4
        .value_kind:     by_value
      - .offset:         120
        .size:           4
        .value_kind:     by_value
      - .offset:         124
        .size:           4
        .value_kind:     by_value
      - .offset:         128
        .size:           4
        .value_kind:     by_value
      - .offset:         132
        .size:           4
        .value_kind:     by_value
      - .offset:         136
        .size:           4
        .value_kind:     by_value
      - .offset:         140
        .size:           4
        .value_kind:     by_value
      - .offset:         144
        .size:           4
        .value_kind:     by_value
      - .offset:         152
        .size:           8
        .value_kind:     by_value
      - .offset:         160
        .size:           4
        .value_kind:     by_value
      - .offset:         164
        .size:           4
        .value_kind:     by_value
      - .offset:         168
        .size:           8
        .value_kind:     by_value
      - .offset:         176
        .size:           4
        .value_kind:     by_value
      - .offset:         180
        .size:           4
        .value_kind:     by_value
      - .offset:         184
        .size:           4
        .value_kind:     by_value
      - .offset:         188
        .size:           4
        .value_kind:     by_value
      - .offset:         192
        .size:           4
        .value_kind:     by_value
      - .offset:         200
        .size:           8
        .value_kind:     by_value
      - .offset:         208
        .size:           4
        .value_kind:     hidden_block_count_x
      - .offset:         212
        .size:           4
        .value_kind:     hidden_block_count_y
      - .offset:         216
        .size:           4
        .value_kind:     hidden_block_count_z
      - .offset:         220
        .size:           2
        .value_kind:     hidden_group_size_x
      - .offset:         222
        .size:           2
        .value_kind:     hidden_group_size_y
      - .offset:         224
        .size:           2
        .value_kind:     hidden_group_size_z
      - .offset:         226
        .size:           2
        .value_kind:     hidden_remainder_x
      - .offset:         228
        .size:           2
        .value_kind:     hidden_remainder_y
      - .offset:         230
        .size:           2
        .value_kind:     hidden_remainder_z
      - .offset:         248
        .size:           8
        .value_kind:     hidden_global_offset_x
      - .offset:         256
        .size:           8
        .value_kind:     hidden_global_offset_y
      - .offset:         264
        .size:           8
        .value_kind:     hidden_global_offset_z
      - .offset:         272
        .size:           2
        .value_kind:     hidden_grid_dims
      - .offset:         288
        .size:           8
        .value_kind:     hidden_hostcall_buffer
    .group_segment_fixed_size: 0
    .kernarg_segment_align: 8
    .kernarg_segment_size: 464
    .language:       OpenCL C
    .language_version:
      - 2
      - 0
    .max_flat_workgroup_size: 256
    .name:           _ZL15flash_attn_tileILi112ELi112ELi32ELi1ELb1EEvPKcS1_S1_S1_S1_PKiPfP15HIP_vector_typeIfLj2EEffffjfiS5_IjLj3EEiiiiiiiiiiiliiliiiiil
    .private_segment_fixed_size: 16
    .sgpr_count:     40
    .sgpr_spill_count: 0
    .symbol:         _ZL15flash_attn_tileILi112ELi112ELi32ELi1ELb1EEvPKcS1_S1_S1_S1_PKiPfP15HIP_vector_typeIfLj2EEffffjfiS5_IjLj3EEiiiiiiiiiiiliiliiiiil.kd
    .uniform_work_group_size: 1
    .uses_dynamic_stack: false
    .vgpr_count:     39
    .vgpr_spill_count: 0
    .wavefront_size: 64
  - .agpr_count:     0
    .args:
      - .address_space:  global
        .offset:         0
        .size:           8
        .value_kind:     global_buffer
      - .address_space:  global
        .offset:         8
        .size:           8
        .value_kind:     global_buffer
      - .address_space:  global
        .offset:         16
        .size:           8
        .value_kind:     global_buffer
      - .address_space:  global
        .offset:         24
        .size:           8
        .value_kind:     global_buffer
      - .address_space:  global
        .offset:         32
        .size:           8
        .value_kind:     global_buffer
      - .address_space:  global
        .offset:         40
        .size:           8
        .value_kind:     global_buffer
      - .address_space:  global
        .offset:         48
        .size:           8
        .value_kind:     global_buffer
      - .address_space:  global
        .offset:         56
        .size:           8
        .value_kind:     global_buffer
      - .offset:         64
        .size:           4
        .value_kind:     by_value
      - .offset:         68
        .size:           4
        .value_kind:     by_value
      - .offset:         72
        .size:           4
        .value_kind:     by_value
      - .offset:         76
        .size:           4
        .value_kind:     by_value
      - .offset:         80
        .size:           4
        .value_kind:     by_value
      - .offset:         84
        .size:           4
        .value_kind:     by_value
      - .offset:         88
        .size:           4
        .value_kind:     by_value
      - .offset:         92
        .size:           12
        .value_kind:     by_value
      - .offset:         104
        .size:           4
        .value_kind:     by_value
      - .offset:         108
        .size:           4
        .value_kind:     by_value
      - .offset:         112
        .size:           4
        .value_kind:     by_value
      - .offset:         116
        .size:           4
        .value_kind:     by_value
      - .offset:         120
        .size:           4
        .value_kind:     by_value
      - .offset:         124
        .size:           4
        .value_kind:     by_value
      - .offset:         128
        .size:           4
        .value_kind:     by_value
      - .offset:         132
        .size:           4
        .value_kind:     by_value
      - .offset:         136
        .size:           4
        .value_kind:     by_value
      - .offset:         140
        .size:           4
        .value_kind:     by_value
      - .offset:         144
        .size:           4
        .value_kind:     by_value
      - .offset:         152
        .size:           8
        .value_kind:     by_value
      - .offset:         160
        .size:           4
        .value_kind:     by_value
      - .offset:         164
        .size:           4
        .value_kind:     by_value
      - .offset:         168
        .size:           8
        .value_kind:     by_value
      - .offset:         176
        .size:           4
        .value_kind:     by_value
      - .offset:         180
        .size:           4
        .value_kind:     by_value
      - .offset:         184
        .size:           4
        .value_kind:     by_value
      - .offset:         188
        .size:           4
        .value_kind:     by_value
      - .offset:         192
        .size:           4
        .value_kind:     by_value
      - .offset:         200
        .size:           8
        .value_kind:     by_value
      - .offset:         208
        .size:           4
        .value_kind:     hidden_block_count_x
      - .offset:         212
        .size:           4
        .value_kind:     hidden_block_count_y
      - .offset:         216
        .size:           4
        .value_kind:     hidden_block_count_z
      - .offset:         220
        .size:           2
        .value_kind:     hidden_group_size_x
      - .offset:         222
        .size:           2
        .value_kind:     hidden_group_size_y
      - .offset:         224
        .size:           2
        .value_kind:     hidden_group_size_z
      - .offset:         226
        .size:           2
        .value_kind:     hidden_remainder_x
      - .offset:         228
        .size:           2
        .value_kind:     hidden_remainder_y
      - .offset:         230
        .size:           2
        .value_kind:     hidden_remainder_z
      - .offset:         248
        .size:           8
        .value_kind:     hidden_global_offset_x
      - .offset:         256
        .size:           8
        .value_kind:     hidden_global_offset_y
      - .offset:         264
        .size:           8
        .value_kind:     hidden_global_offset_z
      - .offset:         272
        .size:           2
        .value_kind:     hidden_grid_dims
      - .offset:         288
        .size:           8
        .value_kind:     hidden_hostcall_buffer
    .group_segment_fixed_size: 0
    .kernarg_segment_align: 8
    .kernarg_segment_size: 464
    .language:       OpenCL C
    .language_version:
      - 2
      - 0
    .max_flat_workgroup_size: 256
    .name:           _ZL15flash_attn_tileILi112ELi112ELi16ELi1ELb1EEvPKcS1_S1_S1_S1_PKiPfP15HIP_vector_typeIfLj2EEffffjfiS5_IjLj3EEiiiiiiiiiiiliiliiiiil
    .private_segment_fixed_size: 16
    .sgpr_count:     40
    .sgpr_spill_count: 0
    .symbol:         _ZL15flash_attn_tileILi112ELi112ELi16ELi1ELb1EEvPKcS1_S1_S1_S1_PKiPfP15HIP_vector_typeIfLj2EEffffjfiS5_IjLj3EEiiiiiiiiiiiliiliiiiil.kd
    .uniform_work_group_size: 1
    .uses_dynamic_stack: false
    .vgpr_count:     39
    .vgpr_spill_count: 0
    .wavefront_size: 64
  - .agpr_count:     0
    .args:
      - .address_space:  global
        .offset:         0
        .size:           8
        .value_kind:     global_buffer
      - .address_space:  global
        .offset:         8
        .size:           8
        .value_kind:     global_buffer
      - .address_space:  global
        .offset:         16
        .size:           8
        .value_kind:     global_buffer
      - .address_space:  global
        .offset:         24
        .size:           8
        .value_kind:     global_buffer
      - .address_space:  global
        .offset:         32
        .size:           8
        .value_kind:     global_buffer
      - .address_space:  global
        .offset:         40
        .size:           8
        .value_kind:     global_buffer
      - .address_space:  global
        .offset:         48
        .size:           8
        .value_kind:     global_buffer
      - .address_space:  global
        .offset:         56
        .size:           8
        .value_kind:     global_buffer
      - .offset:         64
        .size:           4
        .value_kind:     by_value
      - .offset:         68
        .size:           4
        .value_kind:     by_value
      - .offset:         72
        .size:           4
        .value_kind:     by_value
      - .offset:         76
        .size:           4
        .value_kind:     by_value
      - .offset:         80
        .size:           4
        .value_kind:     by_value
      - .offset:         84
        .size:           4
        .value_kind:     by_value
      - .offset:         88
        .size:           4
        .value_kind:     by_value
      - .offset:         92
        .size:           12
        .value_kind:     by_value
      - .offset:         104
        .size:           4
        .value_kind:     by_value
      - .offset:         108
        .size:           4
        .value_kind:     by_value
      - .offset:         112
        .size:           4
        .value_kind:     by_value
      - .offset:         116
        .size:           4
        .value_kind:     by_value
      - .offset:         120
        .size:           4
        .value_kind:     by_value
      - .offset:         124
        .size:           4
        .value_kind:     by_value
      - .offset:         128
        .size:           4
        .value_kind:     by_value
      - .offset:         132
        .size:           4
        .value_kind:     by_value
      - .offset:         136
        .size:           4
        .value_kind:     by_value
      - .offset:         140
        .size:           4
        .value_kind:     by_value
      - .offset:         144
        .size:           4
        .value_kind:     by_value
      - .offset:         152
        .size:           8
        .value_kind:     by_value
      - .offset:         160
        .size:           4
        .value_kind:     by_value
      - .offset:         164
        .size:           4
        .value_kind:     by_value
      - .offset:         168
        .size:           8
        .value_kind:     by_value
      - .offset:         176
        .size:           4
        .value_kind:     by_value
      - .offset:         180
        .size:           4
        .value_kind:     by_value
      - .offset:         184
        .size:           4
        .value_kind:     by_value
      - .offset:         188
        .size:           4
        .value_kind:     by_value
      - .offset:         192
        .size:           4
        .value_kind:     by_value
      - .offset:         200
        .size:           8
        .value_kind:     by_value
      - .offset:         208
        .size:           4
        .value_kind:     hidden_block_count_x
      - .offset:         212
        .size:           4
        .value_kind:     hidden_block_count_y
      - .offset:         216
        .size:           4
        .value_kind:     hidden_block_count_z
      - .offset:         220
        .size:           2
        .value_kind:     hidden_group_size_x
      - .offset:         222
        .size:           2
        .value_kind:     hidden_group_size_y
      - .offset:         224
        .size:           2
        .value_kind:     hidden_group_size_z
      - .offset:         226
        .size:           2
        .value_kind:     hidden_remainder_x
      - .offset:         228
        .size:           2
        .value_kind:     hidden_remainder_y
      - .offset:         230
        .size:           2
        .value_kind:     hidden_remainder_z
      - .offset:         248
        .size:           8
        .value_kind:     hidden_global_offset_x
      - .offset:         256
        .size:           8
        .value_kind:     hidden_global_offset_y
      - .offset:         264
        .size:           8
        .value_kind:     hidden_global_offset_z
      - .offset:         272
        .size:           2
        .value_kind:     hidden_grid_dims
      - .offset:         288
        .size:           8
        .value_kind:     hidden_hostcall_buffer
    .group_segment_fixed_size: 0
    .kernarg_segment_align: 8
    .kernarg_segment_size: 464
    .language:       OpenCL C
    .language_version:
      - 2
      - 0
    .max_flat_workgroup_size: 256
    .name:           _ZL15flash_attn_tileILi112ELi112ELi8ELi1ELb1EEvPKcS1_S1_S1_S1_PKiPfP15HIP_vector_typeIfLj2EEffffjfiS5_IjLj3EEiiiiiiiiiiiliiliiiiil
    .private_segment_fixed_size: 16
    .sgpr_count:     40
    .sgpr_spill_count: 0
    .symbol:         _ZL15flash_attn_tileILi112ELi112ELi8ELi1ELb1EEvPKcS1_S1_S1_S1_PKiPfP15HIP_vector_typeIfLj2EEffffjfiS5_IjLj3EEiiiiiiiiiiiliiliiiiil.kd
    .uniform_work_group_size: 1
    .uses_dynamic_stack: false
    .vgpr_count:     39
    .vgpr_spill_count: 0
    .wavefront_size: 64
  - .agpr_count:     0
    .args:
      - .address_space:  global
        .offset:         0
        .size:           8
        .value_kind:     global_buffer
      - .address_space:  global
        .offset:         8
        .size:           8
        .value_kind:     global_buffer
      - .address_space:  global
        .offset:         16
        .size:           8
        .value_kind:     global_buffer
      - .address_space:  global
        .offset:         24
        .size:           8
        .value_kind:     global_buffer
      - .address_space:  global
        .offset:         32
        .size:           8
        .value_kind:     global_buffer
      - .address_space:  global
        .offset:         40
        .size:           8
        .value_kind:     global_buffer
      - .address_space:  global
        .offset:         48
        .size:           8
        .value_kind:     global_buffer
      - .address_space:  global
        .offset:         56
        .size:           8
        .value_kind:     global_buffer
      - .offset:         64
        .size:           4
        .value_kind:     by_value
      - .offset:         68
        .size:           4
        .value_kind:     by_value
      - .offset:         72
        .size:           4
        .value_kind:     by_value
      - .offset:         76
        .size:           4
        .value_kind:     by_value
      - .offset:         80
        .size:           4
        .value_kind:     by_value
      - .offset:         84
        .size:           4
        .value_kind:     by_value
      - .offset:         88
        .size:           4
        .value_kind:     by_value
      - .offset:         92
        .size:           12
        .value_kind:     by_value
      - .offset:         104
        .size:           4
        .value_kind:     by_value
      - .offset:         108
        .size:           4
        .value_kind:     by_value
      - .offset:         112
        .size:           4
        .value_kind:     by_value
      - .offset:         116
        .size:           4
        .value_kind:     by_value
      - .offset:         120
        .size:           4
        .value_kind:     by_value
      - .offset:         124
        .size:           4
        .value_kind:     by_value
      - .offset:         128
        .size:           4
        .value_kind:     by_value
      - .offset:         132
        .size:           4
        .value_kind:     by_value
      - .offset:         136
        .size:           4
        .value_kind:     by_value
      - .offset:         140
        .size:           4
        .value_kind:     by_value
      - .offset:         144
        .size:           4
        .value_kind:     by_value
      - .offset:         152
        .size:           8
        .value_kind:     by_value
      - .offset:         160
        .size:           4
        .value_kind:     by_value
      - .offset:         164
        .size:           4
        .value_kind:     by_value
      - .offset:         168
        .size:           8
        .value_kind:     by_value
      - .offset:         176
        .size:           4
        .value_kind:     by_value
      - .offset:         180
        .size:           4
        .value_kind:     by_value
      - .offset:         184
        .size:           4
        .value_kind:     by_value
      - .offset:         188
        .size:           4
        .value_kind:     by_value
      - .offset:         192
        .size:           4
        .value_kind:     by_value
      - .offset:         200
        .size:           8
        .value_kind:     by_value
      - .offset:         208
        .size:           4
        .value_kind:     hidden_block_count_x
      - .offset:         212
        .size:           4
        .value_kind:     hidden_block_count_y
      - .offset:         216
        .size:           4
        .value_kind:     hidden_block_count_z
      - .offset:         220
        .size:           2
        .value_kind:     hidden_group_size_x
      - .offset:         222
        .size:           2
        .value_kind:     hidden_group_size_y
      - .offset:         224
        .size:           2
        .value_kind:     hidden_group_size_z
      - .offset:         226
        .size:           2
        .value_kind:     hidden_remainder_x
      - .offset:         228
        .size:           2
        .value_kind:     hidden_remainder_y
      - .offset:         230
        .size:           2
        .value_kind:     hidden_remainder_z
      - .offset:         248
        .size:           8
        .value_kind:     hidden_global_offset_x
      - .offset:         256
        .size:           8
        .value_kind:     hidden_global_offset_y
      - .offset:         264
        .size:           8
        .value_kind:     hidden_global_offset_z
      - .offset:         272
        .size:           2
        .value_kind:     hidden_grid_dims
      - .offset:         288
        .size:           8
        .value_kind:     hidden_hostcall_buffer
    .group_segment_fixed_size: 0
    .kernarg_segment_align: 8
    .kernarg_segment_size: 464
    .language:       OpenCL C
    .language_version:
      - 2
      - 0
    .max_flat_workgroup_size: 128
    .name:           _ZL15flash_attn_tileILi112ELi112ELi4ELi1ELb1EEvPKcS1_S1_S1_S1_PKiPfP15HIP_vector_typeIfLj2EEffffjfiS5_IjLj3EEiiiiiiiiiiiliiliiiiil
    .private_segment_fixed_size: 16
    .sgpr_count:     40
    .sgpr_spill_count: 0
    .symbol:         _ZL15flash_attn_tileILi112ELi112ELi4ELi1ELb1EEvPKcS1_S1_S1_S1_PKiPfP15HIP_vector_typeIfLj2EEffffjfiS5_IjLj3EEiiiiiiiiiiiliiliiiiil.kd
    .uniform_work_group_size: 1
    .uses_dynamic_stack: false
    .vgpr_count:     39
    .vgpr_spill_count: 0
    .wavefront_size: 64
  - .agpr_count:     0
    .args:
      - .address_space:  global
        .offset:         0
        .size:           8
        .value_kind:     global_buffer
      - .address_space:  global
        .offset:         8
        .size:           8
        .value_kind:     global_buffer
      - .address_space:  global
        .offset:         16
        .size:           8
        .value_kind:     global_buffer
      - .address_space:  global
        .offset:         24
        .size:           8
        .value_kind:     global_buffer
      - .address_space:  global
        .offset:         32
        .size:           8
        .value_kind:     global_buffer
      - .address_space:  global
        .offset:         40
        .size:           8
        .value_kind:     global_buffer
      - .address_space:  global
        .offset:         48
        .size:           8
        .value_kind:     global_buffer
      - .address_space:  global
        .offset:         56
        .size:           8
        .value_kind:     global_buffer
      - .offset:         64
        .size:           4
        .value_kind:     by_value
      - .offset:         68
        .size:           4
        .value_kind:     by_value
      - .offset:         72
        .size:           4
        .value_kind:     by_value
      - .offset:         76
        .size:           4
        .value_kind:     by_value
      - .offset:         80
        .size:           4
        .value_kind:     by_value
      - .offset:         84
        .size:           4
        .value_kind:     by_value
      - .offset:         88
        .size:           4
        .value_kind:     by_value
      - .offset:         92
        .size:           12
        .value_kind:     by_value
      - .offset:         104
        .size:           4
        .value_kind:     by_value
      - .offset:         108
        .size:           4
        .value_kind:     by_value
      - .offset:         112
        .size:           4
        .value_kind:     by_value
      - .offset:         116
        .size:           4
        .value_kind:     by_value
      - .offset:         120
        .size:           4
        .value_kind:     by_value
      - .offset:         124
        .size:           4
        .value_kind:     by_value
      - .offset:         128
        .size:           4
        .value_kind:     by_value
      - .offset:         132
        .size:           4
        .value_kind:     by_value
      - .offset:         136
        .size:           4
        .value_kind:     by_value
      - .offset:         140
        .size:           4
        .value_kind:     by_value
      - .offset:         144
        .size:           4
        .value_kind:     by_value
      - .offset:         152
        .size:           8
        .value_kind:     by_value
      - .offset:         160
        .size:           4
        .value_kind:     by_value
      - .offset:         164
        .size:           4
        .value_kind:     by_value
      - .offset:         168
        .size:           8
        .value_kind:     by_value
      - .offset:         176
        .size:           4
        .value_kind:     by_value
      - .offset:         180
        .size:           4
        .value_kind:     by_value
      - .offset:         184
        .size:           4
        .value_kind:     by_value
      - .offset:         188
        .size:           4
        .value_kind:     by_value
      - .offset:         192
        .size:           4
        .value_kind:     by_value
      - .offset:         200
        .size:           8
        .value_kind:     by_value
      - .offset:         208
        .size:           4
        .value_kind:     hidden_block_count_x
      - .offset:         212
        .size:           4
        .value_kind:     hidden_block_count_y
      - .offset:         216
        .size:           4
        .value_kind:     hidden_block_count_z
      - .offset:         220
        .size:           2
        .value_kind:     hidden_group_size_x
      - .offset:         222
        .size:           2
        .value_kind:     hidden_group_size_y
      - .offset:         224
        .size:           2
        .value_kind:     hidden_group_size_z
      - .offset:         226
        .size:           2
        .value_kind:     hidden_remainder_x
      - .offset:         228
        .size:           2
        .value_kind:     hidden_remainder_y
      - .offset:         230
        .size:           2
        .value_kind:     hidden_remainder_z
      - .offset:         248
        .size:           8
        .value_kind:     hidden_global_offset_x
      - .offset:         256
        .size:           8
        .value_kind:     hidden_global_offset_y
      - .offset:         264
        .size:           8
        .value_kind:     hidden_global_offset_z
      - .offset:         272
        .size:           2
        .value_kind:     hidden_grid_dims
      - .offset:         288
        .size:           8
        .value_kind:     hidden_hostcall_buffer
    .group_segment_fixed_size: 0
    .kernarg_segment_align: 8
    .kernarg_segment_size: 464
    .language:       OpenCL C
    .language_version:
      - 2
      - 0
    .max_flat_workgroup_size: 64
    .name:           _ZL15flash_attn_tileILi112ELi112ELi2ELi1ELb1EEvPKcS1_S1_S1_S1_PKiPfP15HIP_vector_typeIfLj2EEffffjfiS5_IjLj3EEiiiiiiiiiiiliiliiiiil
    .private_segment_fixed_size: 16
    .sgpr_count:     40
    .sgpr_spill_count: 0
    .symbol:         _ZL15flash_attn_tileILi112ELi112ELi2ELi1ELb1EEvPKcS1_S1_S1_S1_PKiPfP15HIP_vector_typeIfLj2EEffffjfiS5_IjLj3EEiiiiiiiiiiiliiliiiiil.kd
    .uniform_work_group_size: 1
    .uses_dynamic_stack: false
    .vgpr_count:     39
    .vgpr_spill_count: 0
    .wavefront_size: 64
amdhsa.target:   amdgcn-amd-amdhsa--gfx942
amdhsa.version:
  - 1
  - 2
...

	.end_amdgpu_metadata
